;; amdgpu-corpus repo=pytorch/pytorch kind=compiled arch=gfx1201 opt=O3
	.amdgcn_target "amdgcn-amd-amdhsa--gfx1201"
	.amdhsa_code_object_version 6
	.section	.text.unlikely._ZN2at6native12_GLOBAL__N_128vectorized_layer_norm_kernelIddLb0EEEviT0_PKT_S6_S6_PS3_S7_PS4_,"axG",@progbits,_ZN2at6native12_GLOBAL__N_128vectorized_layer_norm_kernelIddLb0EEEviT0_PKT_S6_S6_PS3_S7_PS4_,comdat
	.globl	_ZN2at6native12_GLOBAL__N_128vectorized_layer_norm_kernelIddLb0EEEviT0_PKT_S6_S6_PS3_S7_PS4_ ; -- Begin function _ZN2at6native12_GLOBAL__N_128vectorized_layer_norm_kernelIddLb0EEEviT0_PKT_S6_S6_PS3_S7_PS4_
	.p2align	8
	.type	_ZN2at6native12_GLOBAL__N_128vectorized_layer_norm_kernelIddLb0EEEviT0_PKT_S6_S6_PS3_S7_PS4_,@function
_ZN2at6native12_GLOBAL__N_128vectorized_layer_norm_kernelIddLb0EEEviT0_PKT_S6_S6_PS3_S7_PS4_: ; @_ZN2at6native12_GLOBAL__N_128vectorized_layer_norm_kernelIddLb0EEEviT0_PKT_S6_S6_PS3_S7_PS4_
; %bb.0:
	s_trap 2
	.section	.rodata,"a",@progbits
	.p2align	6, 0x0
	.amdhsa_kernel _ZN2at6native12_GLOBAL__N_128vectorized_layer_norm_kernelIddLb0EEEviT0_PKT_S6_S6_PS3_S7_PS4_
		.amdhsa_group_segment_fixed_size 0
		.amdhsa_private_segment_fixed_size 0
		.amdhsa_kernarg_size 64
		.amdhsa_user_sgpr_count 2
		.amdhsa_user_sgpr_dispatch_ptr 0
		.amdhsa_user_sgpr_queue_ptr 0
		.amdhsa_user_sgpr_kernarg_segment_ptr 1
		.amdhsa_user_sgpr_dispatch_id 0
		.amdhsa_user_sgpr_private_segment_size 0
		.amdhsa_wavefront_size32 1
		.amdhsa_uses_dynamic_stack 0
		.amdhsa_enable_private_segment 0
		.amdhsa_system_sgpr_workgroup_id_x 1
		.amdhsa_system_sgpr_workgroup_id_y 0
		.amdhsa_system_sgpr_workgroup_id_z 0
		.amdhsa_system_sgpr_workgroup_info 0
		.amdhsa_system_vgpr_workitem_id 0
		.amdhsa_next_free_vgpr 1
		.amdhsa_next_free_sgpr 1
		.amdhsa_reserve_vcc 0
		.amdhsa_float_round_mode_32 0
		.amdhsa_float_round_mode_16_64 0
		.amdhsa_float_denorm_mode_32 3
		.amdhsa_float_denorm_mode_16_64 3
		.amdhsa_fp16_overflow 0
		.amdhsa_workgroup_processor_mode 1
		.amdhsa_memory_ordered 1
		.amdhsa_forward_progress 1
		.amdhsa_inst_pref_size 1
		.amdhsa_round_robin_scheduling 0
		.amdhsa_exception_fp_ieee_invalid_op 0
		.amdhsa_exception_fp_denorm_src 0
		.amdhsa_exception_fp_ieee_div_zero 0
		.amdhsa_exception_fp_ieee_overflow 0
		.amdhsa_exception_fp_ieee_underflow 0
		.amdhsa_exception_fp_ieee_inexact 0
		.amdhsa_exception_int_div_zero 0
	.end_amdhsa_kernel
	.section	.text.unlikely._ZN2at6native12_GLOBAL__N_128vectorized_layer_norm_kernelIddLb0EEEviT0_PKT_S6_S6_PS3_S7_PS4_,"axG",@progbits,_ZN2at6native12_GLOBAL__N_128vectorized_layer_norm_kernelIddLb0EEEviT0_PKT_S6_S6_PS3_S7_PS4_,comdat
.Lfunc_end0:
	.size	_ZN2at6native12_GLOBAL__N_128vectorized_layer_norm_kernelIddLb0EEEviT0_PKT_S6_S6_PS3_S7_PS4_, .Lfunc_end0-_ZN2at6native12_GLOBAL__N_128vectorized_layer_norm_kernelIddLb0EEEviT0_PKT_S6_S6_PS3_S7_PS4_
                                        ; -- End function
	.set _ZN2at6native12_GLOBAL__N_128vectorized_layer_norm_kernelIddLb0EEEviT0_PKT_S6_S6_PS3_S7_PS4_.num_vgpr, 0
	.set _ZN2at6native12_GLOBAL__N_128vectorized_layer_norm_kernelIddLb0EEEviT0_PKT_S6_S6_PS3_S7_PS4_.num_agpr, 0
	.set _ZN2at6native12_GLOBAL__N_128vectorized_layer_norm_kernelIddLb0EEEviT0_PKT_S6_S6_PS3_S7_PS4_.numbered_sgpr, 0
	.set _ZN2at6native12_GLOBAL__N_128vectorized_layer_norm_kernelIddLb0EEEviT0_PKT_S6_S6_PS3_S7_PS4_.num_named_barrier, 0
	.set _ZN2at6native12_GLOBAL__N_128vectorized_layer_norm_kernelIddLb0EEEviT0_PKT_S6_S6_PS3_S7_PS4_.private_seg_size, 0
	.set _ZN2at6native12_GLOBAL__N_128vectorized_layer_norm_kernelIddLb0EEEviT0_PKT_S6_S6_PS3_S7_PS4_.uses_vcc, 0
	.set _ZN2at6native12_GLOBAL__N_128vectorized_layer_norm_kernelIddLb0EEEviT0_PKT_S6_S6_PS3_S7_PS4_.uses_flat_scratch, 0
	.set _ZN2at6native12_GLOBAL__N_128vectorized_layer_norm_kernelIddLb0EEEviT0_PKT_S6_S6_PS3_S7_PS4_.has_dyn_sized_stack, 0
	.set _ZN2at6native12_GLOBAL__N_128vectorized_layer_norm_kernelIddLb0EEEviT0_PKT_S6_S6_PS3_S7_PS4_.has_recursion, 0
	.set _ZN2at6native12_GLOBAL__N_128vectorized_layer_norm_kernelIddLb0EEEviT0_PKT_S6_S6_PS3_S7_PS4_.has_indirect_call, 0
	.section	.AMDGPU.csdata,"",@progbits
; Kernel info:
; codeLenInByte = 4
; TotalNumSgprs: 0
; NumVgprs: 0
; ScratchSize: 0
; MemoryBound: 0
; FloatMode: 240
; IeeeMode: 1
; LDSByteSize: 0 bytes/workgroup (compile time only)
; SGPRBlocks: 0
; VGPRBlocks: 0
; NumSGPRsForWavesPerEU: 1
; NumVGPRsForWavesPerEU: 1
; Occupancy: 16
; WaveLimiterHint : 0
; COMPUTE_PGM_RSRC2:SCRATCH_EN: 0
; COMPUTE_PGM_RSRC2:USER_SGPR: 2
; COMPUTE_PGM_RSRC2:TRAP_HANDLER: 0
; COMPUTE_PGM_RSRC2:TGID_X_EN: 1
; COMPUTE_PGM_RSRC2:TGID_Y_EN: 0
; COMPUTE_PGM_RSRC2:TGID_Z_EN: 0
; COMPUTE_PGM_RSRC2:TIDIG_COMP_CNT: 0
	.section	.text._ZN2at6native12_GLOBAL__N_124RowwiseMomentsCUDAKernelIddLb0EEEvlT0_PKT_PS3_S7_,"axG",@progbits,_ZN2at6native12_GLOBAL__N_124RowwiseMomentsCUDAKernelIddLb0EEEvlT0_PKT_PS3_S7_,comdat
	.globl	_ZN2at6native12_GLOBAL__N_124RowwiseMomentsCUDAKernelIddLb0EEEvlT0_PKT_PS3_S7_ ; -- Begin function _ZN2at6native12_GLOBAL__N_124RowwiseMomentsCUDAKernelIddLb0EEEvlT0_PKT_PS3_S7_
	.p2align	8
	.type	_ZN2at6native12_GLOBAL__N_124RowwiseMomentsCUDAKernelIddLb0EEEvlT0_PKT_PS3_S7_,@function
_ZN2at6native12_GLOBAL__N_124RowwiseMomentsCUDAKernelIddLb0EEEvlT0_PKT_PS3_S7_: ; @_ZN2at6native12_GLOBAL__N_124RowwiseMomentsCUDAKernelIddLb0EEEvlT0_PKT_PS3_S7_
; %bb.0:
	s_clause 0x1
	s_load_b256 s[4:11], s[0:1], 0x0
	s_load_b64 s[12:13], s[0:1], 0x20
	v_dual_mov_b32 v1, 0 :: v_dual_mov_b32 v14, 0
	v_dual_mov_b32 v15, 0 :: v_dual_mov_b32 v6, 0
	;; [unrolled: 1-line block ×4, first 2 shown]
	v_mov_b32_e32 v5, 0
	s_mov_b32 s14, ttmp9
	s_mov_b32 s15, 0
	s_mov_b32 s3, exec_lo
	s_wait_kmcnt 0x0
	v_cmpx_gt_i64_e64 s[4:5], v[0:1]
	s_cbranch_execz .LBB1_4
; %bb.1:
	s_load_b32 s2, s[0:1], 0x34
	s_mul_u64 s[16:17], s[4:5], s[14:15]
	v_lshlrev_b32_e32 v6, 3, v0
	s_lshl_b64 s[16:17], s[16:17], 3
	v_dual_mov_b32 v2, 0 :: v_dual_mov_b32 v9, v1
	s_add_nc_u64 s[8:9], s[8:9], s[16:17]
	v_mov_b32_e32 v3, 0
	v_add_co_u32 v10, s8, s8, v6
	v_mov_b32_e32 v4, 0
	v_dual_mov_b32 v8, v0 :: v_dual_mov_b32 v5, 0
	s_wait_alu 0xf1ff
	v_add_co_ci_u32_e64 v11, null, s9, 0, s8
	s_mov_b64 s[8:9], 0
	s_mov_b32 s17, s15
	s_wait_kmcnt 0x0
	s_and_b32 s16, s2, 0xffff
	s_delay_alu instid0(SALU_CYCLE_1)
	s_lshl_b32 s18, s16, 3
.LBB1_2:                                ; =>This Inner Loop Header: Depth=1
	global_load_b64 v[12:13], v[10:11], off
	s_wait_alu 0xfffe
	s_add_nc_u64 s[8:9], s[8:9], 1
	v_add_co_u32 v10, s2, v10, s18
	s_wait_alu 0xfffe
	v_cvt_f64_u32_e32 v[6:7], s9
	v_cvt_f64_u32_e32 v[14:15], s8
	s_wait_alu 0xf1ff
	v_add_co_ci_u32_e64 v11, null, 0, v11, s2
	s_delay_alu instid0(VALU_DEP_3) | instskip(NEXT) | instid1(VALU_DEP_1)
	v_ldexp_f64 v[6:7], v[6:7], 32
	v_add_f64_e32 v[6:7], v[6:7], v[14:15]
	s_wait_loadcnt 0x0
	v_add_f64_e64 v[14:15], v[12:13], -v[4:5]
	s_delay_alu instid0(VALU_DEP_1) | instskip(SKIP_1) | instid1(VALU_DEP_2)
	v_div_scale_f64 v[16:17], null, v[6:7], v[6:7], v[14:15]
	v_div_scale_f64 v[22:23], vcc_lo, v[14:15], v[6:7], v[14:15]
	v_rcp_f64_e32 v[18:19], v[16:17]
	s_delay_alu instid0(TRANS32_DEP_1) | instskip(NEXT) | instid1(VALU_DEP_1)
	v_fma_f64 v[20:21], -v[16:17], v[18:19], 1.0
	v_fma_f64 v[18:19], v[18:19], v[20:21], v[18:19]
	s_delay_alu instid0(VALU_DEP_1) | instskip(NEXT) | instid1(VALU_DEP_1)
	v_fma_f64 v[20:21], -v[16:17], v[18:19], 1.0
	v_fma_f64 v[18:19], v[18:19], v[20:21], v[18:19]
	s_delay_alu instid0(VALU_DEP_1) | instskip(NEXT) | instid1(VALU_DEP_1)
	v_mul_f64_e32 v[20:21], v[22:23], v[18:19]
	v_fma_f64 v[16:17], -v[16:17], v[20:21], v[22:23]
	s_wait_alu 0xfffd
	s_delay_alu instid0(VALU_DEP_1) | instskip(SKIP_3) | instid1(VALU_DEP_1)
	v_div_fmas_f64 v[16:17], v[16:17], v[18:19], v[20:21]
	v_add_co_u32 v8, vcc_lo, v8, s16
	s_wait_alu 0xfffd
	v_add_co_ci_u32_e64 v9, null, 0, v9, vcc_lo
	v_cmp_le_i64_e32 vcc_lo, s[4:5], v[8:9]
	s_or_b32 s17, vcc_lo, s17
	s_delay_alu instid0(VALU_DEP_4) | instskip(NEXT) | instid1(VALU_DEP_1)
	v_div_fixup_f64 v[16:17], v[16:17], v[6:7], v[14:15]
	v_add_f64_e32 v[4:5], v[4:5], v[16:17]
	s_delay_alu instid0(VALU_DEP_1) | instskip(NEXT) | instid1(VALU_DEP_1)
	v_add_f64_e64 v[12:13], v[12:13], -v[4:5]
	v_fma_f64 v[2:3], v[14:15], v[12:13], v[2:3]
	v_dual_mov_b32 v15, s9 :: v_dual_mov_b32 v14, s8
	s_wait_alu 0xfffe
	s_and_not1_b32 exec_lo, exec_lo, s17
	s_cbranch_execnz .LBB1_2
; %bb.3:
	s_or_b32 exec_lo, exec_lo, s17
.LBB1_4:
	s_delay_alu instid0(SALU_CYCLE_1) | instskip(SKIP_2) | instid1(VALU_DEP_1)
	s_or_b32 exec_lo, exec_lo, s3
	v_mbcnt_lo_u32_b32 v23, -1, 0
	s_mov_b32 s2, exec_lo
	v_lshl_or_b32 v20, v23, 2, 64
	ds_bpermute_b32 v10, v20, v4
	ds_bpermute_b32 v11, v20, v5
	;; [unrolled: 1-line block ×8, first 2 shown]
	v_cmpx_neq_f64_e32 0, v[6:7]
	s_cbranch_execz .LBB1_8
; %bb.5:
	s_mov_b32 s3, exec_lo
	s_wait_dscnt 0x0
	v_cmpx_neq_f64_e32 0, v[12:13]
	s_cbranch_execz .LBB1_7
; %bb.6:
	v_add_f64_e32 v[16:17], v[6:7], v[12:13]
	v_add_f64_e64 v[10:11], v[10:11], -v[4:5]
	v_add_f64_e32 v[1:2], v[2:3], v[8:9]
	s_delay_alu instid0(VALU_DEP_3) | instskip(SKIP_1) | instid1(VALU_DEP_2)
	v_div_scale_f64 v[14:15], null, v[16:17], v[16:17], v[12:13]
	v_div_scale_f64 v[24:25], vcc_lo, v[12:13], v[16:17], v[12:13]
	v_rcp_f64_e32 v[18:19], v[14:15]
	s_delay_alu instid0(TRANS32_DEP_1) | instskip(NEXT) | instid1(VALU_DEP_1)
	v_fma_f64 v[21:22], -v[14:15], v[18:19], 1.0
	v_fma_f64 v[18:19], v[18:19], v[21:22], v[18:19]
	s_delay_alu instid0(VALU_DEP_1) | instskip(NEXT) | instid1(VALU_DEP_1)
	v_fma_f64 v[21:22], -v[14:15], v[18:19], 1.0
	v_fma_f64 v[18:19], v[18:19], v[21:22], v[18:19]
	s_delay_alu instid0(VALU_DEP_1) | instskip(NEXT) | instid1(VALU_DEP_1)
	v_mul_f64_e32 v[21:22], v[24:25], v[18:19]
	v_fma_f64 v[14:15], -v[14:15], v[21:22], v[24:25]
	s_wait_alu 0xfffd
	s_delay_alu instid0(VALU_DEP_1) | instskip(SKIP_1) | instid1(VALU_DEP_2)
	v_div_fmas_f64 v[14:15], v[14:15], v[18:19], v[21:22]
	v_mul_f64_e32 v[18:19], v[10:11], v[10:11]
	v_div_fixup_f64 v[8:9], v[14:15], v[16:17], v[12:13]
	s_delay_alu instid0(VALU_DEP_2) | instskip(SKIP_2) | instid1(VALU_DEP_4)
	v_mul_f64_e32 v[6:7], v[6:7], v[18:19]
	v_mov_b32_e32 v14, -1
	v_mov_b32_e32 v15, -1
	v_fma_f64 v[4:5], v[10:11], v[8:9], v[4:5]
	s_delay_alu instid0(VALU_DEP_4)
	v_fma_f64 v[2:3], v[6:7], v[8:9], v[1:2]
	v_dual_mov_b32 v6, v16 :: v_dual_mov_b32 v7, v17
.LBB1_7:
	s_wait_alu 0xfffe
	s_or_b32 exec_lo, exec_lo, s3
	s_delay_alu instid0(VALU_DEP_1) | instskip(SKIP_1) | instid1(VALU_DEP_4)
	v_dual_mov_b32 v13, v7 :: v_dual_mov_b32 v12, v6
	v_dual_mov_b32 v17, v15 :: v_dual_mov_b32 v16, v14
	;; [unrolled: 1-line block ×4, first 2 shown]
.LBB1_8:
	s_wait_alu 0xfffe
	s_or_b32 exec_lo, exec_lo, s2
	v_cmp_gt_u32_e64 s2, 24, v23
	s_wait_alu 0xf1ff
	s_delay_alu instid0(VALU_DEP_1) | instskip(SKIP_1) | instid1(VALU_DEP_1)
	v_cndmask_b32_e64 v1, 0, 8, s2
	s_mov_b32 s2, exec_lo
	v_add_lshl_u32 v21, v1, v23, 2
	s_wait_dscnt 0x7
	ds_bpermute_b32 v5, v21, v10
	s_wait_dscnt 0x7
	ds_bpermute_b32 v6, v21, v11
	;; [unrolled: 2-line block ×8, first 2 shown]
	v_cmpx_neq_f64_e32 0, v[12:13]
	s_cbranch_execz .LBB1_12
; %bb.9:
	s_mov_b32 s3, exec_lo
	s_wait_dscnt 0x0
	v_cmpx_neq_f64_e32 0, v[14:15]
	s_cbranch_execz .LBB1_11
; %bb.10:
	v_add_f64_e32 v[3:4], v[12:13], v[14:15]
	v_add_f64_e64 v[5:6], v[5:6], -v[10:11]
	v_add_f64_e32 v[1:2], v[8:9], v[1:2]
	s_delay_alu instid0(VALU_DEP_3) | instskip(SKIP_1) | instid1(VALU_DEP_2)
	v_div_scale_f64 v[16:17], null, v[3:4], v[3:4], v[14:15]
	v_div_scale_f64 v[26:27], vcc_lo, v[14:15], v[3:4], v[14:15]
	v_rcp_f64_e32 v[18:19], v[16:17]
	s_delay_alu instid0(TRANS32_DEP_1) | instskip(NEXT) | instid1(VALU_DEP_1)
	v_fma_f64 v[24:25], -v[16:17], v[18:19], 1.0
	v_fma_f64 v[18:19], v[18:19], v[24:25], v[18:19]
	s_delay_alu instid0(VALU_DEP_1) | instskip(NEXT) | instid1(VALU_DEP_1)
	v_fma_f64 v[24:25], -v[16:17], v[18:19], 1.0
	v_fma_f64 v[18:19], v[18:19], v[24:25], v[18:19]
	s_delay_alu instid0(VALU_DEP_1) | instskip(NEXT) | instid1(VALU_DEP_1)
	v_mul_f64_e32 v[24:25], v[26:27], v[18:19]
	v_fma_f64 v[16:17], -v[16:17], v[24:25], v[26:27]
	s_wait_alu 0xfffd
	s_delay_alu instid0(VALU_DEP_1) | instskip(SKIP_1) | instid1(VALU_DEP_2)
	v_div_fmas_f64 v[16:17], v[16:17], v[18:19], v[24:25]
	v_mul_f64_e32 v[18:19], v[5:6], v[5:6]
	v_div_fixup_f64 v[7:8], v[16:17], v[3:4], v[14:15]
	s_delay_alu instid0(VALU_DEP_2) | instskip(SKIP_2) | instid1(VALU_DEP_4)
	v_mul_f64_e32 v[12:13], v[12:13], v[18:19]
	v_mov_b32_e32 v16, -1
	v_mov_b32_e32 v17, -1
	v_fma_f64 v[10:11], v[5:6], v[7:8], v[10:11]
	s_delay_alu instid0(VALU_DEP_4)
	v_fma_f64 v[8:9], v[12:13], v[7:8], v[1:2]
	v_dual_mov_b32 v13, v4 :: v_dual_mov_b32 v12, v3
.LBB1_11:
	s_wait_alu 0xfffe
	s_or_b32 exec_lo, exec_lo, s3
	s_delay_alu instid0(VALU_DEP_1) | instskip(SKIP_1) | instid1(VALU_DEP_4)
	v_dual_mov_b32 v15, v13 :: v_dual_mov_b32 v14, v12
	v_dual_mov_b32 v19, v17 :: v_dual_mov_b32 v18, v16
	;; [unrolled: 1-line block ×4, first 2 shown]
.LBB1_12:
	s_wait_alu 0xfffe
	s_or_b32 exec_lo, exec_lo, s2
	v_cmp_gt_u32_e64 s2, 28, v23
	s_wait_alu 0xf1ff
	s_delay_alu instid0(VALU_DEP_1) | instskip(SKIP_1) | instid1(VALU_DEP_1)
	v_cndmask_b32_e64 v3, 0, 4, s2
	s_mov_b32 s2, exec_lo
	v_add_lshl_u32 v22, v3, v23, 2
	s_wait_dscnt 0x7
	ds_bpermute_b32 v7, v22, v5
	s_wait_dscnt 0x7
	ds_bpermute_b32 v8, v22, v6
	;; [unrolled: 2-line block ×8, first 2 shown]
	v_cmpx_neq_f64_e32 0, v[14:15]
	s_cbranch_execz .LBB1_16
; %bb.13:
	s_mov_b32 s3, exec_lo
	s_wait_dscnt 0x0
	v_cmpx_neq_f64_e32 0, v[9:10]
	s_cbranch_execz .LBB1_15
; %bb.14:
	v_add_f64_e32 v[11:12], v[14:15], v[9:10]
	v_add_f64_e64 v[7:8], v[7:8], -v[5:6]
	v_add_f64_e32 v[1:2], v[1:2], v[3:4]
	s_delay_alu instid0(VALU_DEP_3) | instskip(SKIP_1) | instid1(VALU_DEP_2)
	v_div_scale_f64 v[16:17], null, v[11:12], v[11:12], v[9:10]
	v_div_scale_f64 v[26:27], vcc_lo, v[9:10], v[11:12], v[9:10]
	v_rcp_f64_e32 v[18:19], v[16:17]
	s_delay_alu instid0(TRANS32_DEP_1) | instskip(NEXT) | instid1(VALU_DEP_1)
	v_fma_f64 v[24:25], -v[16:17], v[18:19], 1.0
	v_fma_f64 v[18:19], v[18:19], v[24:25], v[18:19]
	s_delay_alu instid0(VALU_DEP_1) | instskip(NEXT) | instid1(VALU_DEP_1)
	v_fma_f64 v[24:25], -v[16:17], v[18:19], 1.0
	v_fma_f64 v[18:19], v[18:19], v[24:25], v[18:19]
	s_delay_alu instid0(VALU_DEP_1) | instskip(NEXT) | instid1(VALU_DEP_1)
	v_mul_f64_e32 v[24:25], v[26:27], v[18:19]
	v_fma_f64 v[16:17], -v[16:17], v[24:25], v[26:27]
	s_wait_alu 0xfffd
	s_delay_alu instid0(VALU_DEP_1) | instskip(SKIP_1) | instid1(VALU_DEP_2)
	v_div_fmas_f64 v[16:17], v[16:17], v[18:19], v[24:25]
	v_mul_f64_e32 v[18:19], v[7:8], v[7:8]
	v_div_fixup_f64 v[3:4], v[16:17], v[11:12], v[9:10]
	s_delay_alu instid0(VALU_DEP_2) | instskip(SKIP_2) | instid1(VALU_DEP_4)
	v_mul_f64_e32 v[9:10], v[14:15], v[18:19]
	v_dual_mov_b32 v18, -1 :: v_dual_mov_b32 v15, v12
	v_dual_mov_b32 v19, -1 :: v_dual_mov_b32 v14, v11
	v_fma_f64 v[5:6], v[7:8], v[3:4], v[5:6]
	s_delay_alu instid0(VALU_DEP_4)
	v_fma_f64 v[1:2], v[9:10], v[3:4], v[1:2]
.LBB1_15:
	s_wait_alu 0xfffe
	s_or_b32 exec_lo, exec_lo, s3
	v_dual_mov_b32 v9, v14 :: v_dual_mov_b32 v10, v15
	v_dual_mov_b32 v16, v18 :: v_dual_mov_b32 v17, v19
	s_delay_alu instid0(VALU_DEP_3)
	v_dual_mov_b32 v4, v2 :: v_dual_mov_b32 v3, v1
	v_dual_mov_b32 v8, v6 :: v_dual_mov_b32 v7, v5
.LBB1_16:
	s_wait_alu 0xfffe
	s_or_b32 exec_lo, exec_lo, s2
	v_cmp_gt_u32_e64 s2, 30, v23
	s_wait_alu 0xf1ff
	s_delay_alu instid0(VALU_DEP_1) | instskip(SKIP_1) | instid1(VALU_DEP_1)
	v_cndmask_b32_e64 v1, 0, 2, s2
	s_mov_b32 s2, exec_lo
	v_add_lshl_u32 v18, v1, v23, 2
	s_wait_dscnt 0x7
	ds_bpermute_b32 v5, v18, v7
	s_wait_dscnt 0x7
	ds_bpermute_b32 v6, v18, v8
	s_wait_dscnt 0x7
	ds_bpermute_b32 v1, v18, v3
	s_wait_dscnt 0x7
	ds_bpermute_b32 v2, v18, v4
	s_wait_dscnt 0x7
	ds_bpermute_b32 v13, v18, v16
	s_wait_dscnt 0x7
	ds_bpermute_b32 v14, v18, v17
	s_wait_dscnt 0x7
	ds_bpermute_b32 v11, v18, v9
	s_wait_dscnt 0x7
	ds_bpermute_b32 v12, v18, v10
	v_cmpx_neq_f64_e32 0, v[9:10]
	s_cbranch_execz .LBB1_20
; %bb.17:
	s_mov_b32 s3, exec_lo
	s_wait_dscnt 0x0
	v_cmpx_neq_f64_e32 0, v[11:12]
	s_cbranch_execz .LBB1_19
; %bb.18:
	v_add_f64_e32 v[13:14], v[9:10], v[11:12]
	v_add_f64_e64 v[5:6], v[5:6], -v[7:8]
	v_add_f64_e32 v[1:2], v[3:4], v[1:2]
	s_delay_alu instid0(VALU_DEP_3) | instskip(SKIP_1) | instid1(VALU_DEP_2)
	v_div_scale_f64 v[15:16], null, v[13:14], v[13:14], v[11:12]
	v_div_scale_f64 v[28:29], vcc_lo, v[11:12], v[13:14], v[11:12]
	v_rcp_f64_e32 v[24:25], v[15:16]
	s_delay_alu instid0(TRANS32_DEP_1) | instskip(NEXT) | instid1(VALU_DEP_1)
	v_fma_f64 v[26:27], -v[15:16], v[24:25], 1.0
	v_fma_f64 v[24:25], v[24:25], v[26:27], v[24:25]
	s_delay_alu instid0(VALU_DEP_1) | instskip(NEXT) | instid1(VALU_DEP_1)
	v_fma_f64 v[26:27], -v[15:16], v[24:25], 1.0
	v_fma_f64 v[24:25], v[24:25], v[26:27], v[24:25]
	s_delay_alu instid0(VALU_DEP_1) | instskip(NEXT) | instid1(VALU_DEP_1)
	v_mul_f64_e32 v[26:27], v[28:29], v[24:25]
	v_fma_f64 v[15:16], -v[15:16], v[26:27], v[28:29]
	s_wait_alu 0xfffd
	s_delay_alu instid0(VALU_DEP_1) | instskip(SKIP_1) | instid1(VALU_DEP_2)
	v_div_fmas_f64 v[15:16], v[15:16], v[24:25], v[26:27]
	v_mul_f64_e32 v[24:25], v[5:6], v[5:6]
	v_div_fixup_f64 v[3:4], v[15:16], v[13:14], v[11:12]
	s_delay_alu instid0(VALU_DEP_2) | instskip(SKIP_2) | instid1(VALU_DEP_4)
	v_mul_f64_e32 v[9:10], v[9:10], v[24:25]
	v_mov_b32_e32 v16, -1
	v_mov_b32_e32 v17, -1
	v_fma_f64 v[7:8], v[5:6], v[3:4], v[7:8]
	s_delay_alu instid0(VALU_DEP_4)
	v_fma_f64 v[3:4], v[9:10], v[3:4], v[1:2]
	v_dual_mov_b32 v9, v13 :: v_dual_mov_b32 v10, v14
.LBB1_19:
	s_wait_alu 0xfffe
	s_or_b32 exec_lo, exec_lo, s3
	s_delay_alu instid0(VALU_DEP_1) | instskip(SKIP_1) | instid1(VALU_DEP_4)
	v_dual_mov_b32 v12, v10 :: v_dual_mov_b32 v11, v9
	v_dual_mov_b32 v13, v16 :: v_dual_mov_b32 v14, v17
	v_dual_mov_b32 v1, v3 :: v_dual_mov_b32 v2, v4
	v_dual_mov_b32 v5, v7 :: v_dual_mov_b32 v6, v8
.LBB1_20:
	s_wait_alu 0xfffe
	s_or_b32 exec_lo, exec_lo, s2
	v_cmp_ne_u32_e64 s2, 31, v23
	s_wait_alu 0xf1ff
	s_delay_alu instid0(VALU_DEP_1)
	v_add_co_ci_u32_e64 v3, null, 0, v23, s2
	s_mov_b32 s2, exec_lo
	v_lshlrev_b32_e32 v17, 2, v3
	s_wait_dscnt 0x7
	ds_bpermute_b32 v9, v17, v5
	s_wait_dscnt 0x7
	ds_bpermute_b32 v10, v17, v6
	;; [unrolled: 2-line block ×8, first 2 shown]
	v_cmpx_neq_f64_e32 0, v[11:12]
	s_cbranch_execz .LBB1_24
; %bb.21:
	s_mov_b32 s3, exec_lo
	s_wait_dscnt 0x0
	v_cmpx_neq_f64_e32 0, v[3:4]
	s_cbranch_execz .LBB1_23
; %bb.22:
	v_add_f64_e32 v[15:16], v[11:12], v[3:4]
	v_add_f64_e64 v[9:10], v[9:10], -v[5:6]
	v_add_f64_e32 v[1:2], v[1:2], v[7:8]
	s_delay_alu instid0(VALU_DEP_3) | instskip(SKIP_1) | instid1(VALU_DEP_2)
	v_div_scale_f64 v[13:14], null, v[15:16], v[15:16], v[3:4]
	v_div_scale_f64 v[27:28], vcc_lo, v[3:4], v[15:16], v[3:4]
	v_rcp_f64_e32 v[23:24], v[13:14]
	s_delay_alu instid0(TRANS32_DEP_1) | instskip(NEXT) | instid1(VALU_DEP_1)
	v_fma_f64 v[25:26], -v[13:14], v[23:24], 1.0
	v_fma_f64 v[23:24], v[23:24], v[25:26], v[23:24]
	s_delay_alu instid0(VALU_DEP_1) | instskip(NEXT) | instid1(VALU_DEP_1)
	v_fma_f64 v[25:26], -v[13:14], v[23:24], 1.0
	v_fma_f64 v[23:24], v[23:24], v[25:26], v[23:24]
	s_delay_alu instid0(VALU_DEP_1) | instskip(NEXT) | instid1(VALU_DEP_1)
	v_mul_f64_e32 v[25:26], v[27:28], v[23:24]
	v_fma_f64 v[13:14], -v[13:14], v[25:26], v[27:28]
	s_wait_alu 0xfffd
	s_delay_alu instid0(VALU_DEP_1) | instskip(SKIP_1) | instid1(VALU_DEP_2)
	v_div_fmas_f64 v[13:14], v[13:14], v[23:24], v[25:26]
	v_mul_f64_e32 v[23:24], v[9:10], v[9:10]
	v_div_fixup_f64 v[3:4], v[13:14], v[15:16], v[3:4]
	s_delay_alu instid0(VALU_DEP_2)
	v_mul_f64_e32 v[7:8], v[11:12], v[23:24]
	v_mov_b32_e32 v13, -1
	v_dual_mov_b32 v14, -1 :: v_dual_mov_b32 v11, v15
	v_mov_b32_e32 v12, v16
	v_fma_f64 v[5:6], v[9:10], v[3:4], v[5:6]
	v_fma_f64 v[1:2], v[7:8], v[3:4], v[1:2]
.LBB1_23:
	s_wait_alu 0xfffe
	s_or_b32 exec_lo, exec_lo, s3
	v_dual_mov_b32 v3, v11 :: v_dual_mov_b32 v4, v12
	v_dual_mov_b32 v16, v14 :: v_dual_mov_b32 v15, v13
	s_delay_alu instid0(VALU_DEP_3)
	v_dual_mov_b32 v8, v2 :: v_dual_mov_b32 v7, v1
	v_dual_mov_b32 v10, v6 :: v_dual_mov_b32 v9, v5
.LBB1_24:
	s_wait_alu 0xfffe
	s_or_b32 exec_lo, exec_lo, s2
	v_and_b32_e32 v5, 31, v0
	s_mov_b32 s2, exec_lo
	s_wait_dscnt 0x0
	s_barrier_signal -1
	s_barrier_wait -1
	global_inv scope:SCOPE_SE
	v_cmpx_eq_u32_e32 0, v5
	s_cbranch_execz .LBB1_26
; %bb.25:
	ds_store_2addr_b64 v0, v[9:10], v[7:8] offset1:1
	ds_store_2addr_b64 v0, v[15:16], v[3:4] offset0:2 offset1:3
.LBB1_26:
	s_wait_alu 0xfffe
	s_or_b32 exec_lo, exec_lo, s2
	s_wait_loadcnt_dscnt 0x0
	s_barrier_signal -1
	s_barrier_wait -1
	global_inv scope:SCOPE_SE
	s_load_b32 s0, s[0:1], 0x34
	v_mov_b32_e32 v3, 0
	v_dual_mov_b32 v4, 0 :: v_dual_mov_b32 v1, 0
	v_dual_mov_b32 v2, 0 :: v_dual_lshlrev_b32 v7, 5, v5
	s_wait_kmcnt 0x0
	s_bfe_u32 s0, s0, 0xb0005
	s_delay_alu instid0(SALU_CYCLE_1)
	v_cmp_gt_u32_e32 vcc_lo, s0, v0
	s_and_saveexec_b32 s0, vcc_lo
; %bb.27:
	ds_load_b64 v[1:2], v7
; %bb.28:
	s_wait_alu 0xfffe
	s_or_b32 exec_lo, exec_lo, s0
	s_and_saveexec_b32 s0, vcc_lo
; %bb.29:
	ds_load_b64 v[3:4], v7 offset:8
; %bb.30:
	s_wait_alu 0xfffe
	s_or_b32 exec_lo, exec_lo, s0
	v_mov_b32_e32 v5, 0
	v_mov_b32_e32 v6, 0
	s_and_saveexec_b32 s0, vcc_lo
; %bb.31:
	ds_load_b64 v[5:6], v7 offset:24
; %bb.32:
	s_wait_alu 0xfffe
	s_or_b32 exec_lo, exec_lo, s0
	s_delay_alu instid0(SALU_CYCLE_1)
	s_mov_b32 s0, exec_lo
	v_cmpx_gt_u32_e32 32, v0
	s_cbranch_execz .LBB1_54
; %bb.33:
	s_wait_dscnt 0x0
	ds_bpermute_b32 v9, v20, v1
	ds_bpermute_b32 v10, v20, v2
	;; [unrolled: 1-line block ×6, first 2 shown]
	s_mov_b32 s1, exec_lo
	v_cmpx_neq_f64_e32 0, v[5:6]
	s_cbranch_execz .LBB1_37
; %bb.34:
	s_mov_b32 s2, exec_lo
	s_wait_dscnt 0x0
	v_cmpx_neq_f64_e32 0, v[11:12]
	s_cbranch_execz .LBB1_36
; %bb.35:
	v_add_f64_e32 v[13:14], v[5:6], v[11:12]
	v_add_f64_e64 v[9:10], v[9:10], -v[1:2]
	v_add_f64_e32 v[3:4], v[3:4], v[7:8]
	s_delay_alu instid0(VALU_DEP_3) | instskip(SKIP_1) | instid1(VALU_DEP_2)
	v_div_scale_f64 v[15:16], null, v[13:14], v[13:14], v[11:12]
	v_div_scale_f64 v[25:26], vcc_lo, v[11:12], v[13:14], v[11:12]
	v_rcp_f64_e32 v[19:20], v[15:16]
	s_delay_alu instid0(TRANS32_DEP_1) | instskip(NEXT) | instid1(VALU_DEP_1)
	v_fma_f64 v[23:24], -v[15:16], v[19:20], 1.0
	v_fma_f64 v[19:20], v[19:20], v[23:24], v[19:20]
	s_delay_alu instid0(VALU_DEP_1) | instskip(NEXT) | instid1(VALU_DEP_1)
	v_fma_f64 v[23:24], -v[15:16], v[19:20], 1.0
	v_fma_f64 v[19:20], v[19:20], v[23:24], v[19:20]
	s_delay_alu instid0(VALU_DEP_1) | instskip(NEXT) | instid1(VALU_DEP_1)
	v_mul_f64_e32 v[23:24], v[25:26], v[19:20]
	v_fma_f64 v[15:16], -v[15:16], v[23:24], v[25:26]
	s_wait_alu 0xfffd
	s_delay_alu instid0(VALU_DEP_1) | instskip(SKIP_1) | instid1(VALU_DEP_2)
	v_div_fmas_f64 v[15:16], v[15:16], v[19:20], v[23:24]
	v_mul_f64_e32 v[19:20], v[9:10], v[9:10]
	v_div_fixup_f64 v[7:8], v[15:16], v[13:14], v[11:12]
	s_delay_alu instid0(VALU_DEP_2) | instskip(NEXT) | instid1(VALU_DEP_2)
	v_mul_f64_e32 v[5:6], v[5:6], v[19:20]
	v_fma_f64 v[1:2], v[9:10], v[7:8], v[1:2]
	s_delay_alu instid0(VALU_DEP_2)
	v_fma_f64 v[3:4], v[5:6], v[7:8], v[3:4]
	v_dual_mov_b32 v5, v13 :: v_dual_mov_b32 v6, v14
.LBB1_36:
	s_wait_alu 0xfffe
	s_or_b32 exec_lo, exec_lo, s2
	s_delay_alu instid0(VALU_DEP_1) | instskip(NEXT) | instid1(VALU_DEP_3)
	v_dual_mov_b32 v12, v6 :: v_dual_mov_b32 v11, v5
	v_dual_mov_b32 v8, v4 :: v_dual_mov_b32 v7, v3
	;; [unrolled: 1-line block ×3, first 2 shown]
.LBB1_37:
	s_wait_alu 0xfffe
	s_or_b32 exec_lo, exec_lo, s1
	s_wait_dscnt 0x5
	ds_bpermute_b32 v5, v21, v9
	s_wait_dscnt 0x5
	ds_bpermute_b32 v6, v21, v10
	;; [unrolled: 2-line block ×6, first 2 shown]
	s_mov_b32 s1, exec_lo
	v_cmpx_neq_f64_e32 0, v[11:12]
	s_cbranch_execz .LBB1_41
; %bb.38:
	s_mov_b32 s2, exec_lo
	s_wait_dscnt 0x0
	v_cmpx_neq_f64_e32 0, v[13:14]
	s_cbranch_execz .LBB1_40
; %bb.39:
	v_add_f64_e32 v[3:4], v[11:12], v[13:14]
	v_add_f64_e64 v[5:6], v[5:6], -v[9:10]
	v_add_f64_e32 v[1:2], v[7:8], v[1:2]
	s_delay_alu instid0(VALU_DEP_3) | instskip(SKIP_1) | instid1(VALU_DEP_2)
	v_div_scale_f64 v[15:16], null, v[3:4], v[3:4], v[13:14]
	v_div_scale_f64 v[25:26], vcc_lo, v[13:14], v[3:4], v[13:14]
	v_rcp_f64_e32 v[19:20], v[15:16]
	s_delay_alu instid0(TRANS32_DEP_1) | instskip(NEXT) | instid1(VALU_DEP_1)
	v_fma_f64 v[23:24], -v[15:16], v[19:20], 1.0
	v_fma_f64 v[19:20], v[19:20], v[23:24], v[19:20]
	s_delay_alu instid0(VALU_DEP_1) | instskip(NEXT) | instid1(VALU_DEP_1)
	v_fma_f64 v[23:24], -v[15:16], v[19:20], 1.0
	v_fma_f64 v[19:20], v[19:20], v[23:24], v[19:20]
	s_delay_alu instid0(VALU_DEP_1) | instskip(NEXT) | instid1(VALU_DEP_1)
	v_mul_f64_e32 v[23:24], v[25:26], v[19:20]
	v_fma_f64 v[15:16], -v[15:16], v[23:24], v[25:26]
	s_wait_alu 0xfffd
	s_delay_alu instid0(VALU_DEP_1) | instskip(SKIP_1) | instid1(VALU_DEP_2)
	v_div_fmas_f64 v[15:16], v[15:16], v[19:20], v[23:24]
	v_mul_f64_e32 v[19:20], v[5:6], v[5:6]
	v_div_fixup_f64 v[7:8], v[15:16], v[3:4], v[13:14]
	s_delay_alu instid0(VALU_DEP_2) | instskip(NEXT) | instid1(VALU_DEP_2)
	v_mul_f64_e32 v[11:12], v[11:12], v[19:20]
	v_fma_f64 v[9:10], v[5:6], v[7:8], v[9:10]
	s_delay_alu instid0(VALU_DEP_2)
	v_fma_f64 v[7:8], v[11:12], v[7:8], v[1:2]
	v_dual_mov_b32 v12, v4 :: v_dual_mov_b32 v11, v3
.LBB1_40:
	s_wait_alu 0xfffe
	s_or_b32 exec_lo, exec_lo, s2
	s_delay_alu instid0(VALU_DEP_1) | instskip(NEXT) | instid1(VALU_DEP_3)
	v_dual_mov_b32 v14, v12 :: v_dual_mov_b32 v13, v11
	v_dual_mov_b32 v1, v7 :: v_dual_mov_b32 v2, v8
	;; [unrolled: 1-line block ×3, first 2 shown]
.LBB1_41:
	s_wait_alu 0xfffe
	s_or_b32 exec_lo, exec_lo, s1
	s_wait_dscnt 0x5
	ds_bpermute_b32 v11, v22, v5
	s_wait_dscnt 0x5
	ds_bpermute_b32 v12, v22, v6
	;; [unrolled: 2-line block ×6, first 2 shown]
	s_mov_b32 s1, exec_lo
	v_cmpx_neq_f64_e32 0, v[13:14]
	s_cbranch_execz .LBB1_45
; %bb.42:
	s_mov_b32 s2, exec_lo
	s_wait_dscnt 0x0
	v_cmpx_neq_f64_e32 0, v[15:16]
	s_cbranch_execz .LBB1_44
; %bb.43:
	v_add_f64_e32 v[7:8], v[13:14], v[15:16]
	v_add_f64_e64 v[11:12], v[11:12], -v[5:6]
	v_add_f64_e32 v[1:2], v[1:2], v[3:4]
	s_delay_alu instid0(VALU_DEP_3) | instskip(SKIP_1) | instid1(VALU_DEP_2)
	v_div_scale_f64 v[9:10], null, v[7:8], v[7:8], v[15:16]
	v_div_scale_f64 v[23:24], vcc_lo, v[15:16], v[7:8], v[15:16]
	v_rcp_f64_e32 v[19:20], v[9:10]
	s_delay_alu instid0(TRANS32_DEP_1) | instskip(NEXT) | instid1(VALU_DEP_1)
	v_fma_f64 v[21:22], -v[9:10], v[19:20], 1.0
	v_fma_f64 v[19:20], v[19:20], v[21:22], v[19:20]
	s_delay_alu instid0(VALU_DEP_1) | instskip(NEXT) | instid1(VALU_DEP_1)
	v_fma_f64 v[21:22], -v[9:10], v[19:20], 1.0
	v_fma_f64 v[19:20], v[19:20], v[21:22], v[19:20]
	s_delay_alu instid0(VALU_DEP_1) | instskip(NEXT) | instid1(VALU_DEP_1)
	v_mul_f64_e32 v[21:22], v[23:24], v[19:20]
	v_fma_f64 v[9:10], -v[9:10], v[21:22], v[23:24]
	s_wait_alu 0xfffd
	s_delay_alu instid0(VALU_DEP_1) | instskip(SKIP_1) | instid1(VALU_DEP_2)
	v_div_fmas_f64 v[9:10], v[9:10], v[19:20], v[21:22]
	v_mul_f64_e32 v[19:20], v[11:12], v[11:12]
	v_div_fixup_f64 v[3:4], v[9:10], v[7:8], v[15:16]
	s_delay_alu instid0(VALU_DEP_2) | instskip(SKIP_1) | instid1(VALU_DEP_3)
	v_mul_f64_e32 v[9:10], v[13:14], v[19:20]
	v_dual_mov_b32 v14, v8 :: v_dual_mov_b32 v13, v7
	v_fma_f64 v[5:6], v[11:12], v[3:4], v[5:6]
	s_delay_alu instid0(VALU_DEP_3)
	v_fma_f64 v[1:2], v[9:10], v[3:4], v[1:2]
.LBB1_44:
	s_wait_alu 0xfffe
	s_or_b32 exec_lo, exec_lo, s2
	v_dual_mov_b32 v16, v14 :: v_dual_mov_b32 v15, v13
	s_delay_alu instid0(VALU_DEP_2) | instskip(NEXT) | instid1(VALU_DEP_4)
	v_dual_mov_b32 v4, v2 :: v_dual_mov_b32 v3, v1
	v_dual_mov_b32 v12, v6 :: v_dual_mov_b32 v11, v5
.LBB1_45:
	s_wait_alu 0xfffe
	s_or_b32 exec_lo, exec_lo, s1
	s_wait_dscnt 0x5
	ds_bpermute_b32 v13, v18, v11
	s_wait_dscnt 0x5
	ds_bpermute_b32 v14, v18, v12
	;; [unrolled: 2-line block ×6, first 2 shown]
	s_mov_b32 s1, exec_lo
	v_cmpx_neq_f64_e32 0, v[15:16]
	s_cbranch_execz .LBB1_49
; %bb.46:
	s_mov_b32 s2, exec_lo
	s_wait_dscnt 0x0
	v_cmpx_neq_f64_e32 0, v[7:8]
	s_cbranch_execz .LBB1_48
; %bb.47:
	v_add_f64_e32 v[1:2], v[15:16], v[7:8]
	v_add_f64_e64 v[13:14], v[13:14], -v[11:12]
	v_add_f64_e32 v[3:4], v[3:4], v[9:10]
	s_delay_alu instid0(VALU_DEP_3) | instskip(SKIP_1) | instid1(VALU_DEP_2)
	v_div_scale_f64 v[5:6], null, v[1:2], v[1:2], v[7:8]
	v_div_scale_f64 v[22:23], vcc_lo, v[7:8], v[1:2], v[7:8]
	v_rcp_f64_e32 v[18:19], v[5:6]
	s_delay_alu instid0(TRANS32_DEP_1) | instskip(NEXT) | instid1(VALU_DEP_1)
	v_fma_f64 v[20:21], -v[5:6], v[18:19], 1.0
	v_fma_f64 v[18:19], v[18:19], v[20:21], v[18:19]
	s_delay_alu instid0(VALU_DEP_1) | instskip(NEXT) | instid1(VALU_DEP_1)
	v_fma_f64 v[20:21], -v[5:6], v[18:19], 1.0
	v_fma_f64 v[18:19], v[18:19], v[20:21], v[18:19]
	s_delay_alu instid0(VALU_DEP_1) | instskip(NEXT) | instid1(VALU_DEP_1)
	v_mul_f64_e32 v[20:21], v[22:23], v[18:19]
	v_fma_f64 v[5:6], -v[5:6], v[20:21], v[22:23]
	s_wait_alu 0xfffd
	s_delay_alu instid0(VALU_DEP_1) | instskip(SKIP_1) | instid1(VALU_DEP_2)
	v_div_fmas_f64 v[5:6], v[5:6], v[18:19], v[20:21]
	v_mul_f64_e32 v[18:19], v[13:14], v[13:14]
	v_div_fixup_f64 v[5:6], v[5:6], v[1:2], v[7:8]
	s_delay_alu instid0(VALU_DEP_2) | instskip(SKIP_1) | instid1(VALU_DEP_3)
	v_mul_f64_e32 v[7:8], v[15:16], v[18:19]
	v_dual_mov_b32 v16, v2 :: v_dual_mov_b32 v15, v1
	v_fma_f64 v[11:12], v[13:14], v[5:6], v[11:12]
	s_delay_alu instid0(VALU_DEP_3)
	v_fma_f64 v[3:4], v[7:8], v[5:6], v[3:4]
.LBB1_48:
	s_wait_alu 0xfffe
	s_or_b32 exec_lo, exec_lo, s2
	v_dual_mov_b32 v7, v15 :: v_dual_mov_b32 v8, v16
	s_delay_alu instid0(VALU_DEP_2) | instskip(NEXT) | instid1(VALU_DEP_4)
	v_dual_mov_b32 v10, v4 :: v_dual_mov_b32 v9, v3
	v_dual_mov_b32 v14, v12 :: v_dual_mov_b32 v13, v11
.LBB1_49:
	s_wait_alu 0xfffe
	s_or_b32 exec_lo, exec_lo, s1
	s_wait_dscnt 0x5
	ds_bpermute_b32 v1, v17, v13
	s_wait_dscnt 0x5
	ds_bpermute_b32 v2, v17, v14
	;; [unrolled: 2-line block ×6, first 2 shown]
	s_mov_b32 s1, exec_lo
	v_cmpx_neq_f64_e32 0, v[7:8]
	s_cbranch_execz .LBB1_53
; %bb.50:
	s_mov_b32 s2, exec_lo
	s_wait_dscnt 0x0
	v_cmpx_neq_f64_e32 0, v[5:6]
	s_cbranch_execz .LBB1_52
; %bb.51:
	v_add_f64_e32 v[11:12], v[7:8], v[5:6]
	v_add_f64_e64 v[1:2], v[1:2], -v[13:14]
	v_add_f64_e32 v[3:4], v[9:10], v[3:4]
	s_delay_alu instid0(VALU_DEP_3) | instskip(SKIP_1) | instid1(VALU_DEP_2)
	v_div_scale_f64 v[15:16], null, v[11:12], v[11:12], v[5:6]
	v_div_scale_f64 v[21:22], vcc_lo, v[5:6], v[11:12], v[5:6]
	v_rcp_f64_e32 v[17:18], v[15:16]
	s_delay_alu instid0(TRANS32_DEP_1) | instskip(NEXT) | instid1(VALU_DEP_1)
	v_fma_f64 v[19:20], -v[15:16], v[17:18], 1.0
	v_fma_f64 v[17:18], v[17:18], v[19:20], v[17:18]
	s_delay_alu instid0(VALU_DEP_1) | instskip(NEXT) | instid1(VALU_DEP_1)
	v_fma_f64 v[19:20], -v[15:16], v[17:18], 1.0
	v_fma_f64 v[17:18], v[17:18], v[19:20], v[17:18]
	s_delay_alu instid0(VALU_DEP_1) | instskip(NEXT) | instid1(VALU_DEP_1)
	v_mul_f64_e32 v[19:20], v[21:22], v[17:18]
	v_fma_f64 v[15:16], -v[15:16], v[19:20], v[21:22]
	s_wait_alu 0xfffd
	s_delay_alu instid0(VALU_DEP_1) | instskip(SKIP_1) | instid1(VALU_DEP_2)
	v_div_fmas_f64 v[15:16], v[15:16], v[17:18], v[19:20]
	v_mul_f64_e32 v[17:18], v[1:2], v[1:2]
	v_div_fixup_f64 v[5:6], v[15:16], v[11:12], v[5:6]
	s_delay_alu instid0(VALU_DEP_2) | instskip(NEXT) | instid1(VALU_DEP_2)
	v_mul_f64_e32 v[7:8], v[7:8], v[17:18]
	v_fma_f64 v[13:14], v[1:2], v[5:6], v[13:14]
	s_delay_alu instid0(VALU_DEP_2)
	v_fma_f64 v[9:10], v[7:8], v[5:6], v[3:4]
	v_dual_mov_b32 v7, v11 :: v_dual_mov_b32 v8, v12
.LBB1_52:
	s_wait_alu 0xfffe
	s_or_b32 exec_lo, exec_lo, s2
	s_delay_alu instid0(VALU_DEP_1) | instskip(NEXT) | instid1(VALU_DEP_3)
	v_dual_mov_b32 v5, v7 :: v_dual_mov_b32 v6, v8
	v_dual_mov_b32 v3, v9 :: v_dual_mov_b32 v4, v10
	;; [unrolled: 1-line block ×3, first 2 shown]
.LBB1_53:
	s_wait_alu 0xfffe
	s_or_b32 exec_lo, exec_lo, s1
.LBB1_54:
	s_wait_alu 0xfffe
	s_or_b32 exec_lo, exec_lo, s0
	s_delay_alu instid0(SALU_CYCLE_1)
	s_mov_b32 s0, exec_lo
	v_cmpx_eq_u32_e32 0, v0
	s_cbranch_execz .LBB1_56
; %bb.55:
	s_wait_dscnt 0x0
	v_max_num_f64_e32 v[5:6], v[5:6], v[5:6]
	s_lshl_b64 s[0:1], s[14:15], 3
	s_wait_alu 0xfffe
	s_add_nc_u64 s[2:3], s[10:11], s[0:1]
	s_add_nc_u64 s[0:1], s[12:13], s[0:1]
	s_delay_alu instid0(VALU_DEP_1) | instskip(NEXT) | instid1(VALU_DEP_1)
	v_max_num_f64_e32 v[5:6], 0, v[5:6]
	v_div_scale_f64 v[7:8], null, v[5:6], v[5:6], v[3:4]
	v_div_scale_f64 v[13:14], vcc_lo, v[3:4], v[5:6], v[3:4]
	s_delay_alu instid0(VALU_DEP_2) | instskip(NEXT) | instid1(TRANS32_DEP_1)
	v_rcp_f64_e32 v[9:10], v[7:8]
	v_fma_f64 v[11:12], -v[7:8], v[9:10], 1.0
	s_delay_alu instid0(VALU_DEP_1) | instskip(NEXT) | instid1(VALU_DEP_1)
	v_fma_f64 v[9:10], v[9:10], v[11:12], v[9:10]
	v_fma_f64 v[11:12], -v[7:8], v[9:10], 1.0
	s_delay_alu instid0(VALU_DEP_1) | instskip(NEXT) | instid1(VALU_DEP_1)
	v_fma_f64 v[9:10], v[9:10], v[11:12], v[9:10]
	v_mul_f64_e32 v[11:12], v[13:14], v[9:10]
	s_delay_alu instid0(VALU_DEP_1) | instskip(SKIP_1) | instid1(VALU_DEP_1)
	v_fma_f64 v[7:8], -v[7:8], v[11:12], v[13:14]
	s_wait_alu 0xfffd
	v_div_fmas_f64 v[7:8], v[7:8], v[9:10], v[11:12]
	s_delay_alu instid0(VALU_DEP_1) | instskip(NEXT) | instid1(VALU_DEP_1)
	v_div_fixup_f64 v[3:4], v[7:8], v[5:6], v[3:4]
	v_add_f64_e32 v[3:4], s[6:7], v[3:4]
	s_delay_alu instid0(VALU_DEP_1) | instskip(NEXT) | instid1(TRANS32_DEP_1)
	v_rsq_f64_e32 v[5:6], v[3:4]
	v_mul_f64_e64 v[3:4], v[5:6], -v[3:4]
	v_cmp_class_f64_e64 vcc_lo, v[5:6], 0x180
	s_delay_alu instid0(VALU_DEP_2) | instskip(NEXT) | instid1(VALU_DEP_1)
	v_fma_f64 v[3:4], v[3:4], v[5:6], 1.0
	v_mul_f64_e32 v[7:8], v[5:6], v[3:4]
	v_fma_f64 v[3:4], 0x3fd80000, v[3:4], 0.5
	s_delay_alu instid0(VALU_DEP_1) | instskip(SKIP_1) | instid1(VALU_DEP_1)
	v_fma_f64 v[3:4], v[7:8], v[3:4], v[5:6]
	s_wait_alu 0xfffd
	v_dual_mov_b32 v0, 0 :: v_dual_cndmask_b32 v3, v5, v3
	s_delay_alu instid0(VALU_DEP_2)
	v_cndmask_b32_e32 v4, v6, v4, vcc_lo
	s_clause 0x1
	global_store_b64 v0, v[1:2], s[2:3]
	global_store_b64 v0, v[3:4], s[0:1]
.LBB1_56:
	s_endpgm
	.section	.rodata,"a",@progbits
	.p2align	6, 0x0
	.amdhsa_kernel _ZN2at6native12_GLOBAL__N_124RowwiseMomentsCUDAKernelIddLb0EEEvlT0_PKT_PS3_S7_
		.amdhsa_group_segment_fixed_size 1024
		.amdhsa_private_segment_fixed_size 0
		.amdhsa_kernarg_size 296
		.amdhsa_user_sgpr_count 2
		.amdhsa_user_sgpr_dispatch_ptr 0
		.amdhsa_user_sgpr_queue_ptr 0
		.amdhsa_user_sgpr_kernarg_segment_ptr 1
		.amdhsa_user_sgpr_dispatch_id 0
		.amdhsa_user_sgpr_private_segment_size 0
		.amdhsa_wavefront_size32 1
		.amdhsa_uses_dynamic_stack 0
		.amdhsa_enable_private_segment 0
		.amdhsa_system_sgpr_workgroup_id_x 1
		.amdhsa_system_sgpr_workgroup_id_y 0
		.amdhsa_system_sgpr_workgroup_id_z 0
		.amdhsa_system_sgpr_workgroup_info 0
		.amdhsa_system_vgpr_workitem_id 0
		.amdhsa_next_free_vgpr 30
		.amdhsa_next_free_sgpr 19
		.amdhsa_reserve_vcc 1
		.amdhsa_float_round_mode_32 0
		.amdhsa_float_round_mode_16_64 0
		.amdhsa_float_denorm_mode_32 3
		.amdhsa_float_denorm_mode_16_64 3
		.amdhsa_fp16_overflow 0
		.amdhsa_workgroup_processor_mode 1
		.amdhsa_memory_ordered 1
		.amdhsa_forward_progress 1
		.amdhsa_inst_pref_size 34
		.amdhsa_round_robin_scheduling 0
		.amdhsa_exception_fp_ieee_invalid_op 0
		.amdhsa_exception_fp_denorm_src 0
		.amdhsa_exception_fp_ieee_div_zero 0
		.amdhsa_exception_fp_ieee_overflow 0
		.amdhsa_exception_fp_ieee_underflow 0
		.amdhsa_exception_fp_ieee_inexact 0
		.amdhsa_exception_int_div_zero 0
	.end_amdhsa_kernel
	.section	.text._ZN2at6native12_GLOBAL__N_124RowwiseMomentsCUDAKernelIddLb0EEEvlT0_PKT_PS3_S7_,"axG",@progbits,_ZN2at6native12_GLOBAL__N_124RowwiseMomentsCUDAKernelIddLb0EEEvlT0_PKT_PS3_S7_,comdat
.Lfunc_end1:
	.size	_ZN2at6native12_GLOBAL__N_124RowwiseMomentsCUDAKernelIddLb0EEEvlT0_PKT_PS3_S7_, .Lfunc_end1-_ZN2at6native12_GLOBAL__N_124RowwiseMomentsCUDAKernelIddLb0EEEvlT0_PKT_PS3_S7_
                                        ; -- End function
	.set _ZN2at6native12_GLOBAL__N_124RowwiseMomentsCUDAKernelIddLb0EEEvlT0_PKT_PS3_S7_.num_vgpr, 30
	.set _ZN2at6native12_GLOBAL__N_124RowwiseMomentsCUDAKernelIddLb0EEEvlT0_PKT_PS3_S7_.num_agpr, 0
	.set _ZN2at6native12_GLOBAL__N_124RowwiseMomentsCUDAKernelIddLb0EEEvlT0_PKT_PS3_S7_.numbered_sgpr, 19
	.set _ZN2at6native12_GLOBAL__N_124RowwiseMomentsCUDAKernelIddLb0EEEvlT0_PKT_PS3_S7_.num_named_barrier, 0
	.set _ZN2at6native12_GLOBAL__N_124RowwiseMomentsCUDAKernelIddLb0EEEvlT0_PKT_PS3_S7_.private_seg_size, 0
	.set _ZN2at6native12_GLOBAL__N_124RowwiseMomentsCUDAKernelIddLb0EEEvlT0_PKT_PS3_S7_.uses_vcc, 1
	.set _ZN2at6native12_GLOBAL__N_124RowwiseMomentsCUDAKernelIddLb0EEEvlT0_PKT_PS3_S7_.uses_flat_scratch, 0
	.set _ZN2at6native12_GLOBAL__N_124RowwiseMomentsCUDAKernelIddLb0EEEvlT0_PKT_PS3_S7_.has_dyn_sized_stack, 0
	.set _ZN2at6native12_GLOBAL__N_124RowwiseMomentsCUDAKernelIddLb0EEEvlT0_PKT_PS3_S7_.has_recursion, 0
	.set _ZN2at6native12_GLOBAL__N_124RowwiseMomentsCUDAKernelIddLb0EEEvlT0_PKT_PS3_S7_.has_indirect_call, 0
	.section	.AMDGPU.csdata,"",@progbits
; Kernel info:
; codeLenInByte = 4280
; TotalNumSgprs: 21
; NumVgprs: 30
; ScratchSize: 0
; MemoryBound: 0
; FloatMode: 240
; IeeeMode: 1
; LDSByteSize: 1024 bytes/workgroup (compile time only)
; SGPRBlocks: 0
; VGPRBlocks: 3
; NumSGPRsForWavesPerEU: 21
; NumVGPRsForWavesPerEU: 30
; Occupancy: 16
; WaveLimiterHint : 0
; COMPUTE_PGM_RSRC2:SCRATCH_EN: 0
; COMPUTE_PGM_RSRC2:USER_SGPR: 2
; COMPUTE_PGM_RSRC2:TRAP_HANDLER: 0
; COMPUTE_PGM_RSRC2:TGID_X_EN: 1
; COMPUTE_PGM_RSRC2:TGID_Y_EN: 0
; COMPUTE_PGM_RSRC2:TGID_Z_EN: 0
; COMPUTE_PGM_RSRC2:TIDIG_COMP_CNT: 0
	.section	.text._ZN2at6native12_GLOBAL__N_126LayerNormForwardCUDAKernelIddLb0EEEvlPKT_PKT0_S8_S5_S5_PS3_,"axG",@progbits,_ZN2at6native12_GLOBAL__N_126LayerNormForwardCUDAKernelIddLb0EEEvlPKT_PKT0_S8_S5_S5_PS3_,comdat
	.globl	_ZN2at6native12_GLOBAL__N_126LayerNormForwardCUDAKernelIddLb0EEEvlPKT_PKT0_S8_S5_S5_PS3_ ; -- Begin function _ZN2at6native12_GLOBAL__N_126LayerNormForwardCUDAKernelIddLb0EEEvlPKT_PKT0_S8_S5_S5_PS3_
	.p2align	8
	.type	_ZN2at6native12_GLOBAL__N_126LayerNormForwardCUDAKernelIddLb0EEEvlPKT_PKT0_S8_S5_S5_PS3_,@function
_ZN2at6native12_GLOBAL__N_126LayerNormForwardCUDAKernelIddLb0EEEvlPKT_PKT0_S8_S5_S5_PS3_: ; @_ZN2at6native12_GLOBAL__N_126LayerNormForwardCUDAKernelIddLb0EEEvlPKT_PKT0_S8_S5_S5_PS3_
; %bb.0:
	s_load_b256 s[4:11], s[0:1], 0x0
	v_mov_b32_e32 v1, 0
	s_mov_b32 s2, exec_lo
	s_wait_kmcnt 0x0
	s_delay_alu instid0(VALU_DEP_1)
	v_cmpx_gt_i64_e64 s[4:5], v[0:1]
	s_cbranch_execz .LBB2_8
; %bb.1:
	s_clause 0x1
	s_load_b256 s[12:19], s[0:1], 0x20
	s_load_b32 s0, s[0:1], 0x44
	s_mov_b32 s2, ttmp9
	s_mov_b32 s3, 0
	v_dual_mov_b32 v9, v1 :: v_dual_lshlrev_b32 v8, 3, v0
	s_mul_u64 s[20:21], s[4:5], s[2:3]
	v_dual_mov_b32 v3, v1 :: v_dual_mov_b32 v2, v0
	s_wait_kmcnt 0x0
	s_cmp_lg_u64 s[12:13], 0
	s_cselect_b32 s1, -1, 0
	s_cmp_lg_u64 s[14:15], 0
	s_cselect_b32 s18, -1, 0
	s_lshl_b64 s[22:23], s[2:3], 3
	s_and_b32 s2, s0, 0xffff
	s_lshl_b64 s[20:21], s[20:21], 3
	s_add_nc_u64 s[8:9], s[8:9], s[22:23]
	s_add_nc_u64 s[10:11], s[10:11], s[22:23]
	s_add_nc_u64 s[6:7], s[6:7], s[20:21]
	s_lshl_b32 s19, s2, 3
	s_add_nc_u64 s[16:17], s[16:17], s[20:21]
	s_branch .LBB2_4
.LBB2_2:                                ;   in Loop: Header=BB2_4 Depth=1
	v_add_co_u32 v6, vcc_lo, s14, v8
	s_wait_alu 0xfffd
	v_add_co_ci_u32_e64 v7, null, s15, v9, vcc_lo
	global_load_b64 v[6:7], v[6:7], off
.LBB2_3:                                ;   in Loop: Header=BB2_4 Depth=1
	v_add_co_u32 v10, vcc_lo, s6, v8
	s_wait_alu 0xfffd
	v_add_co_ci_u32_e64 v11, null, s7, v9, vcc_lo
	v_add_co_u32 v2, vcc_lo, v2, s2
	s_wait_alu 0xfffd
	v_add_co_ci_u32_e64 v3, null, 0, v3, vcc_lo
	global_load_b64 v[10:11], v[10:11], off
	s_clause 0x1
	global_load_b64 v[12:13], v1, s[8:9]
	global_load_b64 v[14:15], v1, s[10:11]
	s_wait_loadcnt 0x1
	v_add_f64_e64 v[10:11], v[10:11], -v[12:13]
	s_wait_loadcnt 0x0
	s_delay_alu instid0(VALU_DEP_1) | instskip(NEXT) | instid1(VALU_DEP_1)
	v_mul_f64_e32 v[10:11], v[10:11], v[14:15]
	v_fma_f64 v[4:5], v[4:5], v[10:11], v[6:7]
	v_add_co_u32 v6, vcc_lo, s16, v8
	s_wait_alu 0xfffd
	v_add_co_ci_u32_e64 v7, null, s17, v9, vcc_lo
	v_cmp_le_i64_e32 vcc_lo, s[4:5], v[2:3]
	v_add_co_u32 v8, s0, v8, s19
	s_wait_alu 0xf1ff
	v_add_co_ci_u32_e64 v9, null, 0, v9, s0
	s_or_b32 s3, vcc_lo, s3
	global_store_b64 v[6:7], v[4:5], off
	s_wait_alu 0xfffe
	s_and_not1_b32 exec_lo, exec_lo, s3
	s_cbranch_execz .LBB2_8
.LBB2_4:                                ; =>This Inner Loop Header: Depth=1
	s_and_not1_b32 vcc_lo, exec_lo, s1
	s_wait_alu 0xfffe
	s_cbranch_vccnz .LBB2_6
; %bb.5:                                ;   in Loop: Header=BB2_4 Depth=1
	v_add_co_u32 v4, vcc_lo, s12, v8
	s_wait_alu 0xfffd
	v_add_co_ci_u32_e64 v5, null, s13, v9, vcc_lo
	global_load_b64 v[4:5], v[4:5], off
	s_and_not1_b32 vcc_lo, exec_lo, s18
	s_wait_alu 0xfffe
	s_cbranch_vccz .LBB2_2
	s_branch .LBB2_7
.LBB2_6:                                ;   in Loop: Header=BB2_4 Depth=1
	v_mov_b32_e32 v4, 0
	v_mov_b32_e32 v5, 0x3ff00000
	s_and_not1_b32 vcc_lo, exec_lo, s18
	s_wait_alu 0xfffe
	s_cbranch_vccz .LBB2_2
.LBB2_7:                                ;   in Loop: Header=BB2_4 Depth=1
	v_mov_b32_e32 v6, 0
	v_mov_b32_e32 v7, 0
	s_branch .LBB2_3
.LBB2_8:
	s_endpgm
	.section	.rodata,"a",@progbits
	.p2align	6, 0x0
	.amdhsa_kernel _ZN2at6native12_GLOBAL__N_126LayerNormForwardCUDAKernelIddLb0EEEvlPKT_PKT0_S8_S5_S5_PS3_
		.amdhsa_group_segment_fixed_size 0
		.amdhsa_private_segment_fixed_size 0
		.amdhsa_kernarg_size 312
		.amdhsa_user_sgpr_count 2
		.amdhsa_user_sgpr_dispatch_ptr 0
		.amdhsa_user_sgpr_queue_ptr 0
		.amdhsa_user_sgpr_kernarg_segment_ptr 1
		.amdhsa_user_sgpr_dispatch_id 0
		.amdhsa_user_sgpr_private_segment_size 0
		.amdhsa_wavefront_size32 1
		.amdhsa_uses_dynamic_stack 0
		.amdhsa_enable_private_segment 0
		.amdhsa_system_sgpr_workgroup_id_x 1
		.amdhsa_system_sgpr_workgroup_id_y 0
		.amdhsa_system_sgpr_workgroup_id_z 0
		.amdhsa_system_sgpr_workgroup_info 0
		.amdhsa_system_vgpr_workitem_id 0
		.amdhsa_next_free_vgpr 16
		.amdhsa_next_free_sgpr 24
		.amdhsa_reserve_vcc 1
		.amdhsa_float_round_mode_32 0
		.amdhsa_float_round_mode_16_64 0
		.amdhsa_float_denorm_mode_32 3
		.amdhsa_float_denorm_mode_16_64 3
		.amdhsa_fp16_overflow 0
		.amdhsa_workgroup_processor_mode 1
		.amdhsa_memory_ordered 1
		.amdhsa_forward_progress 1
		.amdhsa_inst_pref_size 4
		.amdhsa_round_robin_scheduling 0
		.amdhsa_exception_fp_ieee_invalid_op 0
		.amdhsa_exception_fp_denorm_src 0
		.amdhsa_exception_fp_ieee_div_zero 0
		.amdhsa_exception_fp_ieee_overflow 0
		.amdhsa_exception_fp_ieee_underflow 0
		.amdhsa_exception_fp_ieee_inexact 0
		.amdhsa_exception_int_div_zero 0
	.end_amdhsa_kernel
	.section	.text._ZN2at6native12_GLOBAL__N_126LayerNormForwardCUDAKernelIddLb0EEEvlPKT_PKT0_S8_S5_S5_PS3_,"axG",@progbits,_ZN2at6native12_GLOBAL__N_126LayerNormForwardCUDAKernelIddLb0EEEvlPKT_PKT0_S8_S5_S5_PS3_,comdat
.Lfunc_end2:
	.size	_ZN2at6native12_GLOBAL__N_126LayerNormForwardCUDAKernelIddLb0EEEvlPKT_PKT0_S8_S5_S5_PS3_, .Lfunc_end2-_ZN2at6native12_GLOBAL__N_126LayerNormForwardCUDAKernelIddLb0EEEvlPKT_PKT0_S8_S5_S5_PS3_
                                        ; -- End function
	.set _ZN2at6native12_GLOBAL__N_126LayerNormForwardCUDAKernelIddLb0EEEvlPKT_PKT0_S8_S5_S5_PS3_.num_vgpr, 16
	.set _ZN2at6native12_GLOBAL__N_126LayerNormForwardCUDAKernelIddLb0EEEvlPKT_PKT0_S8_S5_S5_PS3_.num_agpr, 0
	.set _ZN2at6native12_GLOBAL__N_126LayerNormForwardCUDAKernelIddLb0EEEvlPKT_PKT0_S8_S5_S5_PS3_.numbered_sgpr, 24
	.set _ZN2at6native12_GLOBAL__N_126LayerNormForwardCUDAKernelIddLb0EEEvlPKT_PKT0_S8_S5_S5_PS3_.num_named_barrier, 0
	.set _ZN2at6native12_GLOBAL__N_126LayerNormForwardCUDAKernelIddLb0EEEvlPKT_PKT0_S8_S5_S5_PS3_.private_seg_size, 0
	.set _ZN2at6native12_GLOBAL__N_126LayerNormForwardCUDAKernelIddLb0EEEvlPKT_PKT0_S8_S5_S5_PS3_.uses_vcc, 1
	.set _ZN2at6native12_GLOBAL__N_126LayerNormForwardCUDAKernelIddLb0EEEvlPKT_PKT0_S8_S5_S5_PS3_.uses_flat_scratch, 0
	.set _ZN2at6native12_GLOBAL__N_126LayerNormForwardCUDAKernelIddLb0EEEvlPKT_PKT0_S8_S5_S5_PS3_.has_dyn_sized_stack, 0
	.set _ZN2at6native12_GLOBAL__N_126LayerNormForwardCUDAKernelIddLb0EEEvlPKT_PKT0_S8_S5_S5_PS3_.has_recursion, 0
	.set _ZN2at6native12_GLOBAL__N_126LayerNormForwardCUDAKernelIddLb0EEEvlPKT_PKT0_S8_S5_S5_PS3_.has_indirect_call, 0
	.section	.AMDGPU.csdata,"",@progbits
; Kernel info:
; codeLenInByte = 460
; TotalNumSgprs: 26
; NumVgprs: 16
; ScratchSize: 0
; MemoryBound: 0
; FloatMode: 240
; IeeeMode: 1
; LDSByteSize: 0 bytes/workgroup (compile time only)
; SGPRBlocks: 0
; VGPRBlocks: 1
; NumSGPRsForWavesPerEU: 26
; NumVGPRsForWavesPerEU: 16
; Occupancy: 16
; WaveLimiterHint : 0
; COMPUTE_PGM_RSRC2:SCRATCH_EN: 0
; COMPUTE_PGM_RSRC2:USER_SGPR: 2
; COMPUTE_PGM_RSRC2:TRAP_HANDLER: 0
; COMPUTE_PGM_RSRC2:TGID_X_EN: 1
; COMPUTE_PGM_RSRC2:TGID_Y_EN: 0
; COMPUTE_PGM_RSRC2:TGID_Z_EN: 0
; COMPUTE_PGM_RSRC2:TIDIG_COMP_CNT: 0
	.section	.text._ZN2at6native12_GLOBAL__N_128vectorized_layer_norm_kernelIffLb0EEEviT0_PKT_S6_S6_PS3_S7_PS4_,"axG",@progbits,_ZN2at6native12_GLOBAL__N_128vectorized_layer_norm_kernelIffLb0EEEviT0_PKT_S6_S6_PS3_S7_PS4_,comdat
	.globl	_ZN2at6native12_GLOBAL__N_128vectorized_layer_norm_kernelIffLb0EEEviT0_PKT_S6_S6_PS3_S7_PS4_ ; -- Begin function _ZN2at6native12_GLOBAL__N_128vectorized_layer_norm_kernelIffLb0EEEviT0_PKT_S6_S6_PS3_S7_PS4_
	.p2align	8
	.type	_ZN2at6native12_GLOBAL__N_128vectorized_layer_norm_kernelIffLb0EEEviT0_PKT_S6_S6_PS3_S7_PS4_,@function
_ZN2at6native12_GLOBAL__N_128vectorized_layer_norm_kernelIffLb0EEEviT0_PKT_S6_S6_PS3_S7_PS4_: ; @_ZN2at6native12_GLOBAL__N_128vectorized_layer_norm_kernelIffLb0EEEviT0_PKT_S6_S6_PS3_S7_PS4_
; %bb.0:
	s_clause 0x1
	s_load_b32 s3, s[0:1], 0x44
	s_load_b128 s[12:15], s[0:1], 0x0
	v_bfe_u32 v2, v0, 10, 10
	v_and_b32_e32 v3, 0x3ff, v0
	v_dual_mov_b32 v7, 0 :: v_dual_mov_b32 v4, 0
	v_mov_b32_e32 v5, 0
	s_mov_b32 s16, ttmp9
	s_mov_b32 s17, 0
	s_wait_kmcnt 0x0
	s_and_b32 s6, s3, 0xffff
	s_ashr_i32 s5, s12, 31
	v_mul_u32_u24_e32 v0, s6, v2
	s_lshr_b32 s2, s5, 30
	v_mad_u32_u24 v10, v2, s6, v3
	s_add_co_i32 s2, s12, s2
	s_mov_b32 s4, s12
	s_ashr_i32 s22, s2, 2
	v_add_lshl_u32 v11, v0, v3, 4
	v_cmp_gt_i32_e64 s2, s22, v10
	s_lshr_b32 s8, s3, 16
	s_mul_u64 s[20:21], s[4:5], s[16:17]
	s_mul_i32 s18, s8, s6
	s_and_saveexec_b32 s9, s2
	s_cbranch_execz .LBB3_4
; %bb.1:
	s_lshl_b64 s[4:5], s[20:21], 2
	v_dual_mov_b32 v4, 0 :: v_dual_mov_b32 v5, 0
	s_add_nc_u64 s[4:5], s[14:15], s[4:5]
	v_mov_b32_e32 v6, v10
	v_add_co_u32 v0, s3, s4, v11
	s_delay_alu instid0(VALU_DEP_1) | instskip(SKIP_2) | instid1(VALU_DEP_1)
	v_add_co_ci_u32_e64 v1, null, s5, 0, s3
	s_ashr_i32 s19, s18, 31
	v_add_co_u32 v0, vcc_lo, v0, 8
	v_add_co_ci_u32_e64 v1, null, 0, v1, vcc_lo
	s_lshl_b64 s[6:7], s[18:19], 4
	s_mov_b32 s10, 0
	s_mov_b32 s11, s17
.LBB3_2:                                ; =>This Inner Loop Header: Depth=1
	global_load_b128 v[12:15], v[0:1], off offset:-8
	s_add_f32 s19, s11, 1.0
	v_add_nc_u32_e32 v6, s18, v6
	s_wait_alu 0xfffe
	s_delay_alu instid0(SALU_CYCLE_1)
	s_add_f32 s23, s19, 1.0
	v_div_scale_f32 v7, null, s19, s19, 1.0
	v_div_scale_f32 v8, vcc_lo, 1.0, s19, 1.0
	s_wait_alu 0xfffe
	s_add_f32 s24, s23, 1.0
	v_div_scale_f32 v9, null, s23, s23, 1.0
	v_xor_b32_e32 v17, 0x80000000, v7
	s_wait_alu 0xfffe
	s_add_f32 s11, s24, 1.0
	v_rcp_f32_e32 v7, v7
	v_div_scale_f32 v18, null, s24, s24, 1.0
	s_wait_alu 0xfffe
	v_div_scale_f32 v21, null, s11, s11, 1.0
	v_xor_b32_e32 v20, 0x80000000, v9
	v_rcp_f32_e32 v9, v9
	v_rcp_f32_e32 v23, v18
	s_delay_alu instid0(VALU_DEP_2)
	v_rcp_f32_e32 v25, v21
	v_xor_b32_e32 v21, 0x80000000, v21
	v_xor_b32_e32 v18, 0x80000000, v18
	v_fma_f32 v24, v17, v7, 1.0
	v_div_scale_f32 v16, s3, 1.0, s23, 1.0
	v_div_scale_f32 v22, s5, 1.0, s11, 1.0
	s_delay_alu instid0(TRANS32_DEP_3) | instskip(SKIP_1) | instid1(TRANS32_DEP_1)
	v_fma_f32 v26, v20, v9, 1.0
	v_div_scale_f32 v19, s4, 1.0, s24, 1.0
	v_fma_f32 v27, v21, v25, 1.0
	s_delay_alu instid0(VALU_DEP_1) | instskip(SKIP_2) | instid1(VALU_DEP_2)
	v_fmac_f32_e32 v25, v27, v25
	v_fmac_f32_e32 v7, v24, v7
	v_fma_f32 v24, v18, v23, 1.0
	v_dual_fmac_f32 v9, v26, v9 :: v_dual_mul_f32 v26, v8, v7
	s_delay_alu instid0(VALU_DEP_2) | instskip(NEXT) | instid1(VALU_DEP_2)
	v_fmac_f32_e32 v23, v24, v23
	v_mul_f32_e32 v24, v16, v9
	s_delay_alu instid0(VALU_DEP_3) | instskip(NEXT) | instid1(VALU_DEP_2)
	v_fma_f32 v28, v17, v26, v8
	v_fma_f32 v29, v20, v24, v16
	s_delay_alu instid0(VALU_DEP_2) | instskip(SKIP_1) | instid1(VALU_DEP_3)
	v_fmac_f32_e32 v26, v28, v7
	v_mul_f32_e32 v28, v22, v25
	v_dual_fmac_f32 v24, v29, v9 :: v_dual_mul_f32 v27, v19, v23
	s_delay_alu instid0(VALU_DEP_1) | instskip(NEXT) | instid1(VALU_DEP_4)
	v_fma_f32 v30, v18, v27, v19
	v_fmac_f32_e32 v8, v17, v26
	s_delay_alu instid0(VALU_DEP_4) | instskip(NEXT) | instid1(VALU_DEP_3)
	v_fma_f32 v17, v21, v28, v22
	v_fmac_f32_e32 v27, v30, v23
	s_wait_alu 0xfffd
	s_delay_alu instid0(VALU_DEP_3) | instskip(SKIP_3) | instid1(VALU_DEP_3)
	v_div_fmas_f32 v7, v8, v7, v26
	v_fmac_f32_e32 v16, v20, v24
	s_mov_b32 vcc_lo, s3
	v_dual_fmac_f32 v28, v17, v25 :: v_dual_fmac_f32 v19, v18, v27
	v_div_fixup_f32 v7, v7, s19, 1.0
	s_wait_alu 0xfffe
	v_div_fmas_f32 v9, v16, v9, v24
	s_mov_b32 vcc_lo, s4
	v_fmac_f32_e32 v22, v21, v28
	s_wait_alu 0xfffe
	v_div_fmas_f32 v16, v19, v23, v27
	s_mov_b32 vcc_lo, s5
	v_cmp_le_i32_e64 s3, s22, v6
	s_wait_alu 0xfffe
	v_div_fmas_f32 v17, v22, v25, v28
	v_add_co_u32 v0, vcc_lo, v0, s6
	s_wait_alu 0xfffd
	v_add_co_ci_u32_e64 v1, null, s7, v1, vcc_lo
	s_or_b32 s10, s3, s10
	s_wait_loadcnt 0x0
	v_sub_f32_e32 v8, v12, v5
	s_delay_alu instid0(VALU_DEP_1) | instskip(SKIP_1) | instid1(VALU_DEP_2)
	v_fmac_f32_e32 v5, v7, v8
	v_div_fixup_f32 v7, v9, s23, 1.0
	v_sub_f32_e32 v12, v12, v5
	v_sub_f32_e32 v9, v13, v5
	s_delay_alu instid0(VALU_DEP_1) | instskip(SKIP_1) | instid1(VALU_DEP_2)
	v_fmac_f32_e32 v5, v7, v9
	v_div_fixup_f32 v7, v16, s24, 1.0
	v_sub_f32_e32 v16, v14, v5
	v_sub_f32_e32 v13, v13, v5
	s_delay_alu instid0(VALU_DEP_2) | instskip(SKIP_2) | instid1(VALU_DEP_3)
	v_fmac_f32_e32 v5, v7, v16
	v_div_fixup_f32 v7, v17, s11, 1.0
	v_fmac_f32_e32 v4, v8, v12
	v_sub_f32_e32 v8, v15, v5
	s_delay_alu instid0(VALU_DEP_2) | instskip(SKIP_1) | instid1(VALU_DEP_3)
	v_fmac_f32_e32 v4, v9, v13
	v_sub_f32_e32 v9, v14, v5
	v_fmac_f32_e32 v5, v7, v8
	s_delay_alu instid0(VALU_DEP_2) | instskip(NEXT) | instid1(VALU_DEP_2)
	v_dual_mov_b32 v7, s11 :: v_dual_fmac_f32 v4, v16, v9
	v_sub_f32_e32 v9, v15, v5
	s_delay_alu instid0(VALU_DEP_1)
	v_fmac_f32_e32 v4, v8, v9
	s_wait_alu 0xfffe
	s_and_not1_b32 exec_lo, exec_lo, s10
	s_cbranch_execnz .LBB3_2
; %bb.3:
	s_or_b32 exec_lo, exec_lo, s10
.LBB3_4:
	s_delay_alu instid0(SALU_CYCLE_1) | instskip(SKIP_3) | instid1(VALU_DEP_2)
	s_or_b32 exec_lo, exec_lo, s9
	v_mbcnt_lo_u32_b32 v0, -1, 0
	v_mov_b32_e32 v9, 0
	s_mov_b32 s3, exec_lo
	v_dual_mov_b32 v8, 0 :: v_dual_lshlrev_b32 v1, 2, v0
	s_delay_alu instid0(VALU_DEP_1)
	v_or_b32_e32 v1, 64, v1
	ds_bpermute_b32 v13, v1, v7
	ds_bpermute_b32 v12, v1, v5
	;; [unrolled: 1-line block ×3, first 2 shown]
	s_wait_dscnt 0x2
	v_dual_mov_b32 v1, 0 :: v_dual_add_f32 v6, v7, v13
	s_delay_alu instid0(VALU_DEP_1)
	v_cmpx_lt_f32_e32 0, v6
	s_cbranch_execz .LBB3_6
; %bb.5:
	v_div_scale_f32 v8, null, v6, v6, 1.0
	v_div_scale_f32 v16, vcc_lo, 1.0, v6, 1.0
	s_delay_alu instid0(VALU_DEP_2) | instskip(NEXT) | instid1(TRANS32_DEP_1)
	v_rcp_f32_e32 v9, v8
	v_fma_f32 v15, -v8, v9, 1.0
	s_delay_alu instid0(VALU_DEP_1) | instskip(NEXT) | instid1(VALU_DEP_1)
	v_fmac_f32_e32 v9, v15, v9
	v_mul_f32_e32 v15, v16, v9
	s_delay_alu instid0(VALU_DEP_1) | instskip(NEXT) | instid1(VALU_DEP_1)
	v_fma_f32 v17, -v8, v15, v16
	v_fmac_f32_e32 v15, v17, v9
	s_delay_alu instid0(VALU_DEP_1) | instskip(SKIP_1) | instid1(VALU_DEP_1)
	v_fma_f32 v8, -v8, v15, v16
	s_wait_alu 0xfffd
	v_div_fmas_f32 v8, v8, v9, v15
	s_delay_alu instid0(VALU_DEP_1) | instskip(SKIP_1) | instid1(VALU_DEP_1)
	v_div_fixup_f32 v9, v8, v6, 1.0
	s_wait_dscnt 0x1
	v_dual_sub_f32 v8, v5, v12 :: v_dual_mul_f32 v7, v7, v9
	s_delay_alu instid0(VALU_DEP_1)
	v_mul_f32_e32 v15, v8, v8
	s_wait_dscnt 0x0
	v_add_f32_e32 v8, v4, v14
	v_mul_f32_e32 v4, v9, v13
	v_mul_f32_e32 v9, v5, v7
	;; [unrolled: 1-line block ×3, first 2 shown]
	s_delay_alu instid0(VALU_DEP_1)
	v_dual_fmac_f32 v9, v4, v12 :: v_dual_fmac_f32 v8, v5, v7
.LBB3_6:
	s_wait_alu 0xfffe
	s_or_b32 exec_lo, exec_lo, s3
	v_cmp_gt_u32_e32 vcc_lo, 24, v0
	s_mov_b32 s3, exec_lo
	v_mov_b32_e32 v7, 0
	s_wait_alu 0xfffd
	v_cndmask_b32_e64 v4, 0, 8, vcc_lo
	s_delay_alu instid0(VALU_DEP_1)
	v_add_lshl_u32 v4, v4, v0, 2
	s_wait_dscnt 0x1
	ds_bpermute_b32 v12, v4, v6
	ds_bpermute_b32 v5, v4, v9
	ds_bpermute_b32 v13, v4, v8
	s_wait_dscnt 0x2
	v_add_f32_e32 v4, v6, v12
	s_delay_alu instid0(VALU_DEP_1)
	v_cmpx_lt_f32_e32 0, v4
	s_cbranch_execz .LBB3_8
; %bb.7:
	v_div_scale_f32 v1, null, v4, v4, 1.0
	v_div_scale_f32 v15, vcc_lo, 1.0, v4, 1.0
	s_delay_alu instid0(VALU_DEP_2) | instskip(NEXT) | instid1(TRANS32_DEP_1)
	v_rcp_f32_e32 v7, v1
	v_fma_f32 v14, -v1, v7, 1.0
	s_delay_alu instid0(VALU_DEP_1) | instskip(NEXT) | instid1(VALU_DEP_1)
	v_fmac_f32_e32 v7, v14, v7
	v_mul_f32_e32 v14, v15, v7
	s_delay_alu instid0(VALU_DEP_1) | instskip(NEXT) | instid1(VALU_DEP_1)
	v_fma_f32 v16, -v1, v14, v15
	v_fmac_f32_e32 v14, v16, v7
	s_delay_alu instid0(VALU_DEP_1) | instskip(SKIP_1) | instid1(VALU_DEP_1)
	v_fma_f32 v1, -v1, v14, v15
	s_wait_alu 0xfffd
	v_div_fmas_f32 v1, v1, v7, v14
	s_delay_alu instid0(VALU_DEP_1) | instskip(SKIP_1) | instid1(VALU_DEP_1)
	v_div_fixup_f32 v7, v1, v4, 1.0
	s_wait_dscnt 0x1
	v_dual_sub_f32 v1, v9, v5 :: v_dual_mul_f32 v6, v6, v7
	s_delay_alu instid0(VALU_DEP_1) | instskip(SKIP_2) | instid1(VALU_DEP_3)
	v_mul_f32_e32 v14, v1, v1
	s_wait_dscnt 0x0
	v_dual_add_f32 v1, v8, v13 :: v_dual_mul_f32 v8, v7, v12
	v_mul_f32_e32 v7, v9, v6
	s_delay_alu instid0(VALU_DEP_3) | instskip(NEXT) | instid1(VALU_DEP_1)
	v_mul_f32_e32 v9, v14, v12
	v_fmac_f32_e32 v1, v9, v6
	s_delay_alu instid0(VALU_DEP_3)
	v_fmac_f32_e32 v7, v8, v5
.LBB3_8:
	s_wait_alu 0xfffe
	s_or_b32 exec_lo, exec_lo, s3
	v_cmp_gt_u32_e32 vcc_lo, 28, v0
	v_mov_b32_e32 v8, 0
	v_mov_b32_e32 v12, 0
	s_mov_b32 s3, exec_lo
	s_wait_dscnt 0x1
	s_wait_alu 0xfffd
	v_cndmask_b32_e64 v5, 0, 4, vcc_lo
	s_delay_alu instid0(VALU_DEP_1)
	v_add_lshl_u32 v5, v5, v0, 2
	s_wait_dscnt 0x0
	ds_bpermute_b32 v13, v5, v4
	ds_bpermute_b32 v9, v5, v7
	;; [unrolled: 1-line block ×3, first 2 shown]
	s_wait_dscnt 0x2
	v_dual_mov_b32 v5, 0 :: v_dual_add_f32 v6, v4, v13
	s_delay_alu instid0(VALU_DEP_1)
	v_cmpx_lt_f32_e32 0, v6
	s_cbranch_execz .LBB3_10
; %bb.9:
	v_div_scale_f32 v8, null, v6, v6, 1.0
	v_div_scale_f32 v16, vcc_lo, 1.0, v6, 1.0
	s_delay_alu instid0(VALU_DEP_2) | instskip(NEXT) | instid1(TRANS32_DEP_1)
	v_rcp_f32_e32 v12, v8
	v_fma_f32 v15, -v8, v12, 1.0
	s_delay_alu instid0(VALU_DEP_1) | instskip(NEXT) | instid1(VALU_DEP_1)
	v_fmac_f32_e32 v12, v15, v12
	v_mul_f32_e32 v15, v16, v12
	s_delay_alu instid0(VALU_DEP_1) | instskip(NEXT) | instid1(VALU_DEP_1)
	v_fma_f32 v17, -v8, v15, v16
	v_fmac_f32_e32 v15, v17, v12
	s_delay_alu instid0(VALU_DEP_1) | instskip(SKIP_1) | instid1(VALU_DEP_1)
	v_fma_f32 v8, -v8, v15, v16
	s_wait_alu 0xfffd
	v_div_fmas_f32 v8, v8, v12, v15
	s_delay_alu instid0(VALU_DEP_1) | instskip(SKIP_3) | instid1(VALU_DEP_1)
	v_div_fixup_f32 v12, v8, v6, 1.0
	s_wait_dscnt 0x1
	v_sub_f32_e32 v8, v7, v9
	s_wait_dscnt 0x0
	v_dual_mul_f32 v15, v8, v8 :: v_dual_add_f32 v8, v1, v14
	v_mul_f32_e32 v4, v4, v12
	s_delay_alu instid0(VALU_DEP_1) | instskip(NEXT) | instid1(VALU_DEP_3)
	v_dual_mul_f32 v1, v12, v13 :: v_dual_mul_f32 v12, v7, v4
	v_mul_f32_e32 v7, v15, v13
	s_delay_alu instid0(VALU_DEP_2) | instskip(NEXT) | instid1(VALU_DEP_2)
	v_fmac_f32_e32 v12, v1, v9
	v_fmac_f32_e32 v8, v7, v4
.LBB3_10:
	s_wait_alu 0xfffe
	s_or_b32 exec_lo, exec_lo, s3
	v_cmp_gt_u32_e32 vcc_lo, 30, v0
	s_wait_dscnt 0x1
	v_mov_b32_e32 v9, 0
	s_mov_b32 s3, exec_lo
	s_wait_alu 0xfffd
	v_cndmask_b32_e64 v1, 0, 2, vcc_lo
	s_delay_alu instid0(VALU_DEP_1)
	v_add_lshl_u32 v7, v1, v0, 2
	ds_bpermute_b32 v4, v7, v6
	ds_bpermute_b32 v1, v7, v12
	;; [unrolled: 1-line block ×3, first 2 shown]
	s_wait_dscnt 0x2
	v_add_f32_e32 v7, v6, v4
	s_delay_alu instid0(VALU_DEP_1)
	v_cmpx_lt_f32_e32 0, v7
	s_cbranch_execz .LBB3_12
; %bb.11:
	v_div_scale_f32 v5, null, v7, v7, 1.0
	v_div_scale_f32 v15, vcc_lo, 1.0, v7, 1.0
	s_delay_alu instid0(VALU_DEP_2) | instskip(NEXT) | instid1(TRANS32_DEP_1)
	v_rcp_f32_e32 v9, v5
	v_fma_f32 v14, -v5, v9, 1.0
	s_delay_alu instid0(VALU_DEP_1) | instskip(NEXT) | instid1(VALU_DEP_1)
	v_fmac_f32_e32 v9, v14, v9
	v_mul_f32_e32 v14, v15, v9
	s_delay_alu instid0(VALU_DEP_1) | instskip(NEXT) | instid1(VALU_DEP_1)
	v_fma_f32 v16, -v5, v14, v15
	v_fmac_f32_e32 v14, v16, v9
	s_delay_alu instid0(VALU_DEP_1) | instskip(SKIP_1) | instid1(VALU_DEP_1)
	v_fma_f32 v5, -v5, v14, v15
	s_wait_alu 0xfffd
	v_div_fmas_f32 v5, v5, v9, v14
	s_delay_alu instid0(VALU_DEP_1) | instskip(SKIP_2) | instid1(VALU_DEP_2)
	v_div_fixup_f32 v9, v5, v7, 1.0
	s_wait_dscnt 0x1
	v_sub_f32_e32 v5, v12, v1
	v_mul_f32_e32 v6, v6, v9
	s_delay_alu instid0(VALU_DEP_2) | instskip(SKIP_2) | instid1(VALU_DEP_2)
	v_mul_f32_e32 v14, v5, v5
	s_wait_dscnt 0x0
	v_dual_add_f32 v5, v8, v13 :: v_dual_mul_f32 v8, v9, v4
	v_dual_mul_f32 v9, v12, v6 :: v_dual_mul_f32 v4, v14, v4
	s_delay_alu instid0(VALU_DEP_1) | instskip(NEXT) | instid1(VALU_DEP_2)
	v_fmac_f32_e32 v9, v8, v1
	v_fmac_f32_e32 v5, v4, v6
.LBB3_12:
	s_wait_alu 0xfffe
	s_or_b32 exec_lo, exec_lo, s3
	v_cmp_ne_u32_e32 vcc_lo, 31, v0
	s_mov_b32 s3, exec_lo
	v_mov_b32_e32 v4, 0
	s_wait_alu 0xfffd
	v_add_co_ci_u32_e64 v0, null, 0, v0, vcc_lo
	s_delay_alu instid0(VALU_DEP_1)
	v_lshlrev_b32_e32 v0, 2, v0
	ds_bpermute_b32 v8, v0, v7
	ds_bpermute_b32 v6, v0, v9
	;; [unrolled: 1-line block ×3, first 2 shown]
	s_wait_dscnt 0x2
	v_dual_mov_b32 v0, 0 :: v_dual_add_f32 v1, v7, v8
	s_delay_alu instid0(VALU_DEP_1)
	v_cmpx_lt_f32_e32 0, v1
	s_cbranch_execz .LBB3_14
; %bb.13:
	v_div_scale_f32 v0, null, v1, v1, 1.0
	v_div_scale_f32 v14, vcc_lo, 1.0, v1, 1.0
	s_delay_alu instid0(VALU_DEP_2) | instskip(NEXT) | instid1(TRANS32_DEP_1)
	v_rcp_f32_e32 v4, v0
	v_fma_f32 v13, -v0, v4, 1.0
	s_delay_alu instid0(VALU_DEP_1) | instskip(NEXT) | instid1(VALU_DEP_1)
	v_fmac_f32_e32 v4, v13, v4
	v_mul_f32_e32 v13, v14, v4
	s_delay_alu instid0(VALU_DEP_1) | instskip(NEXT) | instid1(VALU_DEP_1)
	v_fma_f32 v15, -v0, v13, v14
	v_fmac_f32_e32 v13, v15, v4
	s_delay_alu instid0(VALU_DEP_1) | instskip(SKIP_1) | instid1(VALU_DEP_1)
	v_fma_f32 v0, -v0, v13, v14
	s_wait_alu 0xfffd
	v_div_fmas_f32 v0, v0, v4, v13
	s_wait_dscnt 0x1
	v_sub_f32_e32 v4, v9, v6
	s_delay_alu instid0(VALU_DEP_2) | instskip(NEXT) | instid1(VALU_DEP_2)
	v_div_fixup_f32 v0, v0, v1, 1.0
	v_mul_f32_e32 v13, v4, v4
	s_wait_dscnt 0x0
	v_add_f32_e32 v4, v5, v12
	s_delay_alu instid0(VALU_DEP_3) | instskip(SKIP_2) | instid1(VALU_DEP_2)
	v_mul_f32_e32 v5, v0, v8
	v_mul_f32_e32 v7, v7, v0
	;; [unrolled: 1-line block ×4, first 2 shown]
	s_delay_alu instid0(VALU_DEP_1) | instskip(NEXT) | instid1(VALU_DEP_3)
	v_fmac_f32_e32 v0, v5, v6
	v_fmac_f32_e32 v4, v8, v7
.LBB3_14:
	s_wait_alu 0xfffe
	s_or_b32 exec_lo, exec_lo, s3
	s_cmp_lt_u32 s8, 2
	s_cbranch_scc0 .LBB3_16
; %bb.15:
	v_mov_b32_e32 v5, 0
	s_cvt_f32_i32 s3, s12
	s_wait_dscnt 0x1
	ds_bpermute_b32 v6, v5, v4
	s_wait_dscnt 0x0
	s_wait_alu 0xfffe
	v_div_scale_f32 v7, null, s3, s3, v6
	v_div_scale_f32 v12, vcc_lo, v6, s3, v6
	s_delay_alu instid0(VALU_DEP_2) | instskip(NEXT) | instid1(TRANS32_DEP_1)
	v_rcp_f32_e32 v9, v7
	v_fma_f32 v8, -v7, v9, 1.0
	s_delay_alu instid0(VALU_DEP_1) | instskip(SKIP_2) | instid1(VALU_DEP_1)
	v_fmac_f32_e32 v9, v8, v9
	ds_bpermute_b32 v8, v5, v0
	v_mul_f32_e32 v13, v12, v9
	v_fma_f32 v14, -v7, v13, v12
	s_delay_alu instid0(VALU_DEP_1) | instskip(NEXT) | instid1(VALU_DEP_1)
	v_fmac_f32_e32 v13, v14, v9
	v_fma_f32 v5, -v7, v13, v12
	s_wait_alu 0xfffd
	s_delay_alu instid0(VALU_DEP_1) | instskip(NEXT) | instid1(VALU_DEP_1)
	v_div_fmas_f32 v5, v5, v9, v13
	v_div_fixup_f32 v9, v5, s3, v6
	s_cbranch_execz .LBB3_17
	s_branch .LBB3_29
.LBB3_16:
                                        ; implicit-def: $vgpr9
.LBB3_17:
	s_wait_dscnt 0x1
	v_lshlrev_b32_e32 v6, 3, v2
	s_lshl_b32 s3, s8, 2
	s_wait_alu 0xfffe
	s_add_co_i32 s5, s3, 0
	v_cmp_eq_u32_e64 s3, 0, v3
	s_wait_alu 0xfffe
	v_lshl_add_u32 v5, v2, 2, s5
	v_add_nc_u32_e32 v6, 0, v6
.LBB3_18:                               ; =>This Inner Loop Header: Depth=1
	s_lshr_b32 s6, s8, 1
	s_and_b32 s4, s8, 0xfffe
	s_wait_alu 0xfffe
	v_cmp_le_u32_e32 vcc_lo, s6, v2
	v_cmp_gt_u32_e64 s4, s4, v2
	s_and_b32 s7, s3, vcc_lo
	s_wait_alu 0xfffe
	s_and_b32 s7, s7, s4
	s_wait_alu 0xfffe
	s_and_saveexec_b32 s4, s7
	s_cbranch_execz .LBB3_20
; %bb.19:                               ;   in Loop: Header=BB3_18 Depth=1
	v_subrev_nc_u32_e32 v7, s6, v2
	s_wait_dscnt 0x0
	s_delay_alu instid0(VALU_DEP_1)
	v_lshl_add_u32 v8, v7, 3, 0
	v_lshl_add_u32 v7, v7, 2, s5
	ds_store_2addr_b32 v8, v0, v4 offset1:1
	ds_store_b32 v7, v1
.LBB3_20:                               ;   in Loop: Header=BB3_18 Depth=1
	s_wait_alu 0xfffe
	s_or_b32 exec_lo, exec_lo, s4
	v_cmp_gt_u32_e32 vcc_lo, s6, v2
	s_wait_dscnt 0x0
	s_barrier_signal -1
	s_barrier_wait -1
	global_inv scope:SCOPE_SE
	s_and_b32 s7, s3, vcc_lo
	s_wait_alu 0xfffe
	s_and_saveexec_b32 s4, s7
	s_cbranch_execz .LBB3_24
; %bb.21:                               ;   in Loop: Header=BB3_18 Depth=1
	ds_load_b32 v8, v5
	v_mov_b32_e32 v9, 0
	s_mov_b32 s7, exec_lo
	s_wait_dscnt 0x0
	v_dual_mov_b32 v12, 0 :: v_dual_add_f32 v7, v1, v8
	s_delay_alu instid0(VALU_DEP_1)
	v_cmpx_lt_f32_e32 0, v7
	s_cbranch_execz .LBB3_23
; %bb.22:                               ;   in Loop: Header=BB3_18 Depth=1
	v_div_scale_f32 v9, null, v7, v7, 1.0
	v_div_scale_f32 v15, vcc_lo, 1.0, v7, 1.0
	s_delay_alu instid0(VALU_DEP_2) | instskip(NEXT) | instid1(TRANS32_DEP_1)
	v_rcp_f32_e32 v14, v9
	v_fma_f32 v12, -v9, v14, 1.0
	s_delay_alu instid0(VALU_DEP_1) | instskip(SKIP_2) | instid1(VALU_DEP_1)
	v_fmac_f32_e32 v14, v12, v14
	ds_load_2addr_b32 v[12:13], v6 offset1:1
	v_mul_f32_e32 v16, v15, v14
	v_fma_f32 v17, -v9, v16, v15
	s_delay_alu instid0(VALU_DEP_1) | instskip(NEXT) | instid1(VALU_DEP_1)
	v_fmac_f32_e32 v16, v17, v14
	v_fma_f32 v9, -v9, v16, v15
	s_wait_alu 0xfffd
	s_delay_alu instid0(VALU_DEP_1) | instskip(NEXT) | instid1(VALU_DEP_1)
	v_div_fmas_f32 v9, v9, v14, v16
	v_div_fixup_f32 v14, v9, v7, 1.0
	s_wait_dscnt 0x0
	v_sub_f32_e32 v9, v0, v12
	s_delay_alu instid0(VALU_DEP_1) | instskip(SKIP_1) | instid1(VALU_DEP_2)
	v_dual_mul_f32 v15, v8, v14 :: v_dual_mul_f32 v16, v9, v9
	v_add_f32_e32 v9, v4, v13
	v_dual_mul_f32 v1, v1, v14 :: v_dual_mul_f32 v12, v15, v12
	s_delay_alu instid0(VALU_DEP_3) | instskip(NEXT) | instid1(VALU_DEP_1)
	v_mul_f32_e32 v4, v8, v16
	v_dual_fmac_f32 v12, v0, v1 :: v_dual_fmac_f32 v9, v1, v4
.LBB3_23:                               ;   in Loop: Header=BB3_18 Depth=1
	s_wait_alu 0xfffe
	s_or_b32 exec_lo, exec_lo, s7
	s_delay_alu instid0(VALU_DEP_1) | instskip(NEXT) | instid1(VALU_DEP_2)
	v_dual_mov_b32 v0, v12 :: v_dual_mov_b32 v1, v7
	v_mov_b32_e32 v4, v9
.LBB3_24:                               ;   in Loop: Header=BB3_18 Depth=1
	s_wait_alu 0xfffe
	s_or_b32 exec_lo, exec_lo, s4
	s_cmp_lt_u32 s8, 4
	s_wait_loadcnt 0x0
	s_barrier_signal -1
	s_barrier_wait -1
	global_inv scope:SCOPE_SE
	s_cbranch_scc1 .LBB3_26
; %bb.25:                               ;   in Loop: Header=BB3_18 Depth=1
	s_mov_b32 s8, s6
	s_branch .LBB3_18
.LBB3_26:
	v_or_b32_e32 v1, v3, v2
	s_mov_b32 s3, exec_lo
	s_delay_alu instid0(VALU_DEP_1)
	v_cmpx_eq_u32_e32 0, v1
	s_cbranch_execz .LBB3_28
; %bb.27:
	s_cvt_f32_i32 s4, s12
	s_wait_alu 0xfffe
	s_delay_alu instid0(SALU_CYCLE_2) | instskip(SKIP_1) | instid1(VALU_DEP_2)
	v_div_scale_f32 v1, null, s4, s4, v4
	v_div_scale_f32 v5, vcc_lo, v4, s4, v4
	v_rcp_f32_e32 v2, v1
	s_delay_alu instid0(TRANS32_DEP_1) | instskip(NEXT) | instid1(VALU_DEP_1)
	v_fma_f32 v3, -v1, v2, 1.0
	v_fmac_f32_e32 v2, v3, v2
	s_delay_alu instid0(VALU_DEP_1) | instskip(NEXT) | instid1(VALU_DEP_1)
	v_mul_f32_e32 v3, v5, v2
	v_fma_f32 v6, -v1, v3, v5
	s_delay_alu instid0(VALU_DEP_1) | instskip(NEXT) | instid1(VALU_DEP_1)
	v_fmac_f32_e32 v3, v6, v2
	v_fma_f32 v1, -v1, v3, v5
	s_wait_alu 0xfffd
	s_delay_alu instid0(VALU_DEP_1) | instskip(SKIP_1) | instid1(VALU_DEP_2)
	v_div_fmas_f32 v1, v1, v2, v3
	v_mov_b32_e32 v2, 0
	v_div_fixup_f32 v1, v1, s4, v4
	ds_store_2addr_b32 v2, v0, v1 offset1:1
.LBB3_28:
	s_wait_alu 0xfffe
	s_or_b32 exec_lo, exec_lo, s3
	v_mov_b32_e32 v0, 0
	s_wait_loadcnt_dscnt 0x0
	s_barrier_signal -1
	s_barrier_wait -1
	global_inv scope:SCOPE_SE
	ds_load_2addr_b32 v[8:9], v0 offset1:1
.LBB3_29:
	s_wait_dscnt 0x0
	s_delay_alu instid0(VALU_DEP_1) | instskip(SKIP_3) | instid1(VALU_DEP_1)
	v_add_f32_e32 v0, s13, v9
	s_clause 0x1
	s_load_b256 s[4:11], s[0:1], 0x10
	s_load_b64 s[0:1], s[0:1], 0x30
	v_mul_f32_e32 v1, 0x4b800000, v0
	v_cmp_gt_f32_e32 vcc_lo, 0x800000, v0
	s_wait_alu 0xfffd
	s_delay_alu instid0(VALU_DEP_2) | instskip(NEXT) | instid1(VALU_DEP_1)
	v_cndmask_b32_e32 v0, v0, v1, vcc_lo
	v_rsq_f32_e32 v0, v0
	s_delay_alu instid0(TRANS32_DEP_1) | instskip(NEXT) | instid1(VALU_DEP_1)
	v_mul_f32_e32 v1, 0x45800000, v0
	v_cndmask_b32_e32 v9, v0, v1, vcc_lo
	s_and_saveexec_b32 s23, s2
	s_cbranch_execz .LBB3_44
; %bb.30:
	s_wait_kmcnt 0x0
	s_cmp_eq_u64 s[4:5], 0
	v_mov_b32_e32 v13, v10
	s_cselect_b32 s24, -1, 0
	s_cmp_eq_u64 s[6:7], 0
	s_cselect_b32 s12, -1, 0
	s_lshl_b64 s[2:3], s[20:21], 2
	s_wait_alu 0xfffe
	v_cndmask_b32_e64 v12, 0, 1, s12
	s_ashr_i32 s19, s18, 31
	s_add_nc_u64 s[0:1], s[0:1], s[2:3]
	s_add_nc_u64 s[2:3], s[14:15], s[2:3]
	s_or_b32 s14, s24, s12
	s_wait_alu 0xfffe
	s_lshl_b64 s[12:13], s[18:19], 4
	s_mov_b32 s15, 0
	s_branch .LBB3_32
.LBB3_31:                               ;   in Loop: Header=BB3_32 Depth=1
	v_add_nc_u32_e32 v13, s18, v13
	s_wait_loadcnt 0x0
	v_add_co_u32 v0, s19, s0, v11
	s_wait_alu 0xf1ff
	v_add_co_ci_u32_e64 v1, null, s1, 0, s19
	v_cmp_le_i32_e32 vcc_lo, s22, v13
	s_add_nc_u64 s[0:1], s[0:1], s[12:13]
	s_add_nc_u64 s[2:3], s[2:3], s[12:13]
	;; [unrolled: 1-line block ×4, first 2 shown]
	s_or_b32 s15, vcc_lo, s15
	global_store_b128 v[0:1], v[4:7], off
	s_and_not1_b32 exec_lo, exec_lo, s15
	s_cbranch_execz .LBB3_44
.LBB3_32:                               ; =>This Inner Loop Header: Depth=1
	s_wait_alu 0xfffe
	v_add_co_u32 v0, s19, s2, v11
	s_wait_alu 0xf1ff
	v_add_co_ci_u32_e64 v1, null, s3, 0, s19
	s_and_b32 vcc_lo, exec_lo, s14
	s_mov_b32 s19, -1
                                        ; implicit-def: $vgpr4
	global_load_b128 v[0:3], v[0:1], off
	s_wait_alu 0xfffe
	s_cbranch_vccz .LBB3_42
; %bb.33:                               ;   in Loop: Header=BB3_32 Depth=1
	s_and_b32 vcc_lo, exec_lo, s24
                                        ; implicit-def: $vgpr4
	s_wait_alu 0xfffe
	s_cbranch_vccz .LBB3_39
; %bb.34:                               ;   in Loop: Header=BB3_32 Depth=1
	v_cmp_ne_u32_e32 vcc_lo, 1, v12
                                        ; implicit-def: $vgpr4
	s_cbranch_vccnz .LBB3_36
; %bb.35:                               ;   in Loop: Header=BB3_32 Depth=1
	s_wait_loadcnt 0x0
	v_sub_f32_e32 v5, v1, v8
	v_sub_f32_e32 v4, v0, v8
	;; [unrolled: 1-line block ×4, first 2 shown]
	s_mov_b32 s19, 0
	v_mul_f32_e32 v5, v9, v5
	v_mul_f32_e32 v4, v9, v4
	;; [unrolled: 1-line block ×4, first 2 shown]
.LBB3_36:                               ;   in Loop: Header=BB3_32 Depth=1
	s_wait_alu 0xfffe
	s_and_not1_b32 vcc_lo, exec_lo, s19
	s_wait_alu 0xfffe
	s_cbranch_vccnz .LBB3_38
; %bb.37:                               ;   in Loop: Header=BB3_32 Depth=1
	v_add_co_u32 v4, s19, s6, v11
	s_wait_alu 0xf1ff
	v_add_co_ci_u32_e64 v5, null, s7, 0, s19
	s_wait_loadcnt 0x0
	v_sub_f32_e32 v15, v1, v8
	v_sub_f32_e32 v16, v2, v8
	;; [unrolled: 1-line block ×3, first 2 shown]
	global_load_b128 v[4:7], v[4:5], off
	s_wait_loadcnt 0x0
	v_dual_sub_f32 v14, v0, v8 :: v_dual_fmac_f32 v7, v9, v17
	s_delay_alu instid0(VALU_DEP_1)
	v_fma_f32 v4, v9, v14, v4
	v_fma_f32 v5, v9, v15, v5
	;; [unrolled: 1-line block ×3, first 2 shown]
.LBB3_38:                               ;   in Loop: Header=BB3_32 Depth=1
	s_mov_b32 s19, 0
.LBB3_39:                               ;   in Loop: Header=BB3_32 Depth=1
	s_wait_alu 0xfffe
	s_and_not1_b32 vcc_lo, exec_lo, s19
	s_wait_alu 0xfffe
	s_cbranch_vccnz .LBB3_41
; %bb.40:                               ;   in Loop: Header=BB3_32 Depth=1
	v_add_co_u32 v4, s19, s4, v11
	s_wait_alu 0xf1ff
	v_add_co_ci_u32_e64 v5, null, s5, 0, s19
	s_wait_loadcnt 0x0
	v_sub_f32_e32 v17, v3, v8
	v_sub_f32_e32 v16, v2, v8
	global_load_b128 v[4:7], v[4:5], off
	v_mul_f32_e32 v17, v9, v17
	v_mul_f32_e32 v16, v9, v16
	s_wait_loadcnt 0x0
	s_delay_alu instid0(VALU_DEP_1) | instskip(NEXT) | instid1(VALU_DEP_1)
	v_dual_sub_f32 v15, v1, v8 :: v_dual_mul_f32 v6, v16, v6
	v_dual_sub_f32 v14, v0, v8 :: v_dual_mul_f32 v15, v9, v15
	v_mul_f32_e32 v7, v17, v7
	s_delay_alu instid0(VALU_DEP_2) | instskip(NEXT) | instid1(VALU_DEP_1)
	v_dual_mul_f32 v14, v9, v14 :: v_dual_mul_f32 v5, v15, v5
	v_mul_f32_e32 v4, v14, v4
.LBB3_41:                               ;   in Loop: Header=BB3_32 Depth=1
	s_mov_b32 s19, 0
.LBB3_42:                               ;   in Loop: Header=BB3_32 Depth=1
	s_wait_alu 0xfffe
	s_and_not1_b32 vcc_lo, exec_lo, s19
	s_wait_alu 0xfffe
	s_cbranch_vccnz .LBB3_31
; %bb.43:                               ;   in Loop: Header=BB3_32 Depth=1
	v_add_co_u32 v4, s19, s4, v11
	s_wait_alu 0xf1ff
	v_add_co_ci_u32_e64 v5, null, s5, 0, s19
	v_add_co_u32 v6, s19, s6, v11
	s_wait_alu 0xf1ff
	v_add_co_ci_u32_e64 v7, null, s7, 0, s19
	global_load_b128 v[14:17], v[4:5], off
	global_load_b128 v[4:7], v[6:7], off
	s_wait_loadcnt 0x2
	v_sub_f32_e32 v1, v1, v8
	v_sub_f32_e32 v0, v0, v8
	;; [unrolled: 1-line block ×3, first 2 shown]
	s_delay_alu instid0(VALU_DEP_3) | instskip(NEXT) | instid1(VALU_DEP_2)
	v_dual_sub_f32 v2, v2, v8 :: v_dual_mul_f32 v1, v9, v1
	v_mul_f32_e32 v3, v9, v3
	s_delay_alu instid0(VALU_DEP_4) | instskip(NEXT) | instid1(VALU_DEP_3)
	v_mul_f32_e32 v0, v9, v0
	v_mul_f32_e32 v2, v9, v2
	s_wait_loadcnt 0x0
	v_fma_f32 v5, v1, v15, v5
	s_delay_alu instid0(VALU_DEP_2)
	v_fma_f32 v6, v2, v16, v6
	v_fmac_f32_e32 v7, v3, v17
	v_fma_f32 v4, v0, v14, v4
	s_branch .LBB3_31
.LBB3_44:
	s_wait_alu 0xfffe
	s_or_b32 exec_lo, exec_lo, s23
	s_wait_kmcnt 0x0
	s_mov_b32 s0, exec_lo
	v_cmpx_eq_u32_e32 0, v10
	s_cbranch_execz .LBB3_46
; %bb.45:
	v_mov_b32_e32 v0, 0
	s_lshl_b64 s[0:1], s[16:17], 2
	s_wait_alu 0xfffe
	s_add_nc_u64 s[2:3], s[8:9], s[0:1]
	s_add_nc_u64 s[0:1], s[10:11], s[0:1]
	s_clause 0x1
	global_store_b32 v0, v8, s[2:3]
	global_store_b32 v0, v9, s[0:1]
.LBB3_46:
	s_endpgm
	.section	.rodata,"a",@progbits
	.p2align	6, 0x0
	.amdhsa_kernel _ZN2at6native12_GLOBAL__N_128vectorized_layer_norm_kernelIffLb0EEEviT0_PKT_S6_S6_PS3_S7_PS4_
		.amdhsa_group_segment_fixed_size 0
		.amdhsa_private_segment_fixed_size 0
		.amdhsa_kernarg_size 312
		.amdhsa_user_sgpr_count 2
		.amdhsa_user_sgpr_dispatch_ptr 0
		.amdhsa_user_sgpr_queue_ptr 0
		.amdhsa_user_sgpr_kernarg_segment_ptr 1
		.amdhsa_user_sgpr_dispatch_id 0
		.amdhsa_user_sgpr_private_segment_size 0
		.amdhsa_wavefront_size32 1
		.amdhsa_uses_dynamic_stack 0
		.amdhsa_enable_private_segment 0
		.amdhsa_system_sgpr_workgroup_id_x 1
		.amdhsa_system_sgpr_workgroup_id_y 0
		.amdhsa_system_sgpr_workgroup_id_z 0
		.amdhsa_system_sgpr_workgroup_info 0
		.amdhsa_system_vgpr_workitem_id 1
		.amdhsa_next_free_vgpr 31
		.amdhsa_next_free_sgpr 25
		.amdhsa_reserve_vcc 1
		.amdhsa_float_round_mode_32 0
		.amdhsa_float_round_mode_16_64 0
		.amdhsa_float_denorm_mode_32 3
		.amdhsa_float_denorm_mode_16_64 3
		.amdhsa_fp16_overflow 0
		.amdhsa_workgroup_processor_mode 1
		.amdhsa_memory_ordered 1
		.amdhsa_forward_progress 1
		.amdhsa_inst_pref_size 28
		.amdhsa_round_robin_scheduling 0
		.amdhsa_exception_fp_ieee_invalid_op 0
		.amdhsa_exception_fp_denorm_src 0
		.amdhsa_exception_fp_ieee_div_zero 0
		.amdhsa_exception_fp_ieee_overflow 0
		.amdhsa_exception_fp_ieee_underflow 0
		.amdhsa_exception_fp_ieee_inexact 0
		.amdhsa_exception_int_div_zero 0
	.end_amdhsa_kernel
	.section	.text._ZN2at6native12_GLOBAL__N_128vectorized_layer_norm_kernelIffLb0EEEviT0_PKT_S6_S6_PS3_S7_PS4_,"axG",@progbits,_ZN2at6native12_GLOBAL__N_128vectorized_layer_norm_kernelIffLb0EEEviT0_PKT_S6_S6_PS3_S7_PS4_,comdat
.Lfunc_end3:
	.size	_ZN2at6native12_GLOBAL__N_128vectorized_layer_norm_kernelIffLb0EEEviT0_PKT_S6_S6_PS3_S7_PS4_, .Lfunc_end3-_ZN2at6native12_GLOBAL__N_128vectorized_layer_norm_kernelIffLb0EEEviT0_PKT_S6_S6_PS3_S7_PS4_
                                        ; -- End function
	.set _ZN2at6native12_GLOBAL__N_128vectorized_layer_norm_kernelIffLb0EEEviT0_PKT_S6_S6_PS3_S7_PS4_.num_vgpr, 31
	.set _ZN2at6native12_GLOBAL__N_128vectorized_layer_norm_kernelIffLb0EEEviT0_PKT_S6_S6_PS3_S7_PS4_.num_agpr, 0
	.set _ZN2at6native12_GLOBAL__N_128vectorized_layer_norm_kernelIffLb0EEEviT0_PKT_S6_S6_PS3_S7_PS4_.numbered_sgpr, 25
	.set _ZN2at6native12_GLOBAL__N_128vectorized_layer_norm_kernelIffLb0EEEviT0_PKT_S6_S6_PS3_S7_PS4_.num_named_barrier, 0
	.set _ZN2at6native12_GLOBAL__N_128vectorized_layer_norm_kernelIffLb0EEEviT0_PKT_S6_S6_PS3_S7_PS4_.private_seg_size, 0
	.set _ZN2at6native12_GLOBAL__N_128vectorized_layer_norm_kernelIffLb0EEEviT0_PKT_S6_S6_PS3_S7_PS4_.uses_vcc, 1
	.set _ZN2at6native12_GLOBAL__N_128vectorized_layer_norm_kernelIffLb0EEEviT0_PKT_S6_S6_PS3_S7_PS4_.uses_flat_scratch, 0
	.set _ZN2at6native12_GLOBAL__N_128vectorized_layer_norm_kernelIffLb0EEEviT0_PKT_S6_S6_PS3_S7_PS4_.has_dyn_sized_stack, 0
	.set _ZN2at6native12_GLOBAL__N_128vectorized_layer_norm_kernelIffLb0EEEviT0_PKT_S6_S6_PS3_S7_PS4_.has_recursion, 0
	.set _ZN2at6native12_GLOBAL__N_128vectorized_layer_norm_kernelIffLb0EEEviT0_PKT_S6_S6_PS3_S7_PS4_.has_indirect_call, 0
	.section	.AMDGPU.csdata,"",@progbits
; Kernel info:
; codeLenInByte = 3572
; TotalNumSgprs: 27
; NumVgprs: 31
; ScratchSize: 0
; MemoryBound: 0
; FloatMode: 240
; IeeeMode: 1
; LDSByteSize: 0 bytes/workgroup (compile time only)
; SGPRBlocks: 0
; VGPRBlocks: 3
; NumSGPRsForWavesPerEU: 27
; NumVGPRsForWavesPerEU: 31
; Occupancy: 16
; WaveLimiterHint : 0
; COMPUTE_PGM_RSRC2:SCRATCH_EN: 0
; COMPUTE_PGM_RSRC2:USER_SGPR: 2
; COMPUTE_PGM_RSRC2:TRAP_HANDLER: 0
; COMPUTE_PGM_RSRC2:TGID_X_EN: 1
; COMPUTE_PGM_RSRC2:TGID_Y_EN: 0
; COMPUTE_PGM_RSRC2:TGID_Z_EN: 0
; COMPUTE_PGM_RSRC2:TIDIG_COMP_CNT: 1
	.section	.text._ZN2at6native12_GLOBAL__N_124RowwiseMomentsCUDAKernelIffLb0EEEvlT0_PKT_PS3_S7_,"axG",@progbits,_ZN2at6native12_GLOBAL__N_124RowwiseMomentsCUDAKernelIffLb0EEEvlT0_PKT_PS3_S7_,comdat
	.globl	_ZN2at6native12_GLOBAL__N_124RowwiseMomentsCUDAKernelIffLb0EEEvlT0_PKT_PS3_S7_ ; -- Begin function _ZN2at6native12_GLOBAL__N_124RowwiseMomentsCUDAKernelIffLb0EEEvlT0_PKT_PS3_S7_
	.p2align	8
	.type	_ZN2at6native12_GLOBAL__N_124RowwiseMomentsCUDAKernelIffLb0EEEvlT0_PKT_PS3_S7_,@function
_ZN2at6native12_GLOBAL__N_124RowwiseMomentsCUDAKernelIffLb0EEEvlT0_PKT_PS3_S7_: ; @_ZN2at6native12_GLOBAL__N_124RowwiseMomentsCUDAKernelIffLb0EEEvlT0_PKT_PS3_S7_
; %bb.0:
	s_clause 0x2
	s_load_b64 s[12:13], s[0:1], 0x0
	s_load_b128 s[4:7], s[0:1], 0x10
	s_load_b64 s[8:9], s[0:1], 0x20
	v_dual_mov_b32 v1, 0 :: v_dual_mov_b32 v2, 0
	v_mov_b32_e32 v3, 0
	s_mov_b32 s10, ttmp9
	s_mov_b32 s11, 0
	s_delay_alu instid0(VALU_DEP_2)
	v_dual_mov_b32 v8, v1 :: v_dual_mov_b32 v9, v1
	s_mov_b32 s3, exec_lo
	s_wait_kmcnt 0x0
	v_cmpx_gt_i64_e64 s[12:13], v[0:1]
	s_cbranch_execz .LBB4_4
; %bb.1:
	s_load_b32 s2, s[0:1], 0x34
	s_mul_u64 s[14:15], s[12:13], s[10:11]
	v_dual_mov_b32 v5, v1 :: v_dual_lshlrev_b32 v2, 2, v0
	s_lshl_b64 s[14:15], s[14:15], 2
	v_dual_mov_b32 v8, 0 :: v_dual_mov_b32 v9, 0
	s_add_nc_u64 s[4:5], s[4:5], s[14:15]
	v_mov_b32_e32 v4, v0
	v_add_co_u32 v6, s4, s4, v2
	s_wait_alu 0xf1ff
	v_add_co_ci_u32_e64 v7, null, s5, 0, s4
	s_mov_b64 s[4:5], 0
	s_mov_b32 s15, s11
	s_wait_kmcnt 0x0
	s_and_b32 s14, s2, 0xffff
	s_delay_alu instid0(SALU_CYCLE_1)
	s_lshl_b32 s16, s14, 2
.LBB4_2:                                ; =>This Inner Loop Header: Depth=1
	global_load_b32 v2, v[6:7], off
	s_wait_alu 0xfffe
	s_add_nc_u64 s[4:5], s[4:5], 1
	s_wait_alu 0xfffe
	s_clz_i32_u32 s2, s5
	s_wait_alu 0xfffe
	s_min_u32 s2, s2, 32
	s_wait_alu 0xfffe
	s_lshl_b64 s[18:19], s[4:5], s2
	s_sub_co_i32 s2, 32, s2
	s_min_u32 s17, s18, 1
	s_wait_alu 0xfffe
	s_or_b32 s17, s19, s17
	s_wait_alu 0xfffe
	s_cvt_f32_u32 s17, s17
	s_wait_alu 0xfffe
	s_delay_alu instid0(SALU_CYCLE_2) | instskip(SKIP_2) | instid1(VALU_DEP_1)
	v_ldexp_f32 v1, s17, s2
	s_wait_loadcnt 0x0
	v_sub_f32_e32 v10, v2, v9
	v_div_scale_f32 v3, null, v1, v1, v10
	s_delay_alu instid0(VALU_DEP_1) | instskip(NEXT) | instid1(TRANS32_DEP_1)
	v_rcp_f32_e32 v11, v3
	v_fma_f32 v12, -v3, v11, 1.0
	s_delay_alu instid0(VALU_DEP_1) | instskip(SKIP_1) | instid1(VALU_DEP_1)
	v_fmac_f32_e32 v11, v12, v11
	v_div_scale_f32 v13, vcc_lo, v10, v1, v10
	v_mul_f32_e32 v12, v13, v11
	s_delay_alu instid0(VALU_DEP_1) | instskip(NEXT) | instid1(VALU_DEP_1)
	v_fma_f32 v14, -v3, v12, v13
	v_fmac_f32_e32 v12, v14, v11
	s_delay_alu instid0(VALU_DEP_1) | instskip(SKIP_1) | instid1(VALU_DEP_1)
	v_fma_f32 v3, -v3, v12, v13
	s_wait_alu 0xfffd
	v_div_fmas_f32 v3, v3, v11, v12
	v_add_co_u32 v4, vcc_lo, v4, s14
	s_wait_alu 0xfffd
	v_add_co_ci_u32_e64 v5, null, 0, v5, vcc_lo
	s_delay_alu instid0(VALU_DEP_3) | instskip(SKIP_1) | instid1(VALU_DEP_3)
	v_div_fixup_f32 v3, v3, v1, v10
	v_add_co_u32 v6, vcc_lo, v6, s16
	v_cmp_le_i64_e64 s2, s[12:13], v[4:5]
	s_wait_alu 0xfffd
	v_add_co_ci_u32_e64 v7, null, 0, v7, vcc_lo
	v_add_f32_e32 v9, v9, v3
	s_delay_alu instid0(VALU_DEP_3) | instskip(NEXT) | instid1(VALU_DEP_1)
	s_or_b32 s15, s2, s15
	v_dual_sub_f32 v11, v2, v9 :: v_dual_mov_b32 v2, s4
	s_delay_alu instid0(VALU_DEP_1)
	v_dual_mov_b32 v3, s5 :: v_dual_fmac_f32 v8, v10, v11
	s_wait_alu 0xfffe
	s_and_not1_b32 exec_lo, exec_lo, s15
	s_cbranch_execnz .LBB4_2
; %bb.3:
	s_or_b32 exec_lo, exec_lo, s15
.LBB4_4:
	s_delay_alu instid0(SALU_CYCLE_1) | instskip(SKIP_2) | instid1(VALU_DEP_1)
	s_or_b32 exec_lo, exec_lo, s3
	v_mbcnt_lo_u32_b32 v11, -1, 0
	s_mov_b32 s2, exec_lo
	v_lshl_or_b32 v7, v11, 2, 64
	ds_bpermute_b32 v12, v7, v9
	ds_bpermute_b32 v6, v7, v8
	;; [unrolled: 1-line block ×5, first 2 shown]
	v_cmpx_neq_f32_e32 0, v1
	s_cbranch_execz .LBB4_8
; %bb.5:
	s_mov_b32 s3, exec_lo
	s_wait_dscnt 0x0
	v_cmpx_neq_f32_e32 0, v14
	s_cbranch_execz .LBB4_7
; %bb.6:
	v_add_f32_e32 v4, v1, v14
	v_add_f32_e32 v8, v8, v6
	s_delay_alu instid0(VALU_DEP_2) | instskip(SKIP_1) | instid1(VALU_DEP_2)
	v_div_scale_f32 v2, null, v4, v4, v14
	v_div_scale_f32 v10, vcc_lo, v14, v4, v14
	v_rcp_f32_e32 v3, v2
	s_delay_alu instid0(TRANS32_DEP_1) | instskip(NEXT) | instid1(VALU_DEP_1)
	v_fma_f32 v5, -v2, v3, 1.0
	v_fmac_f32_e32 v3, v5, v3
	s_delay_alu instid0(VALU_DEP_1) | instskip(NEXT) | instid1(VALU_DEP_1)
	v_mul_f32_e32 v5, v10, v3
	v_fma_f32 v13, -v2, v5, v10
	s_delay_alu instid0(VALU_DEP_1) | instskip(NEXT) | instid1(VALU_DEP_1)
	v_fmac_f32_e32 v5, v13, v3
	v_fma_f32 v2, -v2, v5, v10
	v_sub_f32_e32 v10, v12, v9
	s_wait_alu 0xfffd
	s_delay_alu instid0(VALU_DEP_2) | instskip(NEXT) | instid1(VALU_DEP_1)
	v_div_fmas_f32 v2, v2, v3, v5
	v_div_fixup_f32 v5, v2, v4, v14
	s_delay_alu instid0(VALU_DEP_3) | instskip(NEXT) | instid1(VALU_DEP_2)
	v_mul_f32_e32 v3, v10, v10
	v_fmac_f32_e32 v9, v10, v5
	s_delay_alu instid0(VALU_DEP_2) | instskip(NEXT) | instid1(VALU_DEP_1)
	v_dual_mul_f32 v1, v1, v3 :: v_dual_mov_b32 v2, -1
	v_dual_mov_b32 v3, -1 :: v_dual_fmac_f32 v8, v1, v5
	v_mov_b32_e32 v1, v4
.LBB4_7:
	s_wait_alu 0xfffe
	s_or_b32 exec_lo, exec_lo, s3
	s_delay_alu instid0(VALU_DEP_1)
	v_dual_mov_b32 v14, v1 :: v_dual_mov_b32 v5, v3
	v_mov_b32_e32 v4, v2
	v_mov_b32_e32 v6, v8
	;; [unrolled: 1-line block ×3, first 2 shown]
.LBB4_8:
	s_wait_alu 0xfffe
	s_or_b32 exec_lo, exec_lo, s2
	v_cmp_gt_u32_e32 vcc_lo, 24, v11
	s_mov_b32 s2, exec_lo
	s_wait_alu 0xfffd
	v_cndmask_b32_e64 v1, 0, 8, vcc_lo
	s_delay_alu instid0(VALU_DEP_1)
	v_add_lshl_u32 v8, v1, v11, 2
	s_wait_dscnt 0x4
	ds_bpermute_b32 v13, v8, v12
	s_wait_dscnt 0x4
	ds_bpermute_b32 v10, v8, v6
	;; [unrolled: 2-line block ×5, first 2 shown]
	v_cmpx_neq_f32_e32 0, v14
	s_cbranch_execz .LBB4_12
; %bb.9:
	s_mov_b32 s3, exec_lo
	s_wait_dscnt 0x0
	v_cmpx_neq_f32_e32 0, v15
	s_cbranch_execz .LBB4_11
; %bb.10:
	v_add_f32_e32 v1, v14, v15
	v_add_f32_e32 v6, v6, v10
	s_delay_alu instid0(VALU_DEP_2) | instskip(SKIP_1) | instid1(VALU_DEP_2)
	v_div_scale_f32 v2, null, v1, v1, v15
	v_div_scale_f32 v5, vcc_lo, v15, v1, v15
	v_rcp_f32_e32 v3, v2
	s_delay_alu instid0(TRANS32_DEP_1) | instskip(NEXT) | instid1(VALU_DEP_1)
	v_fma_f32 v4, -v2, v3, 1.0
	v_fmac_f32_e32 v3, v4, v3
	s_delay_alu instid0(VALU_DEP_1) | instskip(NEXT) | instid1(VALU_DEP_1)
	v_mul_f32_e32 v4, v5, v3
	v_fma_f32 v9, -v2, v4, v5
	s_delay_alu instid0(VALU_DEP_1) | instskip(NEXT) | instid1(VALU_DEP_1)
	v_fmac_f32_e32 v4, v9, v3
	v_fma_f32 v2, -v2, v4, v5
	s_wait_alu 0xfffd
	s_delay_alu instid0(VALU_DEP_1) | instskip(SKIP_2) | instid1(VALU_DEP_3)
	v_div_fmas_f32 v2, v2, v3, v4
	v_mov_b32_e32 v4, -1
	v_mov_b32_e32 v5, -1
	v_div_fixup_f32 v2, v2, v1, v15
	v_sub_f32_e32 v9, v13, v12
	s_delay_alu instid0(VALU_DEP_1) | instskip(NEXT) | instid1(VALU_DEP_1)
	v_mul_f32_e32 v3, v9, v9
	v_dual_mul_f32 v3, v14, v3 :: v_dual_mov_b32 v14, v1
	s_delay_alu instid0(VALU_DEP_1)
	v_fmac_f32_e32 v6, v3, v2
	v_fmac_f32_e32 v12, v9, v2
.LBB4_11:
	s_wait_alu 0xfffe
	s_or_b32 exec_lo, exec_lo, s3
	s_delay_alu instid0(VALU_DEP_2)
	v_dual_mov_b32 v1, v4 :: v_dual_mov_b32 v10, v6
	v_dual_mov_b32 v15, v14 :: v_dual_mov_b32 v2, v5
	v_mov_b32_e32 v13, v12
.LBB4_12:
	s_wait_alu 0xfffe
	s_or_b32 exec_lo, exec_lo, s2
	v_cmp_gt_u32_e32 vcc_lo, 28, v11
	s_mov_b32 s2, exec_lo
	s_wait_alu 0xfffd
	v_cndmask_b32_e64 v3, 0, 4, vcc_lo
	s_delay_alu instid0(VALU_DEP_1)
	v_add_lshl_u32 v9, v3, v11, 2
	s_wait_dscnt 0x4
	ds_bpermute_b32 v14, v9, v13
	s_wait_dscnt 0x4
	ds_bpermute_b32 v12, v9, v10
	;; [unrolled: 2-line block ×5, first 2 shown]
	v_cmpx_neq_f32_e32 0, v15
	s_cbranch_execz .LBB4_16
; %bb.13:
	s_mov_b32 s3, exec_lo
	s_wait_dscnt 0x0
	v_cmpx_neq_f32_e32 0, v16
	s_cbranch_execz .LBB4_15
; %bb.14:
	v_add_f32_e32 v3, v15, v16
	v_add_f32_e32 v10, v10, v12
	s_delay_alu instid0(VALU_DEP_2) | instskip(NEXT) | instid1(VALU_DEP_1)
	v_div_scale_f32 v1, null, v3, v3, v16
	v_rcp_f32_e32 v2, v1
	s_delay_alu instid0(TRANS32_DEP_1) | instskip(NEXT) | instid1(VALU_DEP_1)
	v_fma_f32 v4, -v1, v2, 1.0
	v_fmac_f32_e32 v2, v4, v2
	v_div_scale_f32 v5, vcc_lo, v16, v3, v16
	s_delay_alu instid0(VALU_DEP_1) | instskip(NEXT) | instid1(VALU_DEP_1)
	v_mul_f32_e32 v4, v5, v2
	v_fma_f32 v6, -v1, v4, v5
	s_delay_alu instid0(VALU_DEP_1) | instskip(NEXT) | instid1(VALU_DEP_1)
	v_fmac_f32_e32 v4, v6, v2
	v_fma_f32 v1, -v1, v4, v5
	v_sub_f32_e32 v5, v14, v13
	s_wait_alu 0xfffd
	s_delay_alu instid0(VALU_DEP_2) | instskip(NEXT) | instid1(VALU_DEP_2)
	v_div_fmas_f32 v1, v1, v2, v4
	v_mul_f32_e32 v2, v5, v5
	s_delay_alu instid0(VALU_DEP_2) | instskip(NEXT) | instid1(VALU_DEP_2)
	v_div_fixup_f32 v4, v1, v3, v16
	v_dual_mul_f32 v6, v15, v2 :: v_dual_mov_b32 v1, -1
	v_dual_mov_b32 v2, -1 :: v_dual_mov_b32 v15, v3
	s_delay_alu instid0(VALU_DEP_3) | instskip(NEXT) | instid1(VALU_DEP_3)
	v_fmac_f32_e32 v13, v5, v4
	v_fmac_f32_e32 v10, v6, v4
.LBB4_15:
	s_wait_alu 0xfffe
	s_or_b32 exec_lo, exec_lo, s3
	v_mov_b32_e32 v4, v2
	v_dual_mov_b32 v16, v15 :: v_dual_mov_b32 v3, v1
	v_mov_b32_e32 v12, v10
	v_mov_b32_e32 v14, v13
.LBB4_16:
	s_wait_alu 0xfffe
	s_or_b32 exec_lo, exec_lo, s2
	v_cmp_gt_u32_e32 vcc_lo, 30, v11
	s_mov_b32 s2, exec_lo
	s_wait_alu 0xfffd
	v_cndmask_b32_e64 v1, 0, 2, vcc_lo
	s_delay_alu instid0(VALU_DEP_1)
	v_add_lshl_u32 v10, v1, v11, 2
	s_wait_dscnt 0x4
	ds_bpermute_b32 v15, v10, v14
	s_wait_dscnt 0x4
	ds_bpermute_b32 v13, v10, v12
	;; [unrolled: 2-line block ×5, first 2 shown]
	v_cmpx_neq_f32_e32 0, v16
	s_cbranch_execz .LBB4_20
; %bb.17:
	s_mov_b32 s3, exec_lo
	s_wait_dscnt 0x0
	v_cmpx_neq_f32_e32 0, v17
	s_cbranch_execz .LBB4_19
; %bb.18:
	v_add_f32_e32 v1, v16, v17
	v_add_f32_e32 v12, v12, v13
	s_delay_alu instid0(VALU_DEP_2) | instskip(SKIP_1) | instid1(VALU_DEP_2)
	v_div_scale_f32 v2, null, v1, v1, v17
	v_div_scale_f32 v5, vcc_lo, v17, v1, v17
	v_rcp_f32_e32 v3, v2
	s_delay_alu instid0(TRANS32_DEP_1) | instskip(NEXT) | instid1(VALU_DEP_1)
	v_fma_f32 v4, -v2, v3, 1.0
	v_fmac_f32_e32 v3, v4, v3
	s_delay_alu instid0(VALU_DEP_1) | instskip(NEXT) | instid1(VALU_DEP_1)
	v_mul_f32_e32 v4, v5, v3
	v_fma_f32 v6, -v2, v4, v5
	s_delay_alu instid0(VALU_DEP_1) | instskip(NEXT) | instid1(VALU_DEP_1)
	v_fmac_f32_e32 v4, v6, v3
	v_fma_f32 v2, -v2, v4, v5
	v_sub_f32_e32 v5, v15, v14
	s_wait_alu 0xfffd
	s_delay_alu instid0(VALU_DEP_2) | instskip(NEXT) | instid1(VALU_DEP_1)
	v_div_fmas_f32 v2, v2, v3, v4
	v_div_fixup_f32 v2, v2, v1, v17
	s_delay_alu instid0(VALU_DEP_3) | instskip(NEXT) | instid1(VALU_DEP_2)
	v_mul_f32_e32 v3, v5, v5
	v_fmac_f32_e32 v14, v5, v2
	s_delay_alu instid0(VALU_DEP_2) | instskip(SKIP_2) | instid1(VALU_DEP_3)
	v_dual_mul_f32 v6, v16, v3 :: v_dual_mov_b32 v3, -1
	v_mov_b32_e32 v4, -1
	v_mov_b32_e32 v16, v1
	v_fmac_f32_e32 v12, v6, v2
.LBB4_19:
	s_wait_alu 0xfffe
	s_or_b32 exec_lo, exec_lo, s3
	s_delay_alu instid0(VALU_DEP_2)
	v_dual_mov_b32 v17, v16 :: v_dual_mov_b32 v6, v4
	v_mov_b32_e32 v5, v3
	v_mov_b32_e32 v13, v12
	;; [unrolled: 1-line block ×3, first 2 shown]
.LBB4_20:
	s_wait_alu 0xfffe
	s_or_b32 exec_lo, exec_lo, s2
	v_cmp_ne_u32_e32 vcc_lo, 31, v11
	s_mov_b32 s2, exec_lo
	s_wait_alu 0xfffd
	v_add_co_ci_u32_e64 v1, null, 0, v11, vcc_lo
	s_delay_alu instid0(VALU_DEP_1)
	v_lshlrev_b32_e32 v11, 2, v1
	s_wait_dscnt 0x4
	ds_bpermute_b32 v1, v11, v15
	s_wait_dscnt 0x4
	ds_bpermute_b32 v2, v11, v13
	;; [unrolled: 2-line block ×5, first 2 shown]
	v_cmpx_neq_f32_e32 0, v17
	s_cbranch_execz .LBB4_24
; %bb.21:
	s_mov_b32 s3, exec_lo
	s_wait_dscnt 0x0
	v_cmpx_neq_f32_e32 0, v12
	s_cbranch_execz .LBB4_23
; %bb.22:
	v_add_f32_e32 v3, v17, v12
	v_add_f32_e32 v13, v13, v2
	v_sub_f32_e32 v1, v1, v15
	s_delay_alu instid0(VALU_DEP_3) | instskip(SKIP_1) | instid1(VALU_DEP_2)
	v_div_scale_f32 v4, null, v3, v3, v12
	v_div_scale_f32 v14, vcc_lo, v12, v3, v12
	v_rcp_f32_e32 v5, v4
	s_delay_alu instid0(TRANS32_DEP_1) | instskip(NEXT) | instid1(VALU_DEP_1)
	v_fma_f32 v6, -v4, v5, 1.0
	v_fmac_f32_e32 v5, v6, v5
	s_delay_alu instid0(VALU_DEP_1) | instskip(NEXT) | instid1(VALU_DEP_1)
	v_mul_f32_e32 v6, v14, v5
	v_fma_f32 v16, -v4, v6, v14
	s_delay_alu instid0(VALU_DEP_1) | instskip(NEXT) | instid1(VALU_DEP_1)
	v_fmac_f32_e32 v6, v16, v5
	v_fma_f32 v4, -v4, v6, v14
	s_wait_alu 0xfffd
	s_delay_alu instid0(VALU_DEP_1) | instskip(SKIP_1) | instid1(VALU_DEP_2)
	v_div_fmas_f32 v4, v4, v5, v6
	v_mul_f32_e32 v5, v1, v1
	v_div_fixup_f32 v2, v4, v3, v12
	s_delay_alu instid0(VALU_DEP_2) | instskip(SKIP_1) | instid1(VALU_DEP_3)
	v_dual_mul_f32 v4, v17, v5 :: v_dual_mov_b32 v5, -1
	v_dual_mov_b32 v6, -1 :: v_dual_mov_b32 v17, v3
	v_fmac_f32_e32 v15, v1, v2
	s_delay_alu instid0(VALU_DEP_3)
	v_fmac_f32_e32 v13, v4, v2
.LBB4_23:
	s_wait_alu 0xfffe
	s_or_b32 exec_lo, exec_lo, s3
	v_dual_mov_b32 v12, v17 :: v_dual_mov_b32 v3, v5
	v_dual_mov_b32 v4, v6 :: v_dual_mov_b32 v1, v15
	v_mov_b32_e32 v2, v13
.LBB4_24:
	s_wait_alu 0xfffe
	s_or_b32 exec_lo, exec_lo, s2
	v_and_b32_e32 v5, 31, v0
	s_mov_b32 s2, exec_lo
	s_wait_dscnt 0x0
	s_barrier_signal -1
	s_barrier_wait -1
	global_inv scope:SCOPE_SE
	v_cmpx_eq_u32_e32 0, v5
	s_cbranch_execz .LBB4_26
; %bb.25:
	v_lshrrev_b32_e32 v6, 5, v0
	s_delay_alu instid0(VALU_DEP_1)
	v_mul_u32_u24_e32 v6, 24, v6
	ds_store_2addr_b64 v6, v[1:2], v[3:4] offset1:1
	ds_store_b32 v6, v12 offset:16
.LBB4_26:
	s_wait_alu 0xfffe
	s_or_b32 exec_lo, exec_lo, s2
	s_wait_loadcnt_dscnt 0x0
	s_barrier_signal -1
	s_barrier_wait -1
	global_inv scope:SCOPE_SE
	s_load_b32 s2, s[0:1], 0x34
	v_mul_u32_u24_e32 v4, 24, v5
	v_dual_mov_b32 v2, 0 :: v_dual_mov_b32 v1, 0
	s_wait_kmcnt 0x0
	s_bfe_u32 s2, s2, 0xb0005
	s_wait_alu 0xfffe
	v_cmp_gt_u32_e32 vcc_lo, s2, v0
	s_and_saveexec_b32 s2, vcc_lo
	s_cbranch_execnz .LBB4_55
; %bb.27:
	s_wait_alu 0xfffe
	s_or_b32 exec_lo, exec_lo, s2
	s_and_saveexec_b32 s2, vcc_lo
	s_cbranch_execnz .LBB4_56
.LBB4_28:
	s_wait_alu 0xfffe
	s_or_b32 exec_lo, exec_lo, s2
	v_mov_b32_e32 v3, 0
	s_and_saveexec_b32 s2, vcc_lo
.LBB4_29:
	ds_load_b32 v3, v4 offset:16
.LBB4_30:
	s_wait_alu 0xfffe
	s_or_b32 exec_lo, exec_lo, s2
	s_delay_alu instid0(SALU_CYCLE_1)
	s_mov_b32 s2, exec_lo
	v_cmpx_gt_u32_e32 32, v0
	s_cbranch_execz .LBB4_52
; %bb.31:
	s_wait_dscnt 0x0
	ds_bpermute_b32 v6, v7, v1
	ds_bpermute_b32 v4, v7, v2
	;; [unrolled: 1-line block ×3, first 2 shown]
	s_mov_b32 s3, exec_lo
	v_cmpx_neq_f32_e32 0, v3
	s_cbranch_execz .LBB4_35
; %bb.32:
	s_mov_b32 s4, exec_lo
	s_wait_dscnt 0x0
	v_cmpx_neq_f32_e32 0, v5
	s_cbranch_execz .LBB4_34
; %bb.33:
	v_dual_add_f32 v7, v3, v5 :: v_dual_add_f32 v2, v2, v4
	v_sub_f32_e32 v6, v6, v1
	s_delay_alu instid0(VALU_DEP_2) | instskip(SKIP_1) | instid1(VALU_DEP_2)
	v_div_scale_f32 v12, null, v7, v7, v5
	v_div_scale_f32 v15, vcc_lo, v5, v7, v5
	v_rcp_f32_e32 v13, v12
	s_delay_alu instid0(TRANS32_DEP_1) | instskip(NEXT) | instid1(VALU_DEP_1)
	v_fma_f32 v14, -v12, v13, 1.0
	v_fmac_f32_e32 v13, v14, v13
	s_delay_alu instid0(VALU_DEP_1) | instskip(NEXT) | instid1(VALU_DEP_1)
	v_mul_f32_e32 v14, v15, v13
	v_fma_f32 v16, -v12, v14, v15
	s_delay_alu instid0(VALU_DEP_1) | instskip(NEXT) | instid1(VALU_DEP_1)
	v_fmac_f32_e32 v14, v16, v13
	v_fma_f32 v12, -v12, v14, v15
	s_wait_alu 0xfffd
	s_delay_alu instid0(VALU_DEP_1) | instskip(SKIP_1) | instid1(VALU_DEP_2)
	v_div_fmas_f32 v12, v12, v13, v14
	v_mul_f32_e32 v13, v6, v6
	v_div_fixup_f32 v4, v12, v7, v5
	s_delay_alu instid0(VALU_DEP_2) | instskip(NEXT) | instid1(VALU_DEP_1)
	v_mul_f32_e32 v3, v3, v13
	v_fmac_f32_e32 v2, v3, v4
	v_mov_b32_e32 v3, v7
	v_fmac_f32_e32 v1, v6, v4
.LBB4_34:
	s_wait_alu 0xfffe
	s_or_b32 exec_lo, exec_lo, s4
	s_delay_alu instid0(VALU_DEP_2) | instskip(NEXT) | instid1(VALU_DEP_2)
	v_dual_mov_b32 v5, v3 :: v_dual_mov_b32 v4, v2
	v_mov_b32_e32 v6, v1
.LBB4_35:
	s_wait_alu 0xfffe
	s_or_b32 exec_lo, exec_lo, s3
	s_wait_dscnt 0x2
	ds_bpermute_b32 v7, v8, v6
	s_wait_dscnt 0x2
	ds_bpermute_b32 v1, v8, v4
	;; [unrolled: 2-line block ×3, first 2 shown]
	s_mov_b32 s3, exec_lo
	v_cmpx_neq_f32_e32 0, v5
	s_cbranch_execz .LBB4_39
; %bb.36:
	s_mov_b32 s4, exec_lo
	s_wait_dscnt 0x0
	v_cmpx_neq_f32_e32 0, v3
	s_cbranch_execz .LBB4_38
; %bb.37:
	v_dual_add_f32 v2, v5, v3 :: v_dual_sub_f32 v7, v7, v6
	v_add_f32_e32 v4, v4, v1
	s_delay_alu instid0(VALU_DEP_2) | instskip(SKIP_1) | instid1(VALU_DEP_2)
	v_div_scale_f32 v8, null, v2, v2, v3
	v_div_scale_f32 v14, vcc_lo, v3, v2, v3
	v_rcp_f32_e32 v12, v8
	s_delay_alu instid0(TRANS32_DEP_1) | instskip(NEXT) | instid1(VALU_DEP_1)
	v_fma_f32 v13, -v8, v12, 1.0
	v_fmac_f32_e32 v12, v13, v12
	s_delay_alu instid0(VALU_DEP_1) | instskip(NEXT) | instid1(VALU_DEP_1)
	v_mul_f32_e32 v13, v14, v12
	v_fma_f32 v15, -v8, v13, v14
	s_delay_alu instid0(VALU_DEP_1) | instskip(NEXT) | instid1(VALU_DEP_1)
	v_fmac_f32_e32 v13, v15, v12
	v_fma_f32 v8, -v8, v13, v14
	s_wait_alu 0xfffd
	s_delay_alu instid0(VALU_DEP_1) | instskip(SKIP_1) | instid1(VALU_DEP_2)
	v_div_fmas_f32 v8, v8, v12, v13
	v_mul_f32_e32 v12, v7, v7
	v_div_fixup_f32 v1, v8, v2, v3
	s_delay_alu instid0(VALU_DEP_2) | instskip(NEXT) | instid1(VALU_DEP_2)
	v_mul_f32_e32 v3, v5, v12
	v_dual_mov_b32 v5, v2 :: v_dual_fmac_f32 v6, v7, v1
	s_delay_alu instid0(VALU_DEP_2)
	v_fmac_f32_e32 v4, v3, v1
.LBB4_38:
	s_wait_alu 0xfffe
	s_or_b32 exec_lo, exec_lo, s4
	s_delay_alu instid0(VALU_DEP_2) | instskip(NEXT) | instid1(VALU_DEP_2)
	v_mov_b32_e32 v3, v5
	v_mov_b32_e32 v1, v4
	;; [unrolled: 1-line block ×3, first 2 shown]
.LBB4_39:
	s_wait_alu 0xfffe
	s_or_b32 exec_lo, exec_lo, s3
	s_wait_dscnt 0x2
	ds_bpermute_b32 v8, v9, v7
	s_wait_dscnt 0x2
	ds_bpermute_b32 v2, v9, v1
	;; [unrolled: 2-line block ×3, first 2 shown]
	s_mov_b32 s3, exec_lo
	v_cmpx_neq_f32_e32 0, v3
	s_cbranch_execz .LBB4_43
; %bb.40:
	s_mov_b32 s4, exec_lo
	s_wait_dscnt 0x0
	v_cmpx_neq_f32_e32 0, v6
	s_cbranch_execz .LBB4_42
; %bb.41:
	v_add_f32_e32 v4, v3, v6
	v_dual_sub_f32 v8, v8, v7 :: v_dual_add_f32 v1, v1, v2
	s_delay_alu instid0(VALU_DEP_2) | instskip(NEXT) | instid1(VALU_DEP_1)
	v_div_scale_f32 v5, null, v4, v4, v6
	v_rcp_f32_e32 v9, v5
	s_delay_alu instid0(TRANS32_DEP_1) | instskip(NEXT) | instid1(VALU_DEP_1)
	v_fma_f32 v12, -v5, v9, 1.0
	v_fmac_f32_e32 v9, v12, v9
	v_div_scale_f32 v13, vcc_lo, v6, v4, v6
	s_delay_alu instid0(VALU_DEP_1) | instskip(NEXT) | instid1(VALU_DEP_1)
	v_mul_f32_e32 v12, v13, v9
	v_fma_f32 v14, -v5, v12, v13
	s_delay_alu instid0(VALU_DEP_1) | instskip(NEXT) | instid1(VALU_DEP_1)
	v_fmac_f32_e32 v12, v14, v9
	v_fma_f32 v5, -v5, v12, v13
	s_wait_alu 0xfffd
	s_delay_alu instid0(VALU_DEP_1) | instskip(SKIP_1) | instid1(VALU_DEP_2)
	v_div_fmas_f32 v5, v5, v9, v12
	v_mul_f32_e32 v9, v8, v8
	v_div_fixup_f32 v2, v5, v4, v6
	s_delay_alu instid0(VALU_DEP_2) | instskip(NEXT) | instid1(VALU_DEP_2)
	v_mul_f32_e32 v3, v3, v9
	v_fmac_f32_e32 v7, v8, v2
	s_delay_alu instid0(VALU_DEP_2)
	v_fmac_f32_e32 v1, v3, v2
	v_mov_b32_e32 v3, v4
.LBB4_42:
	s_wait_alu 0xfffe
	s_or_b32 exec_lo, exec_lo, s4
	s_delay_alu instid0(VALU_DEP_1)
	v_mov_b32_e32 v6, v3
	v_mov_b32_e32 v2, v1
	;; [unrolled: 1-line block ×3, first 2 shown]
.LBB4_43:
	s_wait_alu 0xfffe
	s_or_b32 exec_lo, exec_lo, s3
	s_wait_dscnt 0x2
	ds_bpermute_b32 v7, v10, v8
	s_wait_dscnt 0x2
	ds_bpermute_b32 v4, v10, v2
	;; [unrolled: 2-line block ×3, first 2 shown]
	s_mov_b32 s3, exec_lo
	v_cmpx_neq_f32_e32 0, v6
	s_cbranch_execz .LBB4_47
; %bb.44:
	s_mov_b32 s4, exec_lo
	s_wait_dscnt 0x0
	v_cmpx_neq_f32_e32 0, v5
	s_cbranch_execz .LBB4_46
; %bb.45:
	v_sub_f32_e32 v7, v7, v8
	v_add_f32_e32 v1, v6, v5
	v_add_f32_e32 v2, v2, v4
	s_delay_alu instid0(VALU_DEP_2) | instskip(SKIP_1) | instid1(VALU_DEP_2)
	v_div_scale_f32 v3, null, v1, v1, v5
	v_div_scale_f32 v12, vcc_lo, v5, v1, v5
	v_rcp_f32_e32 v9, v3
	s_delay_alu instid0(TRANS32_DEP_1) | instskip(NEXT) | instid1(VALU_DEP_1)
	v_fma_f32 v10, -v3, v9, 1.0
	v_fmac_f32_e32 v9, v10, v9
	s_delay_alu instid0(VALU_DEP_1) | instskip(NEXT) | instid1(VALU_DEP_1)
	v_mul_f32_e32 v10, v12, v9
	v_fma_f32 v13, -v3, v10, v12
	s_delay_alu instid0(VALU_DEP_1) | instskip(NEXT) | instid1(VALU_DEP_1)
	v_fmac_f32_e32 v10, v13, v9
	v_fma_f32 v3, -v3, v10, v12
	s_wait_alu 0xfffd
	s_delay_alu instid0(VALU_DEP_1) | instskip(SKIP_1) | instid1(VALU_DEP_2)
	v_div_fmas_f32 v3, v3, v9, v10
	v_mul_f32_e32 v9, v7, v7
	v_div_fixup_f32 v3, v3, v1, v5
	s_delay_alu instid0(VALU_DEP_2) | instskip(NEXT) | instid1(VALU_DEP_2)
	v_mul_f32_e32 v4, v6, v9
	v_fmac_f32_e32 v8, v7, v3
	s_delay_alu instid0(VALU_DEP_2)
	v_fmac_f32_e32 v2, v4, v3
	v_mov_b32_e32 v6, v1
.LBB4_46:
	s_wait_alu 0xfffe
	s_or_b32 exec_lo, exec_lo, s4
	s_delay_alu instid0(VALU_DEP_1)
	v_dual_mov_b32 v5, v6 :: v_dual_mov_b32 v4, v2
	v_mov_b32_e32 v7, v8
.LBB4_47:
	s_wait_alu 0xfffe
	s_or_b32 exec_lo, exec_lo, s3
	s_wait_dscnt 0x2
	ds_bpermute_b32 v1, v11, v7
	s_wait_dscnt 0x2
	ds_bpermute_b32 v2, v11, v4
	;; [unrolled: 2-line block ×3, first 2 shown]
	s_mov_b32 s3, exec_lo
	v_cmpx_neq_f32_e32 0, v5
	s_cbranch_execz .LBB4_51
; %bb.48:
	s_mov_b32 s4, exec_lo
	s_wait_dscnt 0x0
	v_cmpx_neq_f32_e32 0, v3
	s_cbranch_execz .LBB4_50
; %bb.49:
	v_add_f32_e32 v6, v5, v3
	v_dual_sub_f32 v1, v1, v7 :: v_dual_add_f32 v4, v4, v2
	s_delay_alu instid0(VALU_DEP_2) | instskip(NEXT) | instid1(VALU_DEP_1)
	v_div_scale_f32 v8, null, v6, v6, v3
	v_rcp_f32_e32 v9, v8
	s_delay_alu instid0(TRANS32_DEP_1) | instskip(NEXT) | instid1(VALU_DEP_1)
	v_fma_f32 v10, -v8, v9, 1.0
	v_fmac_f32_e32 v9, v10, v9
	v_div_scale_f32 v11, vcc_lo, v3, v6, v3
	s_delay_alu instid0(VALU_DEP_1) | instskip(NEXT) | instid1(VALU_DEP_1)
	v_mul_f32_e32 v10, v11, v9
	v_fma_f32 v12, -v8, v10, v11
	s_delay_alu instid0(VALU_DEP_1) | instskip(NEXT) | instid1(VALU_DEP_1)
	v_fmac_f32_e32 v10, v12, v9
	v_fma_f32 v8, -v8, v10, v11
	s_wait_alu 0xfffd
	s_delay_alu instid0(VALU_DEP_1) | instskip(SKIP_1) | instid1(VALU_DEP_2)
	v_div_fmas_f32 v8, v8, v9, v10
	v_mul_f32_e32 v9, v1, v1
	v_div_fixup_f32 v2, v8, v6, v3
	s_delay_alu instid0(VALU_DEP_2) | instskip(SKIP_1) | instid1(VALU_DEP_3)
	v_mul_f32_e32 v3, v5, v9
	v_mov_b32_e32 v5, v6
	v_fmac_f32_e32 v7, v1, v2
	s_delay_alu instid0(VALU_DEP_3)
	v_fmac_f32_e32 v4, v3, v2
.LBB4_50:
	s_wait_alu 0xfffe
	s_or_b32 exec_lo, exec_lo, s4
	s_delay_alu instid0(VALU_DEP_1)
	v_dual_mov_b32 v3, v5 :: v_dual_mov_b32 v2, v4
	v_mov_b32_e32 v1, v7
.LBB4_51:
	s_wait_alu 0xfffe
	s_or_b32 exec_lo, exec_lo, s3
.LBB4_52:
	s_wait_alu 0xfffe
	s_or_b32 exec_lo, exec_lo, s2
	s_delay_alu instid0(SALU_CYCLE_1)
	s_mov_b32 s2, exec_lo
	v_cmpx_eq_u32_e32 0, v0
	s_cbranch_execz .LBB4_54
; %bb.53:
	s_wait_dscnt 0x0
	v_max_num_f32_e32 v0, v3, v3
	s_load_b32 s0, s[0:1], 0x8
	s_delay_alu instid0(VALU_DEP_1) | instskip(NEXT) | instid1(VALU_DEP_1)
	v_max_num_f32_e32 v0, 0, v0
	v_div_scale_f32 v3, null, v0, v0, v2
	s_delay_alu instid0(VALU_DEP_1) | instskip(NEXT) | instid1(TRANS32_DEP_1)
	v_rcp_f32_e32 v4, v3
	v_fma_f32 v5, -v3, v4, 1.0
	s_delay_alu instid0(VALU_DEP_1) | instskip(SKIP_1) | instid1(VALU_DEP_1)
	v_fmac_f32_e32 v4, v5, v4
	v_div_scale_f32 v5, vcc_lo, v2, v0, v2
	v_mul_f32_e32 v6, v5, v4
	s_delay_alu instid0(VALU_DEP_1) | instskip(NEXT) | instid1(VALU_DEP_1)
	v_fma_f32 v7, -v3, v6, v5
	v_fmac_f32_e32 v6, v7, v4
	s_delay_alu instid0(VALU_DEP_1) | instskip(SKIP_1) | instid1(VALU_DEP_1)
	v_fma_f32 v3, -v3, v6, v5
	s_wait_alu 0xfffd
	v_div_fmas_f32 v3, v3, v4, v6
	s_delay_alu instid0(VALU_DEP_1) | instskip(SKIP_1) | instid1(VALU_DEP_1)
	v_div_fixup_f32 v0, v3, v0, v2
	s_wait_kmcnt 0x0
	v_dual_mov_b32 v3, 0 :: v_dual_add_f32 v0, s0, v0
	s_lshl_b64 s[0:1], s[10:11], 2
	s_wait_alu 0xfffe
	s_add_nc_u64 s[2:3], s[6:7], s[0:1]
	s_add_nc_u64 s[0:1], s[8:9], s[0:1]
	v_mul_f32_e32 v2, 0x4b800000, v0
	v_cmp_gt_f32_e32 vcc_lo, 0x800000, v0
	s_wait_alu 0xfffd
	s_delay_alu instid0(VALU_DEP_2) | instskip(NEXT) | instid1(VALU_DEP_1)
	v_cndmask_b32_e32 v0, v0, v2, vcc_lo
	v_rsq_f32_e32 v0, v0
	s_delay_alu instid0(TRANS32_DEP_1) | instskip(NEXT) | instid1(VALU_DEP_1)
	v_mul_f32_e32 v2, 0x45800000, v0
	v_cndmask_b32_e32 v0, v0, v2, vcc_lo
	s_clause 0x1
	global_store_b32 v3, v1, s[2:3]
	global_store_b32 v3, v0, s[0:1]
.LBB4_54:
	s_endpgm
.LBB4_55:
	ds_load_b32 v1, v4
	s_wait_alu 0xfffe
	s_or_b32 exec_lo, exec_lo, s2
	s_and_saveexec_b32 s2, vcc_lo
	s_cbranch_execz .LBB4_28
.LBB4_56:
	ds_load_b32 v2, v4 offset:4
	s_wait_alu 0xfffe
	s_or_b32 exec_lo, exec_lo, s2
	v_mov_b32_e32 v3, 0
	s_and_saveexec_b32 s2, vcc_lo
	s_cbranch_execnz .LBB4_29
	s_branch .LBB4_30
	.section	.rodata,"a",@progbits
	.p2align	6, 0x0
	.amdhsa_kernel _ZN2at6native12_GLOBAL__N_124RowwiseMomentsCUDAKernelIffLb0EEEvlT0_PKT_PS3_S7_
		.amdhsa_group_segment_fixed_size 768
		.amdhsa_private_segment_fixed_size 0
		.amdhsa_kernarg_size 296
		.amdhsa_user_sgpr_count 2
		.amdhsa_user_sgpr_dispatch_ptr 0
		.amdhsa_user_sgpr_queue_ptr 0
		.amdhsa_user_sgpr_kernarg_segment_ptr 1
		.amdhsa_user_sgpr_dispatch_id 0
		.amdhsa_user_sgpr_private_segment_size 0
		.amdhsa_wavefront_size32 1
		.amdhsa_uses_dynamic_stack 0
		.amdhsa_enable_private_segment 0
		.amdhsa_system_sgpr_workgroup_id_x 1
		.amdhsa_system_sgpr_workgroup_id_y 0
		.amdhsa_system_sgpr_workgroup_id_z 0
		.amdhsa_system_sgpr_workgroup_info 0
		.amdhsa_system_vgpr_workitem_id 0
		.amdhsa_next_free_vgpr 18
		.amdhsa_next_free_sgpr 20
		.amdhsa_reserve_vcc 1
		.amdhsa_float_round_mode_32 0
		.amdhsa_float_round_mode_16_64 0
		.amdhsa_float_denorm_mode_32 3
		.amdhsa_float_denorm_mode_16_64 3
		.amdhsa_fp16_overflow 0
		.amdhsa_workgroup_processor_mode 1
		.amdhsa_memory_ordered 1
		.amdhsa_forward_progress 1
		.amdhsa_inst_pref_size 28
		.amdhsa_round_robin_scheduling 0
		.amdhsa_exception_fp_ieee_invalid_op 0
		.amdhsa_exception_fp_denorm_src 0
		.amdhsa_exception_fp_ieee_div_zero 0
		.amdhsa_exception_fp_ieee_overflow 0
		.amdhsa_exception_fp_ieee_underflow 0
		.amdhsa_exception_fp_ieee_inexact 0
		.amdhsa_exception_int_div_zero 0
	.end_amdhsa_kernel
	.section	.text._ZN2at6native12_GLOBAL__N_124RowwiseMomentsCUDAKernelIffLb0EEEvlT0_PKT_PS3_S7_,"axG",@progbits,_ZN2at6native12_GLOBAL__N_124RowwiseMomentsCUDAKernelIffLb0EEEvlT0_PKT_PS3_S7_,comdat
.Lfunc_end4:
	.size	_ZN2at6native12_GLOBAL__N_124RowwiseMomentsCUDAKernelIffLb0EEEvlT0_PKT_PS3_S7_, .Lfunc_end4-_ZN2at6native12_GLOBAL__N_124RowwiseMomentsCUDAKernelIffLb0EEEvlT0_PKT_PS3_S7_
                                        ; -- End function
	.set _ZN2at6native12_GLOBAL__N_124RowwiseMomentsCUDAKernelIffLb0EEEvlT0_PKT_PS3_S7_.num_vgpr, 18
	.set _ZN2at6native12_GLOBAL__N_124RowwiseMomentsCUDAKernelIffLb0EEEvlT0_PKT_PS3_S7_.num_agpr, 0
	.set _ZN2at6native12_GLOBAL__N_124RowwiseMomentsCUDAKernelIffLb0EEEvlT0_PKT_PS3_S7_.numbered_sgpr, 20
	.set _ZN2at6native12_GLOBAL__N_124RowwiseMomentsCUDAKernelIffLb0EEEvlT0_PKT_PS3_S7_.num_named_barrier, 0
	.set _ZN2at6native12_GLOBAL__N_124RowwiseMomentsCUDAKernelIffLb0EEEvlT0_PKT_PS3_S7_.private_seg_size, 0
	.set _ZN2at6native12_GLOBAL__N_124RowwiseMomentsCUDAKernelIffLb0EEEvlT0_PKT_PS3_S7_.uses_vcc, 1
	.set _ZN2at6native12_GLOBAL__N_124RowwiseMomentsCUDAKernelIffLb0EEEvlT0_PKT_PS3_S7_.uses_flat_scratch, 0
	.set _ZN2at6native12_GLOBAL__N_124RowwiseMomentsCUDAKernelIffLb0EEEvlT0_PKT_PS3_S7_.has_dyn_sized_stack, 0
	.set _ZN2at6native12_GLOBAL__N_124RowwiseMomentsCUDAKernelIffLb0EEEvlT0_PKT_PS3_S7_.has_recursion, 0
	.set _ZN2at6native12_GLOBAL__N_124RowwiseMomentsCUDAKernelIffLb0EEEvlT0_PKT_PS3_S7_.has_indirect_call, 0
	.section	.AMDGPU.csdata,"",@progbits
; Kernel info:
; codeLenInByte = 3584
; TotalNumSgprs: 22
; NumVgprs: 18
; ScratchSize: 0
; MemoryBound: 0
; FloatMode: 240
; IeeeMode: 1
; LDSByteSize: 768 bytes/workgroup (compile time only)
; SGPRBlocks: 0
; VGPRBlocks: 2
; NumSGPRsForWavesPerEU: 22
; NumVGPRsForWavesPerEU: 18
; Occupancy: 16
; WaveLimiterHint : 0
; COMPUTE_PGM_RSRC2:SCRATCH_EN: 0
; COMPUTE_PGM_RSRC2:USER_SGPR: 2
; COMPUTE_PGM_RSRC2:TRAP_HANDLER: 0
; COMPUTE_PGM_RSRC2:TGID_X_EN: 1
; COMPUTE_PGM_RSRC2:TGID_Y_EN: 0
; COMPUTE_PGM_RSRC2:TGID_Z_EN: 0
; COMPUTE_PGM_RSRC2:TIDIG_COMP_CNT: 0
	.section	.text._ZN2at6native12_GLOBAL__N_126LayerNormForwardCUDAKernelIffLb0EEEvlPKT_PKT0_S8_S5_S5_PS3_,"axG",@progbits,_ZN2at6native12_GLOBAL__N_126LayerNormForwardCUDAKernelIffLb0EEEvlPKT_PKT0_S8_S5_S5_PS3_,comdat
	.globl	_ZN2at6native12_GLOBAL__N_126LayerNormForwardCUDAKernelIffLb0EEEvlPKT_PKT0_S8_S5_S5_PS3_ ; -- Begin function _ZN2at6native12_GLOBAL__N_126LayerNormForwardCUDAKernelIffLb0EEEvlPKT_PKT0_S8_S5_S5_PS3_
	.p2align	8
	.type	_ZN2at6native12_GLOBAL__N_126LayerNormForwardCUDAKernelIffLb0EEEvlPKT_PKT0_S8_S5_S5_PS3_,@function
_ZN2at6native12_GLOBAL__N_126LayerNormForwardCUDAKernelIffLb0EEEvlPKT_PKT0_S8_S5_S5_PS3_: ; @_ZN2at6native12_GLOBAL__N_126LayerNormForwardCUDAKernelIffLb0EEEvlPKT_PKT0_S8_S5_S5_PS3_
; %bb.0:
	s_load_b256 s[4:11], s[0:1], 0x0
	v_mov_b32_e32 v1, 0
	s_mov_b32 s2, exec_lo
	s_wait_kmcnt 0x0
	s_delay_alu instid0(VALU_DEP_1)
	v_cmpx_gt_i64_e64 s[4:5], v[0:1]
	s_cbranch_execz .LBB5_8
; %bb.1:
	s_clause 0x1
	s_load_b256 s[12:19], s[0:1], 0x20
	s_load_b32 s0, s[0:1], 0x44
	s_mov_b32 s2, ttmp9
	s_mov_b32 s3, 0
	v_dual_mov_b32 v5, v1 :: v_dual_lshlrev_b32 v4, 2, v0
	s_mul_u64 s[20:21], s[4:5], s[2:3]
	v_dual_mov_b32 v3, v1 :: v_dual_mov_b32 v2, v0
	s_wait_kmcnt 0x0
	s_cmp_lg_u64 s[12:13], 0
	s_cselect_b32 s1, -1, 0
	s_cmp_lg_u64 s[14:15], 0
	s_cselect_b32 s18, -1, 0
	s_lshl_b64 s[22:23], s[2:3], 2
	s_and_b32 s2, s0, 0xffff
	s_lshl_b64 s[20:21], s[20:21], 2
	s_add_nc_u64 s[8:9], s[8:9], s[22:23]
	s_add_nc_u64 s[10:11], s[10:11], s[22:23]
	;; [unrolled: 1-line block ×3, first 2 shown]
	s_lshl_b32 s19, s2, 2
	s_add_nc_u64 s[16:17], s[16:17], s[20:21]
	s_branch .LBB5_4
.LBB5_2:                                ;   in Loop: Header=BB5_4 Depth=1
	v_add_co_u32 v6, vcc_lo, s14, v4
	s_wait_alu 0xfffd
	v_add_co_ci_u32_e64 v7, null, s15, v5, vcc_lo
	global_load_b32 v6, v[6:7], off
.LBB5_3:                                ;   in Loop: Header=BB5_4 Depth=1
	v_add_co_u32 v7, vcc_lo, s6, v4
	s_wait_alu 0xfffd
	v_add_co_ci_u32_e64 v8, null, s7, v5, vcc_lo
	v_add_co_u32 v2, vcc_lo, v2, s2
	s_wait_alu 0xfffd
	v_add_co_ci_u32_e64 v3, null, 0, v3, vcc_lo
	global_load_b32 v7, v[7:8], off
	s_clause 0x1
	global_load_b32 v8, v1, s[8:9]
	global_load_b32 v9, v1, s[10:11]
	s_wait_loadcnt 0x1
	v_sub_f32_e32 v7, v7, v8
	s_wait_loadcnt 0x0
	s_delay_alu instid0(VALU_DEP_1)
	v_mul_f32_e32 v9, v7, v9
	v_add_co_u32 v7, vcc_lo, s16, v4
	s_wait_alu 0xfffd
	v_add_co_ci_u32_e64 v8, null, s17, v5, vcc_lo
	v_cmp_le_i64_e32 vcc_lo, s[4:5], v[2:3]
	v_add_co_u32 v4, s0, v4, s19
	v_fmac_f32_e32 v6, v0, v9
	s_wait_alu 0xf1ff
	v_add_co_ci_u32_e64 v5, null, 0, v5, s0
	s_or_b32 s3, vcc_lo, s3
	global_store_b32 v[7:8], v6, off
	s_wait_alu 0xfffe
	s_and_not1_b32 exec_lo, exec_lo, s3
	s_cbranch_execz .LBB5_8
.LBB5_4:                                ; =>This Inner Loop Header: Depth=1
	s_and_not1_b32 vcc_lo, exec_lo, s1
	s_wait_alu 0xfffe
	s_cbranch_vccnz .LBB5_6
; %bb.5:                                ;   in Loop: Header=BB5_4 Depth=1
	v_add_co_u32 v6, vcc_lo, s12, v4
	s_wait_alu 0xfffd
	v_add_co_ci_u32_e64 v7, null, s13, v5, vcc_lo
	global_load_b32 v0, v[6:7], off
	s_and_not1_b32 vcc_lo, exec_lo, s18
	s_wait_alu 0xfffe
	s_cbranch_vccz .LBB5_2
	s_branch .LBB5_7
.LBB5_6:                                ;   in Loop: Header=BB5_4 Depth=1
	v_mov_b32_e32 v0, 1.0
	s_and_not1_b32 vcc_lo, exec_lo, s18
	s_wait_alu 0xfffe
	s_cbranch_vccz .LBB5_2
.LBB5_7:                                ;   in Loop: Header=BB5_4 Depth=1
	v_mov_b32_e32 v6, 0
	s_branch .LBB5_3
.LBB5_8:
	s_endpgm
	.section	.rodata,"a",@progbits
	.p2align	6, 0x0
	.amdhsa_kernel _ZN2at6native12_GLOBAL__N_126LayerNormForwardCUDAKernelIffLb0EEEvlPKT_PKT0_S8_S5_S5_PS3_
		.amdhsa_group_segment_fixed_size 0
		.amdhsa_private_segment_fixed_size 0
		.amdhsa_kernarg_size 312
		.amdhsa_user_sgpr_count 2
		.amdhsa_user_sgpr_dispatch_ptr 0
		.amdhsa_user_sgpr_queue_ptr 0
		.amdhsa_user_sgpr_kernarg_segment_ptr 1
		.amdhsa_user_sgpr_dispatch_id 0
		.amdhsa_user_sgpr_private_segment_size 0
		.amdhsa_wavefront_size32 1
		.amdhsa_uses_dynamic_stack 0
		.amdhsa_enable_private_segment 0
		.amdhsa_system_sgpr_workgroup_id_x 1
		.amdhsa_system_sgpr_workgroup_id_y 0
		.amdhsa_system_sgpr_workgroup_id_z 0
		.amdhsa_system_sgpr_workgroup_info 0
		.amdhsa_system_vgpr_workitem_id 0
		.amdhsa_next_free_vgpr 10
		.amdhsa_next_free_sgpr 24
		.amdhsa_reserve_vcc 1
		.amdhsa_float_round_mode_32 0
		.amdhsa_float_round_mode_16_64 0
		.amdhsa_float_denorm_mode_32 3
		.amdhsa_float_denorm_mode_16_64 3
		.amdhsa_fp16_overflow 0
		.amdhsa_workgroup_processor_mode 1
		.amdhsa_memory_ordered 1
		.amdhsa_forward_progress 1
		.amdhsa_inst_pref_size 4
		.amdhsa_round_robin_scheduling 0
		.amdhsa_exception_fp_ieee_invalid_op 0
		.amdhsa_exception_fp_denorm_src 0
		.amdhsa_exception_fp_ieee_div_zero 0
		.amdhsa_exception_fp_ieee_overflow 0
		.amdhsa_exception_fp_ieee_underflow 0
		.amdhsa_exception_fp_ieee_inexact 0
		.amdhsa_exception_int_div_zero 0
	.end_amdhsa_kernel
	.section	.text._ZN2at6native12_GLOBAL__N_126LayerNormForwardCUDAKernelIffLb0EEEvlPKT_PKT0_S8_S5_S5_PS3_,"axG",@progbits,_ZN2at6native12_GLOBAL__N_126LayerNormForwardCUDAKernelIffLb0EEEvlPKT_PKT0_S8_S5_S5_PS3_,comdat
.Lfunc_end5:
	.size	_ZN2at6native12_GLOBAL__N_126LayerNormForwardCUDAKernelIffLb0EEEvlPKT_PKT0_S8_S5_S5_PS3_, .Lfunc_end5-_ZN2at6native12_GLOBAL__N_126LayerNormForwardCUDAKernelIffLb0EEEvlPKT_PKT0_S8_S5_S5_PS3_
                                        ; -- End function
	.set _ZN2at6native12_GLOBAL__N_126LayerNormForwardCUDAKernelIffLb0EEEvlPKT_PKT0_S8_S5_S5_PS3_.num_vgpr, 10
	.set _ZN2at6native12_GLOBAL__N_126LayerNormForwardCUDAKernelIffLb0EEEvlPKT_PKT0_S8_S5_S5_PS3_.num_agpr, 0
	.set _ZN2at6native12_GLOBAL__N_126LayerNormForwardCUDAKernelIffLb0EEEvlPKT_PKT0_S8_S5_S5_PS3_.numbered_sgpr, 24
	.set _ZN2at6native12_GLOBAL__N_126LayerNormForwardCUDAKernelIffLb0EEEvlPKT_PKT0_S8_S5_S5_PS3_.num_named_barrier, 0
	.set _ZN2at6native12_GLOBAL__N_126LayerNormForwardCUDAKernelIffLb0EEEvlPKT_PKT0_S8_S5_S5_PS3_.private_seg_size, 0
	.set _ZN2at6native12_GLOBAL__N_126LayerNormForwardCUDAKernelIffLb0EEEvlPKT_PKT0_S8_S5_S5_PS3_.uses_vcc, 1
	.set _ZN2at6native12_GLOBAL__N_126LayerNormForwardCUDAKernelIffLb0EEEvlPKT_PKT0_S8_S5_S5_PS3_.uses_flat_scratch, 0
	.set _ZN2at6native12_GLOBAL__N_126LayerNormForwardCUDAKernelIffLb0EEEvlPKT_PKT0_S8_S5_S5_PS3_.has_dyn_sized_stack, 0
	.set _ZN2at6native12_GLOBAL__N_126LayerNormForwardCUDAKernelIffLb0EEEvlPKT_PKT0_S8_S5_S5_PS3_.has_recursion, 0
	.set _ZN2at6native12_GLOBAL__N_126LayerNormForwardCUDAKernelIffLb0EEEvlPKT_PKT0_S8_S5_S5_PS3_.has_indirect_call, 0
	.section	.AMDGPU.csdata,"",@progbits
; Kernel info:
; codeLenInByte = 440
; TotalNumSgprs: 26
; NumVgprs: 10
; ScratchSize: 0
; MemoryBound: 0
; FloatMode: 240
; IeeeMode: 1
; LDSByteSize: 0 bytes/workgroup (compile time only)
; SGPRBlocks: 0
; VGPRBlocks: 1
; NumSGPRsForWavesPerEU: 26
; NumVGPRsForWavesPerEU: 10
; Occupancy: 16
; WaveLimiterHint : 0
; COMPUTE_PGM_RSRC2:SCRATCH_EN: 0
; COMPUTE_PGM_RSRC2:USER_SGPR: 2
; COMPUTE_PGM_RSRC2:TRAP_HANDLER: 0
; COMPUTE_PGM_RSRC2:TGID_X_EN: 1
; COMPUTE_PGM_RSRC2:TGID_Y_EN: 0
; COMPUTE_PGM_RSRC2:TGID_Z_EN: 0
; COMPUTE_PGM_RSRC2:TIDIG_COMP_CNT: 0
	.section	.text._ZN2at6native12_GLOBAL__N_128vectorized_layer_norm_kernelIN3c104HalfEfLb0EEEviT0_PKT_S8_S8_PS5_S9_PS6_,"axG",@progbits,_ZN2at6native12_GLOBAL__N_128vectorized_layer_norm_kernelIN3c104HalfEfLb0EEEviT0_PKT_S8_S8_PS5_S9_PS6_,comdat
	.globl	_ZN2at6native12_GLOBAL__N_128vectorized_layer_norm_kernelIN3c104HalfEfLb0EEEviT0_PKT_S8_S8_PS5_S9_PS6_ ; -- Begin function _ZN2at6native12_GLOBAL__N_128vectorized_layer_norm_kernelIN3c104HalfEfLb0EEEviT0_PKT_S8_S8_PS5_S9_PS6_
	.p2align	8
	.type	_ZN2at6native12_GLOBAL__N_128vectorized_layer_norm_kernelIN3c104HalfEfLb0EEEviT0_PKT_S8_S8_PS5_S9_PS6_,@function
_ZN2at6native12_GLOBAL__N_128vectorized_layer_norm_kernelIN3c104HalfEfLb0EEEviT0_PKT_S8_S8_PS5_S9_PS6_: ; @_ZN2at6native12_GLOBAL__N_128vectorized_layer_norm_kernelIN3c104HalfEfLb0EEEviT0_PKT_S8_S8_PS5_S9_PS6_
; %bb.0:
	s_clause 0x1
	s_load_b32 s3, s[0:1], 0x44
	s_load_b128 s[12:15], s[0:1], 0x0
	v_bfe_u32 v2, v0, 10, 10
	v_and_b32_e32 v3, 0x3ff, v0
	v_dual_mov_b32 v9, 0 :: v_dual_mov_b32 v4, 0
	v_mov_b32_e32 v5, 0
	s_mov_b32 s16, ttmp9
	s_mov_b32 s17, 0
	s_wait_kmcnt 0x0
	s_and_b32 s6, s3, 0xffff
	s_ashr_i32 s5, s12, 31
	v_mul_u32_u24_e32 v0, s6, v2
	s_lshr_b32 s2, s5, 30
	v_mad_u32_u24 v7, v2, s6, v3
	s_add_co_i32 s2, s12, s2
	s_mov_b32 s4, s12
	s_ashr_i32 s22, s2, 2
	v_add_lshl_u32 v8, v0, v3, 3
	v_cmp_gt_i32_e64 s2, s22, v7
	s_lshr_b32 s8, s3, 16
	s_mul_u64 s[20:21], s[4:5], s[16:17]
	s_mul_i32 s18, s8, s6
	s_and_saveexec_b32 s9, s2
	s_cbranch_execz .LBB6_4
; %bb.1:
	s_lshl_b64 s[4:5], s[20:21], 1
	v_dual_mov_b32 v4, 0 :: v_dual_mov_b32 v5, 0
	s_add_nc_u64 s[4:5], s[14:15], s[4:5]
	v_mov_b32_e32 v6, v7
	v_add_co_u32 v0, s3, s4, v8
	s_delay_alu instid0(VALU_DEP_1) | instskip(SKIP_2) | instid1(VALU_DEP_1)
	v_add_co_ci_u32_e64 v1, null, s5, 0, s3
	s_ashr_i32 s19, s18, 31
	v_add_co_u32 v0, vcc_lo, v0, 2
	v_add_co_ci_u32_e64 v1, null, 0, v1, vcc_lo
	s_lshl_b64 s[6:7], s[18:19], 3
	s_mov_b32 s10, 0
	s_mov_b32 s11, s17
.LBB6_2:                                ; =>This Inner Loop Header: Depth=1
	global_load_b64 v[9:10], v[0:1], off offset:-2
	s_add_f32 s19, s11, 1.0
	v_add_nc_u32_e32 v6, s18, v6
	s_wait_alu 0xfffe
	s_delay_alu instid0(SALU_CYCLE_1)
	s_add_f32 s23, s19, 1.0
	v_div_scale_f32 v11, null, s19, s19, 1.0
	v_div_scale_f32 v12, vcc_lo, 1.0, s19, 1.0
	s_wait_alu 0xfffe
	s_add_f32 s24, s23, 1.0
	v_div_scale_f32 v13, null, s23, s23, 1.0
	v_xor_b32_e32 v15, 0x80000000, v11
	s_wait_alu 0xfffe
	s_add_f32 s11, s24, 1.0
	v_rcp_f32_e32 v11, v11
	v_div_scale_f32 v16, null, s24, s24, 1.0
	v_xor_b32_e32 v18, 0x80000000, v13
	v_rcp_f32_e32 v13, v13
	s_wait_alu 0xfffe
	v_div_scale_f32 v19, null, s11, s11, 1.0
	v_rcp_f32_e32 v21, v16
	v_xor_b32_e32 v16, 0x80000000, v16
	v_div_scale_f32 v14, s3, 1.0, s23, 1.0
	s_delay_alu instid0(VALU_DEP_3) | instskip(SKIP_2) | instid1(TRANS32_DEP_3)
	v_rcp_f32_e32 v23, v19
	v_fma_f32 v22, v15, v11, 1.0
	v_xor_b32_e32 v19, 0x80000000, v19
	v_fma_f32 v24, v18, v13, 1.0
	v_div_scale_f32 v20, s5, 1.0, s11, 1.0
	v_div_scale_f32 v17, s4, 1.0, s24, 1.0
	s_delay_alu instid0(VALU_DEP_3) | instskip(SKIP_2) | instid1(TRANS32_DEP_1)
	v_fmac_f32_e32 v13, v24, v13
	v_fmac_f32_e32 v11, v22, v11
	v_fma_f32 v22, v16, v21, 1.0
	v_fma_f32 v25, v19, v23, 1.0
	s_delay_alu instid0(VALU_DEP_1) | instskip(NEXT) | instid1(VALU_DEP_3)
	v_fmac_f32_e32 v23, v25, v23
	v_fmac_f32_e32 v21, v22, v21
	v_mul_f32_e32 v22, v14, v13
	s_delay_alu instid0(VALU_DEP_2) | instskip(NEXT) | instid1(VALU_DEP_2)
	v_mul_f32_e32 v25, v17, v21
	v_fma_f32 v27, v18, v22, v14
	s_delay_alu instid0(VALU_DEP_2) | instskip(NEXT) | instid1(VALU_DEP_2)
	v_fma_f32 v28, v16, v25, v17
	v_fmac_f32_e32 v22, v27, v13
	v_mul_f32_e32 v24, v12, v11
	s_delay_alu instid0(VALU_DEP_2) | instskip(NEXT) | instid1(VALU_DEP_2)
	v_fmac_f32_e32 v14, v18, v22
	v_fma_f32 v26, v15, v24, v12
	s_delay_alu instid0(VALU_DEP_1) | instskip(NEXT) | instid1(VALU_DEP_1)
	v_fmac_f32_e32 v24, v26, v11
	v_fmac_f32_e32 v12, v15, v24
	v_mul_f32_e32 v26, v20, v23
	v_fmac_f32_e32 v25, v28, v21
	s_wait_alu 0xfffd
	s_delay_alu instid0(VALU_DEP_3) | instskip(NEXT) | instid1(VALU_DEP_3)
	v_div_fmas_f32 v11, v12, v11, v24
	v_fma_f32 v15, v19, v26, v20
	s_mov_b32 vcc_lo, s3
	v_fmac_f32_e32 v17, v16, v25
	s_wait_alu 0xfffe
	v_div_fmas_f32 v12, v14, v13, v22
	v_div_fixup_f32 v11, v11, s19, 1.0
	v_fmac_f32_e32 v26, v15, v23
	s_mov_b32 vcc_lo, s4
	v_cmp_le_i32_e64 s3, s22, v6
	v_div_fixup_f32 v12, v12, s23, 1.0
	s_wait_alu 0xfffe
	v_div_fmas_f32 v13, v17, v21, v25
	s_mov_b32 vcc_lo, s5
	s_or_b32 s10, s3, s10
	s_delay_alu instid0(VALU_DEP_1) | instskip(SKIP_4) | instid1(VALU_DEP_3)
	v_div_fixup_f32 v13, v13, s24, 1.0
	s_wait_loadcnt 0x0
	v_cvt_f32_f16_e32 v14, v9
	v_fmac_f32_e32 v20, v19, v26
	v_lshrrev_b32_e32 v9, 16, v9
	v_sub_f32_e32 v15, v14, v5
	s_wait_alu 0xfffe
	s_delay_alu instid0(VALU_DEP_3) | instskip(NEXT) | instid1(VALU_DEP_3)
	v_div_fmas_f32 v18, v20, v23, v26
	v_cvt_f32_f16_e32 v9, v9
	v_add_co_u32 v0, vcc_lo, v0, s6
	v_fmac_f32_e32 v5, v11, v15
	v_cvt_f32_f16_e32 v11, v10
	v_lshrrev_b32_e32 v10, 16, v10
	s_wait_alu 0xfffd
	v_add_co_ci_u32_e64 v1, null, s7, v1, vcc_lo
	v_sub_f32_e32 v16, v9, v5
	v_sub_f32_e32 v14, v14, v5
	v_cvt_f32_f16_e32 v10, v10
	s_delay_alu instid0(VALU_DEP_2) | instskip(NEXT) | instid1(VALU_DEP_1)
	v_dual_fmac_f32 v5, v12, v16 :: v_dual_fmac_f32 v4, v15, v14
	v_dual_sub_f32 v12, v11, v5 :: v_dual_mov_b32 v17, v5
	v_sub_f32_e32 v5, v9, v5
	s_delay_alu instid0(VALU_DEP_2) | instskip(SKIP_1) | instid1(VALU_DEP_3)
	v_fmac_f32_e32 v17, v13, v12
	v_div_fixup_f32 v13, v18, s11, 1.0
	v_fmac_f32_e32 v4, v16, v5
	s_delay_alu instid0(VALU_DEP_3) | instskip(NEXT) | instid1(VALU_DEP_1)
	v_sub_f32_e32 v14, v10, v17
	v_fma_f32 v5, v13, v14, v17
	s_delay_alu instid0(VALU_DEP_1) | instskip(SKIP_1) | instid1(VALU_DEP_1)
	v_sub_f32_e32 v10, v10, v5
	v_sub_f32_e32 v9, v11, v17
	v_dual_fmac_f32 v4, v12, v9 :: v_dual_mov_b32 v9, s11
	s_delay_alu instid0(VALU_DEP_1)
	v_fmac_f32_e32 v4, v14, v10
	s_and_not1_b32 exec_lo, exec_lo, s10
	s_cbranch_execnz .LBB6_2
; %bb.3:
	s_or_b32 exec_lo, exec_lo, s10
.LBB6_4:
	s_delay_alu instid0(SALU_CYCLE_1) | instskip(SKIP_3) | instid1(VALU_DEP_2)
	s_or_b32 exec_lo, exec_lo, s9
	v_mbcnt_lo_u32_b32 v0, -1, 0
	v_mov_b32_e32 v12, 0
	s_mov_b32 s3, exec_lo
	v_dual_mov_b32 v10, 0 :: v_dual_lshlrev_b32 v1, 2, v0
	s_delay_alu instid0(VALU_DEP_1)
	v_or_b32_e32 v1, 64, v1
	ds_bpermute_b32 v13, v1, v9
	ds_bpermute_b32 v11, v1, v5
	;; [unrolled: 1-line block ×3, first 2 shown]
	s_wait_dscnt 0x2
	v_dual_mov_b32 v1, 0 :: v_dual_add_f32 v6, v9, v13
	s_delay_alu instid0(VALU_DEP_1)
	v_cmpx_lt_f32_e32 0, v6
	s_cbranch_execz .LBB6_6
; %bb.5:
	v_div_scale_f32 v10, null, v6, v6, 1.0
	v_div_scale_f32 v16, vcc_lo, 1.0, v6, 1.0
	s_delay_alu instid0(VALU_DEP_2) | instskip(NEXT) | instid1(TRANS32_DEP_1)
	v_rcp_f32_e32 v12, v10
	v_fma_f32 v15, -v10, v12, 1.0
	s_delay_alu instid0(VALU_DEP_1) | instskip(NEXT) | instid1(VALU_DEP_1)
	v_fmac_f32_e32 v12, v15, v12
	v_mul_f32_e32 v15, v16, v12
	s_delay_alu instid0(VALU_DEP_1) | instskip(NEXT) | instid1(VALU_DEP_1)
	v_fma_f32 v17, -v10, v15, v16
	v_fmac_f32_e32 v15, v17, v12
	s_delay_alu instid0(VALU_DEP_1) | instskip(SKIP_1) | instid1(VALU_DEP_1)
	v_fma_f32 v10, -v10, v15, v16
	s_wait_alu 0xfffd
	v_div_fmas_f32 v10, v10, v12, v15
	s_delay_alu instid0(VALU_DEP_1) | instskip(SKIP_2) | instid1(VALU_DEP_2)
	v_div_fixup_f32 v12, v10, v6, 1.0
	s_wait_dscnt 0x1
	v_sub_f32_e32 v10, v5, v11
	v_mul_f32_e32 v9, v9, v12
	s_delay_alu instid0(VALU_DEP_2) | instskip(SKIP_4) | instid1(VALU_DEP_1)
	v_mul_f32_e32 v15, v10, v10
	s_wait_dscnt 0x0
	v_add_f32_e32 v10, v4, v14
	v_mul_f32_e32 v4, v12, v13
	v_mul_f32_e32 v12, v5, v9
	v_dual_mul_f32 v5, v15, v13 :: v_dual_fmac_f32 v12, v4, v11
	s_delay_alu instid0(VALU_DEP_1)
	v_fmac_f32_e32 v10, v5, v9
.LBB6_6:
	s_wait_alu 0xfffe
	s_or_b32 exec_lo, exec_lo, s3
	v_cmp_gt_u32_e32 vcc_lo, 24, v0
	s_mov_b32 s3, exec_lo
	s_wait_dscnt 0x1
	v_mov_b32_e32 v11, 0
	s_wait_alu 0xfffd
	v_cndmask_b32_e64 v4, 0, 8, vcc_lo
	s_delay_alu instid0(VALU_DEP_1)
	v_add_lshl_u32 v4, v4, v0, 2
	ds_bpermute_b32 v9, v4, v6
	ds_bpermute_b32 v5, v4, v12
	;; [unrolled: 1-line block ×3, first 2 shown]
	s_wait_dscnt 0x2
	v_add_f32_e32 v4, v6, v9
	s_delay_alu instid0(VALU_DEP_1)
	v_cmpx_lt_f32_e32 0, v4
	s_cbranch_execz .LBB6_8
; %bb.7:
	v_div_scale_f32 v1, null, v4, v4, 1.0
	v_div_scale_f32 v15, vcc_lo, 1.0, v4, 1.0
	s_delay_alu instid0(VALU_DEP_2) | instskip(NEXT) | instid1(TRANS32_DEP_1)
	v_rcp_f32_e32 v11, v1
	v_fma_f32 v14, -v1, v11, 1.0
	s_delay_alu instid0(VALU_DEP_1) | instskip(NEXT) | instid1(VALU_DEP_1)
	v_fmac_f32_e32 v11, v14, v11
	v_mul_f32_e32 v14, v15, v11
	s_delay_alu instid0(VALU_DEP_1) | instskip(NEXT) | instid1(VALU_DEP_1)
	v_fma_f32 v16, -v1, v14, v15
	v_fmac_f32_e32 v14, v16, v11
	s_delay_alu instid0(VALU_DEP_1) | instskip(SKIP_1) | instid1(VALU_DEP_1)
	v_fma_f32 v1, -v1, v14, v15
	s_wait_alu 0xfffd
	v_div_fmas_f32 v1, v1, v11, v14
	s_delay_alu instid0(VALU_DEP_1) | instskip(SKIP_1) | instid1(VALU_DEP_1)
	v_div_fixup_f32 v11, v1, v4, 1.0
	s_wait_dscnt 0x1
	v_dual_sub_f32 v1, v12, v5 :: v_dual_mul_f32 v6, v6, v11
	s_delay_alu instid0(VALU_DEP_1) | instskip(SKIP_2) | instid1(VALU_DEP_3)
	v_mul_f32_e32 v14, v1, v1
	s_wait_dscnt 0x0
	v_add_f32_e32 v1, v10, v13
	v_dual_mul_f32 v10, v11, v9 :: v_dual_mul_f32 v11, v12, v6
	s_delay_alu instid0(VALU_DEP_3) | instskip(NEXT) | instid1(VALU_DEP_2)
	v_mul_f32_e32 v9, v14, v9
	v_fmac_f32_e32 v11, v10, v5
	s_delay_alu instid0(VALU_DEP_2)
	v_fmac_f32_e32 v1, v9, v6
.LBB6_8:
	s_wait_alu 0xfffe
	s_or_b32 exec_lo, exec_lo, s3
	v_cmp_gt_u32_e32 vcc_lo, 28, v0
	v_dual_mov_b32 v9, 0 :: v_dual_mov_b32 v12, 0
	s_mov_b32 s3, exec_lo
	v_mov_b32_e32 v6, 0
	s_wait_dscnt 0x1
	s_wait_alu 0xfffd
	v_cndmask_b32_e64 v5, 0, 4, vcc_lo
	s_delay_alu instid0(VALU_DEP_1)
	v_add_lshl_u32 v5, v5, v0, 2
	s_wait_dscnt 0x0
	ds_bpermute_b32 v13, v5, v4
	ds_bpermute_b32 v10, v5, v11
	;; [unrolled: 1-line block ×3, first 2 shown]
	s_wait_dscnt 0x2
	v_add_f32_e32 v5, v4, v13
	s_delay_alu instid0(VALU_DEP_1)
	v_cmpx_lt_f32_e32 0, v5
	s_cbranch_execz .LBB6_10
; %bb.9:
	v_div_scale_f32 v6, null, v5, v5, 1.0
	v_div_scale_f32 v16, vcc_lo, 1.0, v5, 1.0
	s_delay_alu instid0(VALU_DEP_2) | instskip(NEXT) | instid1(TRANS32_DEP_1)
	v_rcp_f32_e32 v12, v6
	v_fma_f32 v15, -v6, v12, 1.0
	s_delay_alu instid0(VALU_DEP_1) | instskip(NEXT) | instid1(VALU_DEP_1)
	v_fmac_f32_e32 v12, v15, v12
	v_mul_f32_e32 v15, v16, v12
	s_delay_alu instid0(VALU_DEP_1) | instskip(NEXT) | instid1(VALU_DEP_1)
	v_fma_f32 v17, -v6, v15, v16
	v_fmac_f32_e32 v15, v17, v12
	s_delay_alu instid0(VALU_DEP_1) | instskip(SKIP_1) | instid1(VALU_DEP_1)
	v_fma_f32 v6, -v6, v15, v16
	s_wait_alu 0xfffd
	v_div_fmas_f32 v6, v6, v12, v15
	s_delay_alu instid0(VALU_DEP_1) | instskip(SKIP_2) | instid1(VALU_DEP_1)
	v_div_fixup_f32 v12, v6, v5, 1.0
	s_wait_dscnt 0x1
	v_sub_f32_e32 v6, v11, v10
	v_dual_mul_f32 v15, v6, v6 :: v_dual_mul_f32 v4, v4, v12
	s_wait_dscnt 0x0
	v_dual_add_f32 v6, v1, v14 :: v_dual_mul_f32 v1, v12, v13
	s_delay_alu instid0(VALU_DEP_2) | instskip(NEXT) | instid1(VALU_DEP_1)
	v_mul_f32_e32 v12, v11, v4
	v_dual_mul_f32 v11, v15, v13 :: v_dual_fmac_f32 v12, v1, v10
	s_delay_alu instid0(VALU_DEP_1)
	v_fmac_f32_e32 v6, v11, v4
.LBB6_10:
	s_wait_alu 0xfffe
	s_or_b32 exec_lo, exec_lo, s3
	v_cmp_gt_u32_e32 vcc_lo, 30, v0
	s_mov_b32 s3, exec_lo
	s_wait_dscnt 0x1
	v_mov_b32_e32 v10, 0
	s_wait_alu 0xfffd
	v_cndmask_b32_e64 v1, 0, 2, vcc_lo
	s_delay_alu instid0(VALU_DEP_1)
	v_add_lshl_u32 v1, v1, v0, 2
	ds_bpermute_b32 v11, v1, v5
	ds_bpermute_b32 v4, v1, v12
	;; [unrolled: 1-line block ×3, first 2 shown]
	s_wait_dscnt 0x2
	v_add_f32_e32 v1, v5, v11
	s_delay_alu instid0(VALU_DEP_1)
	v_cmpx_lt_f32_e32 0, v1
	s_cbranch_execz .LBB6_12
; %bb.11:
	v_div_scale_f32 v9, null, v1, v1, 1.0
	v_div_scale_f32 v15, vcc_lo, 1.0, v1, 1.0
	s_delay_alu instid0(VALU_DEP_2) | instskip(NEXT) | instid1(TRANS32_DEP_1)
	v_rcp_f32_e32 v10, v9
	v_fma_f32 v14, -v9, v10, 1.0
	s_delay_alu instid0(VALU_DEP_1) | instskip(NEXT) | instid1(VALU_DEP_1)
	v_fmac_f32_e32 v10, v14, v10
	v_mul_f32_e32 v14, v15, v10
	s_delay_alu instid0(VALU_DEP_1) | instskip(NEXT) | instid1(VALU_DEP_1)
	v_fma_f32 v16, -v9, v14, v15
	v_fmac_f32_e32 v14, v16, v10
	s_delay_alu instid0(VALU_DEP_1) | instskip(SKIP_1) | instid1(VALU_DEP_1)
	v_fma_f32 v9, -v9, v14, v15
	s_wait_alu 0xfffd
	v_div_fmas_f32 v9, v9, v10, v14
	s_delay_alu instid0(VALU_DEP_1) | instskip(SKIP_2) | instid1(VALU_DEP_2)
	v_div_fixup_f32 v10, v9, v1, 1.0
	s_wait_dscnt 0x1
	v_sub_f32_e32 v9, v12, v4
	v_mul_f32_e32 v5, v5, v10
	s_delay_alu instid0(VALU_DEP_2) | instskip(SKIP_3) | instid1(VALU_DEP_3)
	v_mul_f32_e32 v14, v9, v9
	s_wait_dscnt 0x0
	v_add_f32_e32 v9, v6, v13
	v_mul_f32_e32 v6, v10, v11
	v_dual_mul_f32 v10, v12, v5 :: v_dual_mul_f32 v11, v14, v11
	s_delay_alu instid0(VALU_DEP_1)
	v_dual_fmac_f32 v10, v6, v4 :: v_dual_fmac_f32 v9, v11, v5
.LBB6_12:
	s_wait_alu 0xfffe
	s_or_b32 exec_lo, exec_lo, s3
	v_cmp_ne_u32_e32 vcc_lo, 31, v0
	v_mov_b32_e32 v6, 0
	s_mov_b32 s3, exec_lo
	s_wait_alu 0xfffd
	v_add_co_ci_u32_e64 v0, null, 0, v0, vcc_lo
	s_wait_dscnt 0x1
	s_delay_alu instid0(VALU_DEP_1)
	v_lshlrev_b32_e32 v4, 2, v0
	ds_bpermute_b32 v11, v4, v1
	s_wait_dscnt 0x0
	v_add_f32_e32 v5, v1, v11
	ds_bpermute_b32 v0, v4, v10
	ds_bpermute_b32 v12, v4, v9
	v_mov_b32_e32 v4, 0
	v_cmpx_lt_f32_e32 0, v5
	s_cbranch_execz .LBB6_14
; %bb.13:
	v_div_scale_f32 v4, null, v5, v5, 1.0
	v_div_scale_f32 v14, vcc_lo, 1.0, v5, 1.0
	s_delay_alu instid0(VALU_DEP_2) | instskip(NEXT) | instid1(TRANS32_DEP_1)
	v_rcp_f32_e32 v6, v4
	v_fma_f32 v13, -v4, v6, 1.0
	s_delay_alu instid0(VALU_DEP_1) | instskip(NEXT) | instid1(VALU_DEP_1)
	v_fmac_f32_e32 v6, v13, v6
	v_mul_f32_e32 v13, v14, v6
	s_delay_alu instid0(VALU_DEP_1) | instskip(NEXT) | instid1(VALU_DEP_1)
	v_fma_f32 v15, -v4, v13, v14
	v_fmac_f32_e32 v13, v15, v6
	s_delay_alu instid0(VALU_DEP_1) | instskip(SKIP_1) | instid1(VALU_DEP_1)
	v_fma_f32 v4, -v4, v13, v14
	s_wait_alu 0xfffd
	v_div_fmas_f32 v4, v4, v6, v13
	s_wait_dscnt 0x1
	v_sub_f32_e32 v6, v10, v0
	s_delay_alu instid0(VALU_DEP_2) | instskip(SKIP_1) | instid1(VALU_DEP_2)
	v_div_fixup_f32 v4, v4, v5, 1.0
	s_wait_dscnt 0x0
	v_dual_mul_f32 v13, v6, v6 :: v_dual_add_f32 v6, v9, v12
	s_delay_alu instid0(VALU_DEP_2) | instskip(NEXT) | instid1(VALU_DEP_1)
	v_mul_f32_e32 v1, v1, v4
	v_dual_mul_f32 v9, v4, v11 :: v_dual_mul_f32 v4, v10, v1
	s_delay_alu instid0(VALU_DEP_1) | instskip(NEXT) | instid1(VALU_DEP_4)
	v_fmac_f32_e32 v4, v9, v0
	v_mul_f32_e32 v10, v13, v11
	s_delay_alu instid0(VALU_DEP_1)
	v_fmac_f32_e32 v6, v10, v1
.LBB6_14:
	s_wait_alu 0xfffe
	s_or_b32 exec_lo, exec_lo, s3
	s_cmp_lt_u32 s8, 2
	s_cbranch_scc0 .LBB6_16
; %bb.15:
	s_wait_dscnt 0x1
	v_mov_b32_e32 v0, 0
	s_cvt_f32_i32 s3, s12
	ds_bpermute_b32 v1, v0, v6
	ds_bpermute_b32 v0, v0, v4
	s_wait_dscnt 0x1
	s_wait_alu 0xfffe
	v_div_scale_f32 v9, null, s3, s3, v1
	s_delay_alu instid0(VALU_DEP_1) | instskip(NEXT) | instid1(TRANS32_DEP_1)
	v_rcp_f32_e32 v10, v9
	v_fma_f32 v11, -v9, v10, 1.0
	s_delay_alu instid0(VALU_DEP_1) | instskip(SKIP_1) | instid1(VALU_DEP_1)
	v_fmac_f32_e32 v10, v11, v10
	v_div_scale_f32 v11, vcc_lo, v1, s3, v1
	v_mul_f32_e32 v12, v11, v10
	s_delay_alu instid0(VALU_DEP_1) | instskip(NEXT) | instid1(VALU_DEP_1)
	v_fma_f32 v13, -v9, v12, v11
	v_fmac_f32_e32 v12, v13, v10
	s_delay_alu instid0(VALU_DEP_1) | instskip(SKIP_1) | instid1(VALU_DEP_1)
	v_fma_f32 v9, -v9, v12, v11
	s_wait_alu 0xfffd
	v_div_fmas_f32 v9, v9, v10, v12
	s_delay_alu instid0(VALU_DEP_1)
	v_div_fixup_f32 v1, v9, s3, v1
	s_cbranch_execz .LBB6_17
	s_branch .LBB6_29
.LBB6_16:
                                        ; implicit-def: $vgpr1
.LBB6_17:
	v_lshlrev_b32_e32 v1, 3, v2
	s_lshl_b32 s3, s8, 2
	s_wait_alu 0xfffe
	s_add_co_i32 s5, s3, 0
	v_cmp_eq_u32_e64 s3, 0, v3
	s_wait_dscnt 0x0
	s_wait_alu 0xfffe
	v_lshl_add_u32 v0, v2, 2, s5
	v_add_nc_u32_e32 v1, 0, v1
.LBB6_18:                               ; =>This Inner Loop Header: Depth=1
	s_lshr_b32 s6, s8, 1
	s_and_b32 s4, s8, 0xfffe
	s_wait_alu 0xfffe
	v_cmp_le_u32_e32 vcc_lo, s6, v2
	v_cmp_gt_u32_e64 s4, s4, v2
	s_and_b32 s7, s3, vcc_lo
	s_wait_alu 0xfffe
	s_and_b32 s7, s7, s4
	s_wait_alu 0xfffe
	s_and_saveexec_b32 s4, s7
	s_cbranch_execz .LBB6_20
; %bb.19:                               ;   in Loop: Header=BB6_18 Depth=1
	v_subrev_nc_u32_e32 v9, s6, v2
	s_delay_alu instid0(VALU_DEP_1)
	v_lshl_add_u32 v10, v9, 3, 0
	v_lshl_add_u32 v9, v9, 2, s5
	ds_store_2addr_b32 v10, v4, v6 offset1:1
	ds_store_b32 v9, v5
.LBB6_20:                               ;   in Loop: Header=BB6_18 Depth=1
	s_wait_alu 0xfffe
	s_or_b32 exec_lo, exec_lo, s4
	v_cmp_gt_u32_e32 vcc_lo, s6, v2
	s_wait_dscnt 0x0
	s_barrier_signal -1
	s_barrier_wait -1
	global_inv scope:SCOPE_SE
	s_and_b32 s7, s3, vcc_lo
	s_wait_alu 0xfffe
	s_and_saveexec_b32 s4, s7
	s_cbranch_execz .LBB6_24
; %bb.21:                               ;   in Loop: Header=BB6_18 Depth=1
	ds_load_b32 v10, v0
	v_mov_b32_e32 v11, 0
	s_mov_b32 s7, exec_lo
	s_wait_dscnt 0x0
	v_dual_mov_b32 v12, 0 :: v_dual_add_f32 v9, v5, v10
	s_delay_alu instid0(VALU_DEP_1)
	v_cmpx_lt_f32_e32 0, v9
	s_cbranch_execz .LBB6_23
; %bb.22:                               ;   in Loop: Header=BB6_18 Depth=1
	v_div_scale_f32 v11, null, v9, v9, 1.0
	v_div_scale_f32 v15, vcc_lo, 1.0, v9, 1.0
	s_delay_alu instid0(VALU_DEP_2) | instskip(NEXT) | instid1(TRANS32_DEP_1)
	v_rcp_f32_e32 v14, v11
	v_fma_f32 v12, -v11, v14, 1.0
	s_delay_alu instid0(VALU_DEP_1) | instskip(SKIP_2) | instid1(VALU_DEP_1)
	v_fmac_f32_e32 v14, v12, v14
	ds_load_2addr_b32 v[12:13], v1 offset1:1
	v_mul_f32_e32 v16, v15, v14
	v_fma_f32 v17, -v11, v16, v15
	s_delay_alu instid0(VALU_DEP_1) | instskip(NEXT) | instid1(VALU_DEP_1)
	v_fmac_f32_e32 v16, v17, v14
	v_fma_f32 v11, -v11, v16, v15
	s_wait_alu 0xfffd
	s_delay_alu instid0(VALU_DEP_1) | instskip(NEXT) | instid1(VALU_DEP_1)
	v_div_fmas_f32 v11, v11, v14, v16
	v_div_fixup_f32 v14, v11, v9, 1.0
	s_wait_dscnt 0x0
	v_sub_f32_e32 v11, v4, v12
	s_delay_alu instid0(VALU_DEP_1) | instskip(SKIP_1) | instid1(VALU_DEP_2)
	v_dual_mul_f32 v15, v10, v14 :: v_dual_mul_f32 v16, v11, v11
	v_add_f32_e32 v11, v6, v13
	v_dual_mul_f32 v5, v5, v14 :: v_dual_mul_f32 v12, v15, v12
	s_delay_alu instid0(VALU_DEP_3) | instskip(NEXT) | instid1(VALU_DEP_1)
	v_mul_f32_e32 v6, v10, v16
	v_dual_fmac_f32 v12, v4, v5 :: v_dual_fmac_f32 v11, v5, v6
.LBB6_23:                               ;   in Loop: Header=BB6_18 Depth=1
	s_wait_alu 0xfffe
	s_or_b32 exec_lo, exec_lo, s7
	s_delay_alu instid0(VALU_DEP_1) | instskip(NEXT) | instid1(VALU_DEP_2)
	v_dual_mov_b32 v4, v12 :: v_dual_mov_b32 v5, v9
	v_mov_b32_e32 v6, v11
.LBB6_24:                               ;   in Loop: Header=BB6_18 Depth=1
	s_wait_alu 0xfffe
	s_or_b32 exec_lo, exec_lo, s4
	s_cmp_lt_u32 s8, 4
	s_wait_loadcnt 0x0
	s_barrier_signal -1
	s_barrier_wait -1
	global_inv scope:SCOPE_SE
	s_cbranch_scc1 .LBB6_26
; %bb.25:                               ;   in Loop: Header=BB6_18 Depth=1
	s_mov_b32 s8, s6
	s_branch .LBB6_18
.LBB6_26:
	v_or_b32_e32 v0, v3, v2
	s_mov_b32 s3, exec_lo
	s_delay_alu instid0(VALU_DEP_1)
	v_cmpx_eq_u32_e32 0, v0
	s_cbranch_execz .LBB6_28
; %bb.27:
	s_cvt_f32_i32 s4, s12
	s_wait_alu 0xfffe
	s_delay_alu instid0(SALU_CYCLE_2) | instskip(SKIP_1) | instid1(VALU_DEP_2)
	v_div_scale_f32 v0, null, s4, s4, v6
	v_div_scale_f32 v3, vcc_lo, v6, s4, v6
	v_rcp_f32_e32 v1, v0
	s_delay_alu instid0(TRANS32_DEP_1) | instskip(NEXT) | instid1(VALU_DEP_1)
	v_fma_f32 v2, -v0, v1, 1.0
	v_fmac_f32_e32 v1, v2, v1
	s_delay_alu instid0(VALU_DEP_1) | instskip(NEXT) | instid1(VALU_DEP_1)
	v_mul_f32_e32 v2, v3, v1
	v_fma_f32 v5, -v0, v2, v3
	s_delay_alu instid0(VALU_DEP_1) | instskip(NEXT) | instid1(VALU_DEP_1)
	v_fmac_f32_e32 v2, v5, v1
	v_fma_f32 v0, -v0, v2, v3
	s_wait_alu 0xfffd
	s_delay_alu instid0(VALU_DEP_1) | instskip(SKIP_1) | instid1(VALU_DEP_2)
	v_div_fmas_f32 v0, v0, v1, v2
	v_mov_b32_e32 v1, 0
	v_div_fixup_f32 v0, v0, s4, v6
	ds_store_2addr_b32 v1, v4, v0 offset1:1
.LBB6_28:
	s_wait_alu 0xfffe
	s_or_b32 exec_lo, exec_lo, s3
	v_mov_b32_e32 v0, 0
	s_wait_loadcnt_dscnt 0x0
	s_barrier_signal -1
	s_barrier_wait -1
	global_inv scope:SCOPE_SE
	ds_load_2addr_b32 v[0:1], v0 offset1:1
.LBB6_29:
	s_wait_dscnt 0x0
	s_delay_alu instid0(VALU_DEP_1) | instskip(SKIP_3) | instid1(VALU_DEP_1)
	v_add_f32_e32 v1, s13, v1
	s_clause 0x1
	s_load_b256 s[4:11], s[0:1], 0x10
	s_load_b64 s[0:1], s[0:1], 0x30
	v_mul_f32_e32 v2, 0x4b800000, v1
	v_cmp_gt_f32_e32 vcc_lo, 0x800000, v1
	s_wait_alu 0xfffd
	s_delay_alu instid0(VALU_DEP_2) | instskip(NEXT) | instid1(VALU_DEP_1)
	v_cndmask_b32_e32 v1, v1, v2, vcc_lo
	v_rsq_f32_e32 v1, v1
	s_delay_alu instid0(TRANS32_DEP_1) | instskip(NEXT) | instid1(VALU_DEP_1)
	v_mul_f32_e32 v2, 0x45800000, v1
	v_cndmask_b32_e32 v9, v1, v2, vcc_lo
	s_and_saveexec_b32 s23, s2
	s_cbranch_execz .LBB6_44
; %bb.30:
	s_wait_kmcnt 0x0
	s_cmp_eq_u64 s[4:5], 0
	v_dual_mov_b32 v11, v9 :: v_dual_mov_b32 v12, v0
	s_cselect_b32 s24, -1, 0
	s_cmp_eq_u64 s[6:7], 0
	v_dual_mov_b32 v13, 0 :: v_dual_mov_b32 v14, v7
	s_cselect_b32 s12, -1, 0
	s_lshl_b64 s[20:21], s[20:21], 1
	s_wait_alu 0xfffe
	v_cndmask_b32_e64 v10, 0, 1, s12
	s_ashr_i32 s19, s18, 31
	s_add_nc_u64 s[14:15], s[14:15], s[20:21]
	s_add_nc_u64 s[2:3], s[0:1], s[20:21]
	s_or_b32 s1, s24, s12
	s_wait_alu 0xfffe
	s_lshl_b64 s[12:13], s[18:19], 3
	s_add_nc_u64 s[14:15], s[14:15], 4
	s_add_nc_u64 s[4:5], s[4:5], 4
	s_mov_b32 s19, 0
	s_branch .LBB6_32
.LBB6_31:                               ;   in Loop: Header=BB6_32 Depth=1
	v_add_nc_u32_e32 v14, s18, v14
	v_cvt_f16_f32_e32 v6, v6
	v_cvt_f16_f32_e32 v5, v5
	;; [unrolled: 1-line block ×4, first 2 shown]
	s_wait_loadcnt 0x0
	v_add_co_u32 v1, vcc_lo, s2, v8
	s_wait_alu 0xfffd
	v_add_co_ci_u32_e64 v2, null, s3, v13, vcc_lo
	v_cmp_le_i32_e32 vcc_lo, s22, v14
	v_add_co_u32 v8, s0, v8, s12
	v_pack_b32_f16 v4, v3, v4
	v_pack_b32_f16 v3, v5, v6
	s_wait_alu 0xf1ff
	v_add_co_ci_u32_e64 v13, null, s13, v13, s0
	s_or_b32 s19, vcc_lo, s19
	global_store_b64 v[1:2], v[3:4], off
	s_wait_alu 0xfffe
	s_and_not1_b32 exec_lo, exec_lo, s19
	s_cbranch_execz .LBB6_44
.LBB6_32:                               ; =>This Inner Loop Header: Depth=1
	v_add_co_u32 v1, vcc_lo, s14, v8
	s_wait_alu 0xfffd
	v_add_co_ci_u32_e64 v2, null, s15, v13, vcc_lo
	s_and_b32 vcc_lo, exec_lo, s1
	s_mov_b32 s0, -1
                                        ; implicit-def: $vgpr3_vgpr4
                                        ; implicit-def: $vgpr5_vgpr6
	global_load_b64 v[1:2], v[1:2], off offset:-4
	s_wait_alu 0xfffe
	s_cbranch_vccz .LBB6_42
; %bb.33:                               ;   in Loop: Header=BB6_32 Depth=1
	s_and_b32 vcc_lo, exec_lo, s24
                                        ; implicit-def: $vgpr3_vgpr4
                                        ; implicit-def: $vgpr5_vgpr6
	s_wait_alu 0xfffe
	s_cbranch_vccz .LBB6_39
; %bb.34:                               ;   in Loop: Header=BB6_32 Depth=1
	v_cmp_ne_u32_e32 vcc_lo, 1, v10
                                        ; implicit-def: $vgpr3_vgpr4
                                        ; implicit-def: $vgpr5_vgpr6
	s_cbranch_vccnz .LBB6_36
; %bb.35:                               ;   in Loop: Header=BB6_32 Depth=1
	s_wait_loadcnt 0x0
	v_lshrrev_b32_e32 v3, 16, v1
	v_lshrrev_b32_e32 v4, 16, v2
	v_cvt_f32_f16_e32 v5, v1
	v_cvt_f32_f16_e32 v6, v2
	s_mov_b32 s0, 0
	v_cvt_f32_f16_e32 v3, v3
	v_cvt_f32_f16_e32 v4, v4
	s_delay_alu instid0(VALU_DEP_2) | instskip(SKIP_2) | instid1(VALU_DEP_1)
	v_sub_f32_e32 v15, v3, v12
	v_sub_f32_e32 v5, v5, v0
	;; [unrolled: 1-line block ×3, first 2 shown]
	v_dual_sub_f32 v4, v4, v12 :: v_dual_mul_f32 v3, v9, v6
	s_delay_alu instid0(VALU_DEP_3) | instskip(NEXT) | instid1(VALU_DEP_2)
	v_dual_mul_f32 v6, v11, v15 :: v_dual_mul_f32 v5, v9, v5
	v_mul_f32_e32 v4, v11, v4
.LBB6_36:                               ;   in Loop: Header=BB6_32 Depth=1
	s_wait_alu 0xfffe
	s_and_not1_b32 vcc_lo, exec_lo, s0
	s_wait_alu 0xfffe
	s_cbranch_vccnz .LBB6_38
; %bb.37:                               ;   in Loop: Header=BB6_32 Depth=1
	v_add_co_u32 v3, vcc_lo, s6, v8
	s_wait_alu 0xfffd
	v_add_co_ci_u32_e64 v4, null, s7, v13, vcc_lo
	s_wait_loadcnt 0x0
	v_lshrrev_b32_e32 v5, 16, v1
	v_lshrrev_b32_e32 v6, 16, v2
	v_cvt_f32_f16_e32 v15, v1
	global_load_b64 v[3:4], v[3:4], off
	v_cvt_f32_f16_e32 v16, v2
	v_cvt_f32_f16_e32 v5, v5
	;; [unrolled: 1-line block ×3, first 2 shown]
	v_sub_f32_e32 v15, v15, v0
	s_delay_alu instid0(VALU_DEP_4) | instskip(NEXT) | instid1(VALU_DEP_4)
	v_sub_f32_e32 v16, v16, v0
	v_sub_f32_e32 v17, v5, v12
	s_delay_alu instid0(VALU_DEP_4) | instskip(SKIP_2) | instid1(VALU_DEP_3)
	v_sub_f32_e32 v18, v6, v12
	s_wait_loadcnt 0x0
	v_fma_mix_f32 v5, v9, v15, v3 op_sel_hi:[0,0,1]
	v_fma_mix_f32 v6, v11, v17, v3 op_sel:[0,0,1] op_sel_hi:[0,0,1]
	v_fma_mix_f32 v3, v9, v16, v4 op_sel_hi:[0,0,1]
	v_fma_mix_f32 v4, v11, v18, v4 op_sel:[0,0,1] op_sel_hi:[0,0,1]
.LBB6_38:                               ;   in Loop: Header=BB6_32 Depth=1
	s_mov_b32 s0, 0
.LBB6_39:                               ;   in Loop: Header=BB6_32 Depth=1
	s_wait_alu 0xfffe
	s_and_not1_b32 vcc_lo, exec_lo, s0
	s_wait_alu 0xfffe
	s_cbranch_vccnz .LBB6_41
; %bb.40:                               ;   in Loop: Header=BB6_32 Depth=1
	v_add_co_u32 v3, vcc_lo, s4, v8
	s_wait_alu 0xfffd
	v_add_co_ci_u32_e64 v4, null, s5, v13, vcc_lo
	s_wait_loadcnt 0x0
	v_lshrrev_b32_e32 v15, 16, v2
	v_lshrrev_b32_e32 v5, 16, v1
	v_cvt_f32_f16_e32 v16, v2
	global_load_b64 v[3:4], v[3:4], off offset:-4
	v_cvt_f32_f16_e32 v6, v1
	v_cvt_f32_f16_e32 v15, v15
	;; [unrolled: 1-line block ×3, first 2 shown]
	s_delay_alu instid0(VALU_DEP_2) | instskip(NEXT) | instid1(VALU_DEP_1)
	v_sub_f32_e32 v15, v15, v12
	v_dual_sub_f32 v16, v16, v0 :: v_dual_mul_f32 v15, v11, v15
	s_wait_loadcnt 0x0
	v_lshrrev_b32_e32 v18, 16, v4
	v_cvt_f32_f16_e32 v4, v4
	s_delay_alu instid0(VALU_DEP_2) | instskip(SKIP_1) | instid1(VALU_DEP_1)
	v_cvt_f32_f16_e32 v18, v18
	v_sub_f32_e32 v5, v5, v12
	v_dual_sub_f32 v6, v6, v0 :: v_dual_mul_f32 v17, v11, v5
	v_lshrrev_b32_e32 v5, 16, v3
	v_cvt_f32_f16_e32 v3, v3
	v_mul_f32_e32 v16, v9, v16
	s_delay_alu instid0(VALU_DEP_4) | instskip(NEXT) | instid1(VALU_DEP_4)
	v_mul_f32_e32 v6, v9, v6
	v_cvt_f32_f16_e32 v19, v5
	s_delay_alu instid0(VALU_DEP_2) | instskip(NEXT) | instid1(VALU_DEP_2)
	v_mul_f32_e32 v5, v6, v3
	v_dual_mul_f32 v3, v16, v4 :: v_dual_mul_f32 v6, v17, v19
	v_mul_f32_e32 v4, v15, v18
.LBB6_41:                               ;   in Loop: Header=BB6_32 Depth=1
	s_mov_b32 s0, 0
.LBB6_42:                               ;   in Loop: Header=BB6_32 Depth=1
	s_wait_alu 0xfffe
	s_and_not1_b32 vcc_lo, exec_lo, s0
	s_wait_alu 0xfffe
	s_cbranch_vccnz .LBB6_31
; %bb.43:                               ;   in Loop: Header=BB6_32 Depth=1
	v_add_co_u32 v3, vcc_lo, s4, v8
	s_wait_alu 0xfffd
	v_add_co_ci_u32_e64 v4, null, s5, v13, vcc_lo
	v_add_co_u32 v5, vcc_lo, s6, v8
	s_wait_alu 0xfffd
	v_add_co_ci_u32_e64 v6, null, s7, v13, vcc_lo
	global_load_b64 v[3:4], v[3:4], off offset:-4
	global_load_b64 v[15:16], v[5:6], off
	s_wait_loadcnt 0x2
	v_lshrrev_b32_e32 v5, 16, v1
	v_lshrrev_b32_e32 v6, 16, v2
	v_cvt_f32_f16_e32 v1, v1
	v_cvt_f32_f16_e32 v2, v2
	s_delay_alu instid0(VALU_DEP_4) | instskip(NEXT) | instid1(VALU_DEP_4)
	v_cvt_f32_f16_e32 v5, v5
	v_cvt_f32_f16_e32 v6, v6
	s_delay_alu instid0(VALU_DEP_2) | instskip(NEXT) | instid1(VALU_DEP_1)
	v_sub_f32_e32 v5, v5, v12
	v_dual_sub_f32 v6, v6, v12 :: v_dual_mul_f32 v17, v11, v5
	s_delay_alu instid0(VALU_DEP_1) | instskip(NEXT) | instid1(VALU_DEP_1)
	v_dual_sub_f32 v1, v1, v0 :: v_dual_mul_f32 v18, v11, v6
	v_dual_sub_f32 v2, v2, v0 :: v_dual_mul_f32 v1, v9, v1
	s_delay_alu instid0(VALU_DEP_1) | instskip(SKIP_1) | instid1(VALU_DEP_2)
	v_mul_f32_e32 v2, v9, v2
	s_wait_loadcnt 0x0
	v_fma_mix_f32 v5, v1, v3, v15 op_sel_hi:[0,1,1]
	v_fma_mix_f32 v6, v17, v3, v15 op_sel:[0,1,1] op_sel_hi:[0,1,1]
	s_delay_alu instid0(VALU_DEP_3)
	v_fma_mix_f32 v3, v2, v4, v16 op_sel_hi:[0,1,1]
	v_fma_mix_f32 v4, v18, v4, v16 op_sel:[0,1,1] op_sel_hi:[0,1,1]
	s_branch .LBB6_31
.LBB6_44:
	s_wait_alu 0xfffe
	s_or_b32 exec_lo, exec_lo, s23
	s_wait_kmcnt 0x0
	s_mov_b32 s0, exec_lo
	v_cmpx_eq_u32_e32 0, v7
	s_cbranch_execz .LBB6_46
; %bb.45:
	v_mov_b32_e32 v1, 0
	s_lshl_b64 s[0:1], s[16:17], 2
	s_wait_alu 0xfffe
	s_add_nc_u64 s[2:3], s[8:9], s[0:1]
	s_add_nc_u64 s[0:1], s[10:11], s[0:1]
	s_clause 0x1
	global_store_b32 v1, v0, s[2:3]
	global_store_b32 v1, v9, s[0:1]
.LBB6_46:
	s_endpgm
	.section	.rodata,"a",@progbits
	.p2align	6, 0x0
	.amdhsa_kernel _ZN2at6native12_GLOBAL__N_128vectorized_layer_norm_kernelIN3c104HalfEfLb0EEEviT0_PKT_S8_S8_PS5_S9_PS6_
		.amdhsa_group_segment_fixed_size 0
		.amdhsa_private_segment_fixed_size 0
		.amdhsa_kernarg_size 312
		.amdhsa_user_sgpr_count 2
		.amdhsa_user_sgpr_dispatch_ptr 0
		.amdhsa_user_sgpr_queue_ptr 0
		.amdhsa_user_sgpr_kernarg_segment_ptr 1
		.amdhsa_user_sgpr_dispatch_id 0
		.amdhsa_user_sgpr_private_segment_size 0
		.amdhsa_wavefront_size32 1
		.amdhsa_uses_dynamic_stack 0
		.amdhsa_enable_private_segment 0
		.amdhsa_system_sgpr_workgroup_id_x 1
		.amdhsa_system_sgpr_workgroup_id_y 0
		.amdhsa_system_sgpr_workgroup_id_z 0
		.amdhsa_system_sgpr_workgroup_info 0
		.amdhsa_system_vgpr_workitem_id 1
		.amdhsa_next_free_vgpr 29
		.amdhsa_next_free_sgpr 25
		.amdhsa_reserve_vcc 1
		.amdhsa_float_round_mode_32 0
		.amdhsa_float_round_mode_16_64 0
		.amdhsa_float_denorm_mode_32 3
		.amdhsa_float_denorm_mode_16_64 3
		.amdhsa_fp16_overflow 0
		.amdhsa_workgroup_processor_mode 1
		.amdhsa_memory_ordered 1
		.amdhsa_forward_progress 1
		.amdhsa_inst_pref_size 30
		.amdhsa_round_robin_scheduling 0
		.amdhsa_exception_fp_ieee_invalid_op 0
		.amdhsa_exception_fp_denorm_src 0
		.amdhsa_exception_fp_ieee_div_zero 0
		.amdhsa_exception_fp_ieee_overflow 0
		.amdhsa_exception_fp_ieee_underflow 0
		.amdhsa_exception_fp_ieee_inexact 0
		.amdhsa_exception_int_div_zero 0
	.end_amdhsa_kernel
	.section	.text._ZN2at6native12_GLOBAL__N_128vectorized_layer_norm_kernelIN3c104HalfEfLb0EEEviT0_PKT_S8_S8_PS5_S9_PS6_,"axG",@progbits,_ZN2at6native12_GLOBAL__N_128vectorized_layer_norm_kernelIN3c104HalfEfLb0EEEviT0_PKT_S8_S8_PS5_S9_PS6_,comdat
.Lfunc_end6:
	.size	_ZN2at6native12_GLOBAL__N_128vectorized_layer_norm_kernelIN3c104HalfEfLb0EEEviT0_PKT_S8_S8_PS5_S9_PS6_, .Lfunc_end6-_ZN2at6native12_GLOBAL__N_128vectorized_layer_norm_kernelIN3c104HalfEfLb0EEEviT0_PKT_S8_S8_PS5_S9_PS6_
                                        ; -- End function
	.set _ZN2at6native12_GLOBAL__N_128vectorized_layer_norm_kernelIN3c104HalfEfLb0EEEviT0_PKT_S8_S8_PS5_S9_PS6_.num_vgpr, 29
	.set _ZN2at6native12_GLOBAL__N_128vectorized_layer_norm_kernelIN3c104HalfEfLb0EEEviT0_PKT_S8_S8_PS5_S9_PS6_.num_agpr, 0
	.set _ZN2at6native12_GLOBAL__N_128vectorized_layer_norm_kernelIN3c104HalfEfLb0EEEviT0_PKT_S8_S8_PS5_S9_PS6_.numbered_sgpr, 25
	.set _ZN2at6native12_GLOBAL__N_128vectorized_layer_norm_kernelIN3c104HalfEfLb0EEEviT0_PKT_S8_S8_PS5_S9_PS6_.num_named_barrier, 0
	.set _ZN2at6native12_GLOBAL__N_128vectorized_layer_norm_kernelIN3c104HalfEfLb0EEEviT0_PKT_S8_S8_PS5_S9_PS6_.private_seg_size, 0
	.set _ZN2at6native12_GLOBAL__N_128vectorized_layer_norm_kernelIN3c104HalfEfLb0EEEviT0_PKT_S8_S8_PS5_S9_PS6_.uses_vcc, 1
	.set _ZN2at6native12_GLOBAL__N_128vectorized_layer_norm_kernelIN3c104HalfEfLb0EEEviT0_PKT_S8_S8_PS5_S9_PS6_.uses_flat_scratch, 0
	.set _ZN2at6native12_GLOBAL__N_128vectorized_layer_norm_kernelIN3c104HalfEfLb0EEEviT0_PKT_S8_S8_PS5_S9_PS6_.has_dyn_sized_stack, 0
	.set _ZN2at6native12_GLOBAL__N_128vectorized_layer_norm_kernelIN3c104HalfEfLb0EEEviT0_PKT_S8_S8_PS5_S9_PS6_.has_recursion, 0
	.set _ZN2at6native12_GLOBAL__N_128vectorized_layer_norm_kernelIN3c104HalfEfLb0EEEviT0_PKT_S8_S8_PS5_S9_PS6_.has_indirect_call, 0
	.section	.AMDGPU.csdata,"",@progbits
; Kernel info:
; codeLenInByte = 3816
; TotalNumSgprs: 27
; NumVgprs: 29
; ScratchSize: 0
; MemoryBound: 0
; FloatMode: 240
; IeeeMode: 1
; LDSByteSize: 0 bytes/workgroup (compile time only)
; SGPRBlocks: 0
; VGPRBlocks: 3
; NumSGPRsForWavesPerEU: 27
; NumVGPRsForWavesPerEU: 29
; Occupancy: 16
; WaveLimiterHint : 0
; COMPUTE_PGM_RSRC2:SCRATCH_EN: 0
; COMPUTE_PGM_RSRC2:USER_SGPR: 2
; COMPUTE_PGM_RSRC2:TRAP_HANDLER: 0
; COMPUTE_PGM_RSRC2:TGID_X_EN: 1
; COMPUTE_PGM_RSRC2:TGID_Y_EN: 0
; COMPUTE_PGM_RSRC2:TGID_Z_EN: 0
; COMPUTE_PGM_RSRC2:TIDIG_COMP_CNT: 1
	.section	.text._ZN2at6native12_GLOBAL__N_124RowwiseMomentsCUDAKernelIN3c104HalfEfLb0EEEvlT0_PKT_PS5_S9_,"axG",@progbits,_ZN2at6native12_GLOBAL__N_124RowwiseMomentsCUDAKernelIN3c104HalfEfLb0EEEvlT0_PKT_PS5_S9_,comdat
	.globl	_ZN2at6native12_GLOBAL__N_124RowwiseMomentsCUDAKernelIN3c104HalfEfLb0EEEvlT0_PKT_PS5_S9_ ; -- Begin function _ZN2at6native12_GLOBAL__N_124RowwiseMomentsCUDAKernelIN3c104HalfEfLb0EEEvlT0_PKT_PS5_S9_
	.p2align	8
	.type	_ZN2at6native12_GLOBAL__N_124RowwiseMomentsCUDAKernelIN3c104HalfEfLb0EEEvlT0_PKT_PS5_S9_,@function
_ZN2at6native12_GLOBAL__N_124RowwiseMomentsCUDAKernelIN3c104HalfEfLb0EEEvlT0_PKT_PS5_S9_: ; @_ZN2at6native12_GLOBAL__N_124RowwiseMomentsCUDAKernelIN3c104HalfEfLb0EEEvlT0_PKT_PS5_S9_
; %bb.0:
	s_clause 0x2
	s_load_b64 s[12:13], s[0:1], 0x0
	s_load_b128 s[4:7], s[0:1], 0x10
	s_load_b64 s[8:9], s[0:1], 0x20
	v_dual_mov_b32 v1, 0 :: v_dual_mov_b32 v2, 0
	v_mov_b32_e32 v3, 0
	s_mov_b32 s10, ttmp9
	s_mov_b32 s11, 0
	s_delay_alu instid0(VALU_DEP_2)
	v_dual_mov_b32 v8, v1 :: v_dual_mov_b32 v9, v1
	s_mov_b32 s3, exec_lo
	s_wait_kmcnt 0x0
	v_cmpx_gt_i64_e64 s[12:13], v[0:1]
	s_cbranch_execz .LBB7_4
; %bb.1:
	s_load_b32 s2, s[0:1], 0x34
	s_mul_u64 s[14:15], s[12:13], s[10:11]
	v_dual_mov_b32 v5, v1 :: v_dual_lshlrev_b32 v2, 1, v0
	s_lshl_b64 s[14:15], s[14:15], 1
	v_dual_mov_b32 v8, 0 :: v_dual_mov_b32 v9, 0
	s_add_nc_u64 s[4:5], s[4:5], s[14:15]
	v_mov_b32_e32 v4, v0
	v_add_co_u32 v6, s4, s4, v2
	s_wait_alu 0xf1ff
	v_add_co_ci_u32_e64 v7, null, s5, 0, s4
	s_mov_b64 s[4:5], 0
	s_mov_b32 s15, s11
	s_wait_kmcnt 0x0
	s_and_b32 s14, s2, 0xffff
	s_delay_alu instid0(SALU_CYCLE_1)
	s_lshl_b32 s16, s14, 1
.LBB7_2:                                ; =>This Inner Loop Header: Depth=1
	global_load_u16 v1, v[6:7], off
	s_wait_alu 0xfffe
	s_add_nc_u64 s[4:5], s[4:5], 1
	s_wait_alu 0xfffe
	s_clz_i32_u32 s2, s5
	s_wait_alu 0xfffe
	s_min_u32 s2, s2, 32
	s_wait_alu 0xfffe
	s_lshl_b64 s[18:19], s[4:5], s2
	s_sub_co_i32 s2, 32, s2
	s_min_u32 s17, s18, 1
	s_wait_alu 0xfffe
	s_or_b32 s17, s19, s17
	s_wait_alu 0xfffe
	s_cvt_f32_u32 s17, s17
	s_wait_loadcnt 0x0
	v_cvt_f32_f16_e32 v2, v1
	s_wait_alu 0xfffe
	v_ldexp_f32 v1, s17, s2
	s_delay_alu instid0(VALU_DEP_2) | instskip(NEXT) | instid1(VALU_DEP_1)
	v_sub_f32_e32 v10, v2, v9
	v_div_scale_f32 v3, null, v1, v1, v10
	s_delay_alu instid0(VALU_DEP_1) | instskip(NEXT) | instid1(TRANS32_DEP_1)
	v_rcp_f32_e32 v11, v3
	v_fma_f32 v12, -v3, v11, 1.0
	s_delay_alu instid0(VALU_DEP_1) | instskip(SKIP_1) | instid1(VALU_DEP_1)
	v_fmac_f32_e32 v11, v12, v11
	v_div_scale_f32 v13, vcc_lo, v10, v1, v10
	v_mul_f32_e32 v12, v13, v11
	s_delay_alu instid0(VALU_DEP_1) | instskip(NEXT) | instid1(VALU_DEP_1)
	v_fma_f32 v14, -v3, v12, v13
	v_fmac_f32_e32 v12, v14, v11
	s_delay_alu instid0(VALU_DEP_1) | instskip(SKIP_1) | instid1(VALU_DEP_1)
	v_fma_f32 v3, -v3, v12, v13
	s_wait_alu 0xfffd
	v_div_fmas_f32 v3, v3, v11, v12
	v_add_co_u32 v4, vcc_lo, v4, s14
	s_wait_alu 0xfffd
	v_add_co_ci_u32_e64 v5, null, 0, v5, vcc_lo
	s_delay_alu instid0(VALU_DEP_3) | instskip(SKIP_1) | instid1(VALU_DEP_3)
	v_div_fixup_f32 v3, v3, v1, v10
	v_add_co_u32 v6, vcc_lo, v6, s16
	v_cmp_le_i64_e64 s2, s[12:13], v[4:5]
	s_wait_alu 0xfffd
	v_add_co_ci_u32_e64 v7, null, 0, v7, vcc_lo
	v_add_f32_e32 v9, v9, v3
	s_delay_alu instid0(VALU_DEP_3) | instskip(NEXT) | instid1(VALU_DEP_1)
	s_or_b32 s15, s2, s15
	v_dual_sub_f32 v11, v2, v9 :: v_dual_mov_b32 v2, s4
	s_delay_alu instid0(VALU_DEP_1)
	v_dual_mov_b32 v3, s5 :: v_dual_fmac_f32 v8, v10, v11
	s_wait_alu 0xfffe
	s_and_not1_b32 exec_lo, exec_lo, s15
	s_cbranch_execnz .LBB7_2
; %bb.3:
	s_or_b32 exec_lo, exec_lo, s15
.LBB7_4:
	s_delay_alu instid0(SALU_CYCLE_1) | instskip(SKIP_2) | instid1(VALU_DEP_1)
	s_or_b32 exec_lo, exec_lo, s3
	v_mbcnt_lo_u32_b32 v11, -1, 0
	s_mov_b32 s2, exec_lo
	v_lshl_or_b32 v7, v11, 2, 64
	ds_bpermute_b32 v12, v7, v9
	ds_bpermute_b32 v6, v7, v8
	;; [unrolled: 1-line block ×5, first 2 shown]
	v_cmpx_neq_f32_e32 0, v1
	s_cbranch_execz .LBB7_8
; %bb.5:
	s_mov_b32 s3, exec_lo
	s_wait_dscnt 0x0
	v_cmpx_neq_f32_e32 0, v14
	s_cbranch_execz .LBB7_7
; %bb.6:
	v_add_f32_e32 v4, v1, v14
	v_add_f32_e32 v8, v8, v6
	s_delay_alu instid0(VALU_DEP_2) | instskip(SKIP_1) | instid1(VALU_DEP_2)
	v_div_scale_f32 v2, null, v4, v4, v14
	v_div_scale_f32 v10, vcc_lo, v14, v4, v14
	v_rcp_f32_e32 v3, v2
	s_delay_alu instid0(TRANS32_DEP_1) | instskip(NEXT) | instid1(VALU_DEP_1)
	v_fma_f32 v5, -v2, v3, 1.0
	v_fmac_f32_e32 v3, v5, v3
	s_delay_alu instid0(VALU_DEP_1) | instskip(NEXT) | instid1(VALU_DEP_1)
	v_mul_f32_e32 v5, v10, v3
	v_fma_f32 v13, -v2, v5, v10
	s_delay_alu instid0(VALU_DEP_1) | instskip(NEXT) | instid1(VALU_DEP_1)
	v_fmac_f32_e32 v5, v13, v3
	v_fma_f32 v2, -v2, v5, v10
	v_sub_f32_e32 v10, v12, v9
	s_wait_alu 0xfffd
	s_delay_alu instid0(VALU_DEP_2) | instskip(NEXT) | instid1(VALU_DEP_1)
	v_div_fmas_f32 v2, v2, v3, v5
	v_div_fixup_f32 v5, v2, v4, v14
	s_delay_alu instid0(VALU_DEP_3) | instskip(NEXT) | instid1(VALU_DEP_2)
	v_mul_f32_e32 v3, v10, v10
	v_fmac_f32_e32 v9, v10, v5
	s_delay_alu instid0(VALU_DEP_2) | instskip(NEXT) | instid1(VALU_DEP_1)
	v_dual_mul_f32 v1, v1, v3 :: v_dual_mov_b32 v2, -1
	v_dual_mov_b32 v3, -1 :: v_dual_fmac_f32 v8, v1, v5
	v_mov_b32_e32 v1, v4
.LBB7_7:
	s_wait_alu 0xfffe
	s_or_b32 exec_lo, exec_lo, s3
	s_delay_alu instid0(VALU_DEP_1)
	v_dual_mov_b32 v14, v1 :: v_dual_mov_b32 v5, v3
	v_mov_b32_e32 v4, v2
	v_mov_b32_e32 v6, v8
	;; [unrolled: 1-line block ×3, first 2 shown]
.LBB7_8:
	s_wait_alu 0xfffe
	s_or_b32 exec_lo, exec_lo, s2
	v_cmp_gt_u32_e32 vcc_lo, 24, v11
	s_mov_b32 s2, exec_lo
	s_wait_alu 0xfffd
	v_cndmask_b32_e64 v1, 0, 8, vcc_lo
	s_delay_alu instid0(VALU_DEP_1)
	v_add_lshl_u32 v8, v1, v11, 2
	s_wait_dscnt 0x4
	ds_bpermute_b32 v13, v8, v12
	s_wait_dscnt 0x4
	ds_bpermute_b32 v10, v8, v6
	;; [unrolled: 2-line block ×5, first 2 shown]
	v_cmpx_neq_f32_e32 0, v14
	s_cbranch_execz .LBB7_12
; %bb.9:
	s_mov_b32 s3, exec_lo
	s_wait_dscnt 0x0
	v_cmpx_neq_f32_e32 0, v15
	s_cbranch_execz .LBB7_11
; %bb.10:
	v_add_f32_e32 v1, v14, v15
	v_add_f32_e32 v6, v6, v10
	s_delay_alu instid0(VALU_DEP_2) | instskip(SKIP_1) | instid1(VALU_DEP_2)
	v_div_scale_f32 v2, null, v1, v1, v15
	v_div_scale_f32 v5, vcc_lo, v15, v1, v15
	v_rcp_f32_e32 v3, v2
	s_delay_alu instid0(TRANS32_DEP_1) | instskip(NEXT) | instid1(VALU_DEP_1)
	v_fma_f32 v4, -v2, v3, 1.0
	v_fmac_f32_e32 v3, v4, v3
	s_delay_alu instid0(VALU_DEP_1) | instskip(NEXT) | instid1(VALU_DEP_1)
	v_mul_f32_e32 v4, v5, v3
	v_fma_f32 v9, -v2, v4, v5
	s_delay_alu instid0(VALU_DEP_1) | instskip(NEXT) | instid1(VALU_DEP_1)
	v_fmac_f32_e32 v4, v9, v3
	v_fma_f32 v2, -v2, v4, v5
	s_wait_alu 0xfffd
	s_delay_alu instid0(VALU_DEP_1) | instskip(SKIP_2) | instid1(VALU_DEP_3)
	v_div_fmas_f32 v2, v2, v3, v4
	v_mov_b32_e32 v4, -1
	v_mov_b32_e32 v5, -1
	v_div_fixup_f32 v2, v2, v1, v15
	v_sub_f32_e32 v9, v13, v12
	s_delay_alu instid0(VALU_DEP_1) | instskip(NEXT) | instid1(VALU_DEP_1)
	v_mul_f32_e32 v3, v9, v9
	v_dual_mul_f32 v3, v14, v3 :: v_dual_mov_b32 v14, v1
	s_delay_alu instid0(VALU_DEP_1)
	v_fmac_f32_e32 v6, v3, v2
	v_fmac_f32_e32 v12, v9, v2
.LBB7_11:
	s_wait_alu 0xfffe
	s_or_b32 exec_lo, exec_lo, s3
	s_delay_alu instid0(VALU_DEP_2)
	v_dual_mov_b32 v1, v4 :: v_dual_mov_b32 v10, v6
	v_dual_mov_b32 v15, v14 :: v_dual_mov_b32 v2, v5
	v_mov_b32_e32 v13, v12
.LBB7_12:
	s_wait_alu 0xfffe
	s_or_b32 exec_lo, exec_lo, s2
	v_cmp_gt_u32_e32 vcc_lo, 28, v11
	s_mov_b32 s2, exec_lo
	s_wait_alu 0xfffd
	v_cndmask_b32_e64 v3, 0, 4, vcc_lo
	s_delay_alu instid0(VALU_DEP_1)
	v_add_lshl_u32 v9, v3, v11, 2
	s_wait_dscnt 0x4
	ds_bpermute_b32 v14, v9, v13
	s_wait_dscnt 0x4
	ds_bpermute_b32 v12, v9, v10
	;; [unrolled: 2-line block ×5, first 2 shown]
	v_cmpx_neq_f32_e32 0, v15
	s_cbranch_execz .LBB7_16
; %bb.13:
	s_mov_b32 s3, exec_lo
	s_wait_dscnt 0x0
	v_cmpx_neq_f32_e32 0, v16
	s_cbranch_execz .LBB7_15
; %bb.14:
	v_add_f32_e32 v3, v15, v16
	v_add_f32_e32 v10, v10, v12
	s_delay_alu instid0(VALU_DEP_2) | instskip(NEXT) | instid1(VALU_DEP_1)
	v_div_scale_f32 v1, null, v3, v3, v16
	v_rcp_f32_e32 v2, v1
	s_delay_alu instid0(TRANS32_DEP_1) | instskip(NEXT) | instid1(VALU_DEP_1)
	v_fma_f32 v4, -v1, v2, 1.0
	v_fmac_f32_e32 v2, v4, v2
	v_div_scale_f32 v5, vcc_lo, v16, v3, v16
	s_delay_alu instid0(VALU_DEP_1) | instskip(NEXT) | instid1(VALU_DEP_1)
	v_mul_f32_e32 v4, v5, v2
	v_fma_f32 v6, -v1, v4, v5
	s_delay_alu instid0(VALU_DEP_1) | instskip(NEXT) | instid1(VALU_DEP_1)
	v_fmac_f32_e32 v4, v6, v2
	v_fma_f32 v1, -v1, v4, v5
	v_sub_f32_e32 v5, v14, v13
	s_wait_alu 0xfffd
	s_delay_alu instid0(VALU_DEP_2) | instskip(NEXT) | instid1(VALU_DEP_2)
	v_div_fmas_f32 v1, v1, v2, v4
	v_mul_f32_e32 v2, v5, v5
	s_delay_alu instid0(VALU_DEP_2) | instskip(NEXT) | instid1(VALU_DEP_2)
	v_div_fixup_f32 v4, v1, v3, v16
	v_dual_mul_f32 v6, v15, v2 :: v_dual_mov_b32 v1, -1
	v_dual_mov_b32 v2, -1 :: v_dual_mov_b32 v15, v3
	s_delay_alu instid0(VALU_DEP_3) | instskip(NEXT) | instid1(VALU_DEP_3)
	v_fmac_f32_e32 v13, v5, v4
	v_fmac_f32_e32 v10, v6, v4
.LBB7_15:
	s_wait_alu 0xfffe
	s_or_b32 exec_lo, exec_lo, s3
	v_mov_b32_e32 v4, v2
	v_dual_mov_b32 v16, v15 :: v_dual_mov_b32 v3, v1
	v_mov_b32_e32 v12, v10
	v_mov_b32_e32 v14, v13
.LBB7_16:
	s_wait_alu 0xfffe
	s_or_b32 exec_lo, exec_lo, s2
	v_cmp_gt_u32_e32 vcc_lo, 30, v11
	s_mov_b32 s2, exec_lo
	s_wait_alu 0xfffd
	v_cndmask_b32_e64 v1, 0, 2, vcc_lo
	s_delay_alu instid0(VALU_DEP_1)
	v_add_lshl_u32 v10, v1, v11, 2
	s_wait_dscnt 0x4
	ds_bpermute_b32 v15, v10, v14
	s_wait_dscnt 0x4
	ds_bpermute_b32 v13, v10, v12
	;; [unrolled: 2-line block ×5, first 2 shown]
	v_cmpx_neq_f32_e32 0, v16
	s_cbranch_execz .LBB7_20
; %bb.17:
	s_mov_b32 s3, exec_lo
	s_wait_dscnt 0x0
	v_cmpx_neq_f32_e32 0, v17
	s_cbranch_execz .LBB7_19
; %bb.18:
	v_add_f32_e32 v1, v16, v17
	v_add_f32_e32 v12, v12, v13
	s_delay_alu instid0(VALU_DEP_2) | instskip(SKIP_1) | instid1(VALU_DEP_2)
	v_div_scale_f32 v2, null, v1, v1, v17
	v_div_scale_f32 v5, vcc_lo, v17, v1, v17
	v_rcp_f32_e32 v3, v2
	s_delay_alu instid0(TRANS32_DEP_1) | instskip(NEXT) | instid1(VALU_DEP_1)
	v_fma_f32 v4, -v2, v3, 1.0
	v_fmac_f32_e32 v3, v4, v3
	s_delay_alu instid0(VALU_DEP_1) | instskip(NEXT) | instid1(VALU_DEP_1)
	v_mul_f32_e32 v4, v5, v3
	v_fma_f32 v6, -v2, v4, v5
	s_delay_alu instid0(VALU_DEP_1) | instskip(NEXT) | instid1(VALU_DEP_1)
	v_fmac_f32_e32 v4, v6, v3
	v_fma_f32 v2, -v2, v4, v5
	v_sub_f32_e32 v5, v15, v14
	s_wait_alu 0xfffd
	s_delay_alu instid0(VALU_DEP_2) | instskip(NEXT) | instid1(VALU_DEP_1)
	v_div_fmas_f32 v2, v2, v3, v4
	v_div_fixup_f32 v2, v2, v1, v17
	s_delay_alu instid0(VALU_DEP_3) | instskip(NEXT) | instid1(VALU_DEP_2)
	v_mul_f32_e32 v3, v5, v5
	v_fmac_f32_e32 v14, v5, v2
	s_delay_alu instid0(VALU_DEP_2) | instskip(SKIP_2) | instid1(VALU_DEP_3)
	v_dual_mul_f32 v6, v16, v3 :: v_dual_mov_b32 v3, -1
	v_mov_b32_e32 v4, -1
	v_mov_b32_e32 v16, v1
	v_fmac_f32_e32 v12, v6, v2
.LBB7_19:
	s_wait_alu 0xfffe
	s_or_b32 exec_lo, exec_lo, s3
	s_delay_alu instid0(VALU_DEP_2)
	v_dual_mov_b32 v17, v16 :: v_dual_mov_b32 v6, v4
	v_mov_b32_e32 v5, v3
	v_mov_b32_e32 v13, v12
	;; [unrolled: 1-line block ×3, first 2 shown]
.LBB7_20:
	s_wait_alu 0xfffe
	s_or_b32 exec_lo, exec_lo, s2
	v_cmp_ne_u32_e32 vcc_lo, 31, v11
	s_mov_b32 s2, exec_lo
	s_wait_alu 0xfffd
	v_add_co_ci_u32_e64 v1, null, 0, v11, vcc_lo
	s_delay_alu instid0(VALU_DEP_1)
	v_lshlrev_b32_e32 v11, 2, v1
	s_wait_dscnt 0x4
	ds_bpermute_b32 v1, v11, v15
	s_wait_dscnt 0x4
	ds_bpermute_b32 v2, v11, v13
	;; [unrolled: 2-line block ×5, first 2 shown]
	v_cmpx_neq_f32_e32 0, v17
	s_cbranch_execz .LBB7_24
; %bb.21:
	s_mov_b32 s3, exec_lo
	s_wait_dscnt 0x0
	v_cmpx_neq_f32_e32 0, v12
	s_cbranch_execz .LBB7_23
; %bb.22:
	v_add_f32_e32 v3, v17, v12
	v_add_f32_e32 v13, v13, v2
	v_sub_f32_e32 v1, v1, v15
	s_delay_alu instid0(VALU_DEP_3) | instskip(SKIP_1) | instid1(VALU_DEP_2)
	v_div_scale_f32 v4, null, v3, v3, v12
	v_div_scale_f32 v14, vcc_lo, v12, v3, v12
	v_rcp_f32_e32 v5, v4
	s_delay_alu instid0(TRANS32_DEP_1) | instskip(NEXT) | instid1(VALU_DEP_1)
	v_fma_f32 v6, -v4, v5, 1.0
	v_fmac_f32_e32 v5, v6, v5
	s_delay_alu instid0(VALU_DEP_1) | instskip(NEXT) | instid1(VALU_DEP_1)
	v_mul_f32_e32 v6, v14, v5
	v_fma_f32 v16, -v4, v6, v14
	s_delay_alu instid0(VALU_DEP_1) | instskip(NEXT) | instid1(VALU_DEP_1)
	v_fmac_f32_e32 v6, v16, v5
	v_fma_f32 v4, -v4, v6, v14
	s_wait_alu 0xfffd
	s_delay_alu instid0(VALU_DEP_1) | instskip(SKIP_1) | instid1(VALU_DEP_2)
	v_div_fmas_f32 v4, v4, v5, v6
	v_mul_f32_e32 v5, v1, v1
	v_div_fixup_f32 v2, v4, v3, v12
	s_delay_alu instid0(VALU_DEP_2) | instskip(SKIP_1) | instid1(VALU_DEP_3)
	v_dual_mul_f32 v4, v17, v5 :: v_dual_mov_b32 v5, -1
	v_dual_mov_b32 v6, -1 :: v_dual_mov_b32 v17, v3
	v_fmac_f32_e32 v15, v1, v2
	s_delay_alu instid0(VALU_DEP_3)
	v_fmac_f32_e32 v13, v4, v2
.LBB7_23:
	s_wait_alu 0xfffe
	s_or_b32 exec_lo, exec_lo, s3
	v_dual_mov_b32 v12, v17 :: v_dual_mov_b32 v3, v5
	v_dual_mov_b32 v4, v6 :: v_dual_mov_b32 v1, v15
	v_mov_b32_e32 v2, v13
.LBB7_24:
	s_wait_alu 0xfffe
	s_or_b32 exec_lo, exec_lo, s2
	v_and_b32_e32 v5, 31, v0
	s_mov_b32 s2, exec_lo
	s_wait_dscnt 0x0
	s_barrier_signal -1
	s_barrier_wait -1
	global_inv scope:SCOPE_SE
	v_cmpx_eq_u32_e32 0, v5
	s_cbranch_execz .LBB7_26
; %bb.25:
	v_lshrrev_b32_e32 v6, 5, v0
	s_delay_alu instid0(VALU_DEP_1)
	v_mul_u32_u24_e32 v6, 24, v6
	ds_store_2addr_b64 v6, v[1:2], v[3:4] offset1:1
	ds_store_b32 v6, v12 offset:16
.LBB7_26:
	s_wait_alu 0xfffe
	s_or_b32 exec_lo, exec_lo, s2
	s_wait_loadcnt_dscnt 0x0
	s_barrier_signal -1
	s_barrier_wait -1
	global_inv scope:SCOPE_SE
	s_load_b32 s2, s[0:1], 0x34
	v_mul_u32_u24_e32 v4, 24, v5
	v_dual_mov_b32 v2, 0 :: v_dual_mov_b32 v1, 0
	s_wait_kmcnt 0x0
	s_bfe_u32 s2, s2, 0xb0005
	s_wait_alu 0xfffe
	v_cmp_gt_u32_e32 vcc_lo, s2, v0
	s_and_saveexec_b32 s2, vcc_lo
	s_cbranch_execnz .LBB7_55
; %bb.27:
	s_wait_alu 0xfffe
	s_or_b32 exec_lo, exec_lo, s2
	s_and_saveexec_b32 s2, vcc_lo
	s_cbranch_execnz .LBB7_56
.LBB7_28:
	s_wait_alu 0xfffe
	s_or_b32 exec_lo, exec_lo, s2
	v_mov_b32_e32 v3, 0
	s_and_saveexec_b32 s2, vcc_lo
.LBB7_29:
	ds_load_b32 v3, v4 offset:16
.LBB7_30:
	s_wait_alu 0xfffe
	s_or_b32 exec_lo, exec_lo, s2
	s_delay_alu instid0(SALU_CYCLE_1)
	s_mov_b32 s2, exec_lo
	v_cmpx_gt_u32_e32 32, v0
	s_cbranch_execz .LBB7_52
; %bb.31:
	s_wait_dscnt 0x0
	ds_bpermute_b32 v6, v7, v1
	ds_bpermute_b32 v4, v7, v2
	;; [unrolled: 1-line block ×3, first 2 shown]
	s_mov_b32 s3, exec_lo
	v_cmpx_neq_f32_e32 0, v3
	s_cbranch_execz .LBB7_35
; %bb.32:
	s_mov_b32 s4, exec_lo
	s_wait_dscnt 0x0
	v_cmpx_neq_f32_e32 0, v5
	s_cbranch_execz .LBB7_34
; %bb.33:
	v_dual_add_f32 v7, v3, v5 :: v_dual_add_f32 v2, v2, v4
	v_sub_f32_e32 v6, v6, v1
	s_delay_alu instid0(VALU_DEP_2) | instskip(SKIP_1) | instid1(VALU_DEP_2)
	v_div_scale_f32 v12, null, v7, v7, v5
	v_div_scale_f32 v15, vcc_lo, v5, v7, v5
	v_rcp_f32_e32 v13, v12
	s_delay_alu instid0(TRANS32_DEP_1) | instskip(NEXT) | instid1(VALU_DEP_1)
	v_fma_f32 v14, -v12, v13, 1.0
	v_fmac_f32_e32 v13, v14, v13
	s_delay_alu instid0(VALU_DEP_1) | instskip(NEXT) | instid1(VALU_DEP_1)
	v_mul_f32_e32 v14, v15, v13
	v_fma_f32 v16, -v12, v14, v15
	s_delay_alu instid0(VALU_DEP_1) | instskip(NEXT) | instid1(VALU_DEP_1)
	v_fmac_f32_e32 v14, v16, v13
	v_fma_f32 v12, -v12, v14, v15
	s_wait_alu 0xfffd
	s_delay_alu instid0(VALU_DEP_1) | instskip(SKIP_1) | instid1(VALU_DEP_2)
	v_div_fmas_f32 v12, v12, v13, v14
	v_mul_f32_e32 v13, v6, v6
	v_div_fixup_f32 v4, v12, v7, v5
	s_delay_alu instid0(VALU_DEP_2) | instskip(NEXT) | instid1(VALU_DEP_1)
	v_mul_f32_e32 v3, v3, v13
	v_fmac_f32_e32 v2, v3, v4
	v_mov_b32_e32 v3, v7
	v_fmac_f32_e32 v1, v6, v4
.LBB7_34:
	s_wait_alu 0xfffe
	s_or_b32 exec_lo, exec_lo, s4
	s_delay_alu instid0(VALU_DEP_2) | instskip(NEXT) | instid1(VALU_DEP_2)
	v_dual_mov_b32 v5, v3 :: v_dual_mov_b32 v4, v2
	v_mov_b32_e32 v6, v1
.LBB7_35:
	s_wait_alu 0xfffe
	s_or_b32 exec_lo, exec_lo, s3
	s_wait_dscnt 0x2
	ds_bpermute_b32 v7, v8, v6
	s_wait_dscnt 0x2
	ds_bpermute_b32 v1, v8, v4
	;; [unrolled: 2-line block ×3, first 2 shown]
	s_mov_b32 s3, exec_lo
	v_cmpx_neq_f32_e32 0, v5
	s_cbranch_execz .LBB7_39
; %bb.36:
	s_mov_b32 s4, exec_lo
	s_wait_dscnt 0x0
	v_cmpx_neq_f32_e32 0, v3
	s_cbranch_execz .LBB7_38
; %bb.37:
	v_dual_add_f32 v2, v5, v3 :: v_dual_sub_f32 v7, v7, v6
	v_add_f32_e32 v4, v4, v1
	s_delay_alu instid0(VALU_DEP_2) | instskip(SKIP_1) | instid1(VALU_DEP_2)
	v_div_scale_f32 v8, null, v2, v2, v3
	v_div_scale_f32 v14, vcc_lo, v3, v2, v3
	v_rcp_f32_e32 v12, v8
	s_delay_alu instid0(TRANS32_DEP_1) | instskip(NEXT) | instid1(VALU_DEP_1)
	v_fma_f32 v13, -v8, v12, 1.0
	v_fmac_f32_e32 v12, v13, v12
	s_delay_alu instid0(VALU_DEP_1) | instskip(NEXT) | instid1(VALU_DEP_1)
	v_mul_f32_e32 v13, v14, v12
	v_fma_f32 v15, -v8, v13, v14
	s_delay_alu instid0(VALU_DEP_1) | instskip(NEXT) | instid1(VALU_DEP_1)
	v_fmac_f32_e32 v13, v15, v12
	v_fma_f32 v8, -v8, v13, v14
	s_wait_alu 0xfffd
	s_delay_alu instid0(VALU_DEP_1) | instskip(SKIP_1) | instid1(VALU_DEP_2)
	v_div_fmas_f32 v8, v8, v12, v13
	v_mul_f32_e32 v12, v7, v7
	v_div_fixup_f32 v1, v8, v2, v3
	s_delay_alu instid0(VALU_DEP_2) | instskip(NEXT) | instid1(VALU_DEP_2)
	v_mul_f32_e32 v3, v5, v12
	v_dual_mov_b32 v5, v2 :: v_dual_fmac_f32 v6, v7, v1
	s_delay_alu instid0(VALU_DEP_2)
	v_fmac_f32_e32 v4, v3, v1
.LBB7_38:
	s_wait_alu 0xfffe
	s_or_b32 exec_lo, exec_lo, s4
	s_delay_alu instid0(VALU_DEP_2) | instskip(NEXT) | instid1(VALU_DEP_2)
	v_mov_b32_e32 v3, v5
	v_mov_b32_e32 v1, v4
	;; [unrolled: 1-line block ×3, first 2 shown]
.LBB7_39:
	s_wait_alu 0xfffe
	s_or_b32 exec_lo, exec_lo, s3
	s_wait_dscnt 0x2
	ds_bpermute_b32 v8, v9, v7
	s_wait_dscnt 0x2
	ds_bpermute_b32 v2, v9, v1
	;; [unrolled: 2-line block ×3, first 2 shown]
	s_mov_b32 s3, exec_lo
	v_cmpx_neq_f32_e32 0, v3
	s_cbranch_execz .LBB7_43
; %bb.40:
	s_mov_b32 s4, exec_lo
	s_wait_dscnt 0x0
	v_cmpx_neq_f32_e32 0, v6
	s_cbranch_execz .LBB7_42
; %bb.41:
	v_add_f32_e32 v4, v3, v6
	v_dual_sub_f32 v8, v8, v7 :: v_dual_add_f32 v1, v1, v2
	s_delay_alu instid0(VALU_DEP_2) | instskip(NEXT) | instid1(VALU_DEP_1)
	v_div_scale_f32 v5, null, v4, v4, v6
	v_rcp_f32_e32 v9, v5
	s_delay_alu instid0(TRANS32_DEP_1) | instskip(NEXT) | instid1(VALU_DEP_1)
	v_fma_f32 v12, -v5, v9, 1.0
	v_fmac_f32_e32 v9, v12, v9
	v_div_scale_f32 v13, vcc_lo, v6, v4, v6
	s_delay_alu instid0(VALU_DEP_1) | instskip(NEXT) | instid1(VALU_DEP_1)
	v_mul_f32_e32 v12, v13, v9
	v_fma_f32 v14, -v5, v12, v13
	s_delay_alu instid0(VALU_DEP_1) | instskip(NEXT) | instid1(VALU_DEP_1)
	v_fmac_f32_e32 v12, v14, v9
	v_fma_f32 v5, -v5, v12, v13
	s_wait_alu 0xfffd
	s_delay_alu instid0(VALU_DEP_1) | instskip(SKIP_1) | instid1(VALU_DEP_2)
	v_div_fmas_f32 v5, v5, v9, v12
	v_mul_f32_e32 v9, v8, v8
	v_div_fixup_f32 v2, v5, v4, v6
	s_delay_alu instid0(VALU_DEP_2) | instskip(NEXT) | instid1(VALU_DEP_2)
	v_mul_f32_e32 v3, v3, v9
	v_fmac_f32_e32 v7, v8, v2
	s_delay_alu instid0(VALU_DEP_2)
	v_fmac_f32_e32 v1, v3, v2
	v_mov_b32_e32 v3, v4
.LBB7_42:
	s_wait_alu 0xfffe
	s_or_b32 exec_lo, exec_lo, s4
	s_delay_alu instid0(VALU_DEP_1)
	v_mov_b32_e32 v6, v3
	v_mov_b32_e32 v2, v1
	;; [unrolled: 1-line block ×3, first 2 shown]
.LBB7_43:
	s_wait_alu 0xfffe
	s_or_b32 exec_lo, exec_lo, s3
	s_wait_dscnt 0x2
	ds_bpermute_b32 v7, v10, v8
	s_wait_dscnt 0x2
	ds_bpermute_b32 v4, v10, v2
	s_wait_dscnt 0x2
	ds_bpermute_b32 v5, v10, v6
	s_mov_b32 s3, exec_lo
	v_cmpx_neq_f32_e32 0, v6
	s_cbranch_execz .LBB7_47
; %bb.44:
	s_mov_b32 s4, exec_lo
	s_wait_dscnt 0x0
	v_cmpx_neq_f32_e32 0, v5
	s_cbranch_execz .LBB7_46
; %bb.45:
	v_sub_f32_e32 v7, v7, v8
	v_add_f32_e32 v1, v6, v5
	v_add_f32_e32 v2, v2, v4
	s_delay_alu instid0(VALU_DEP_2) | instskip(SKIP_1) | instid1(VALU_DEP_2)
	v_div_scale_f32 v3, null, v1, v1, v5
	v_div_scale_f32 v12, vcc_lo, v5, v1, v5
	v_rcp_f32_e32 v9, v3
	s_delay_alu instid0(TRANS32_DEP_1) | instskip(NEXT) | instid1(VALU_DEP_1)
	v_fma_f32 v10, -v3, v9, 1.0
	v_fmac_f32_e32 v9, v10, v9
	s_delay_alu instid0(VALU_DEP_1) | instskip(NEXT) | instid1(VALU_DEP_1)
	v_mul_f32_e32 v10, v12, v9
	v_fma_f32 v13, -v3, v10, v12
	s_delay_alu instid0(VALU_DEP_1) | instskip(NEXT) | instid1(VALU_DEP_1)
	v_fmac_f32_e32 v10, v13, v9
	v_fma_f32 v3, -v3, v10, v12
	s_wait_alu 0xfffd
	s_delay_alu instid0(VALU_DEP_1) | instskip(SKIP_1) | instid1(VALU_DEP_2)
	v_div_fmas_f32 v3, v3, v9, v10
	v_mul_f32_e32 v9, v7, v7
	v_div_fixup_f32 v3, v3, v1, v5
	s_delay_alu instid0(VALU_DEP_2) | instskip(NEXT) | instid1(VALU_DEP_2)
	v_mul_f32_e32 v4, v6, v9
	v_fmac_f32_e32 v8, v7, v3
	s_delay_alu instid0(VALU_DEP_2)
	v_fmac_f32_e32 v2, v4, v3
	v_mov_b32_e32 v6, v1
.LBB7_46:
	s_wait_alu 0xfffe
	s_or_b32 exec_lo, exec_lo, s4
	s_delay_alu instid0(VALU_DEP_1)
	v_dual_mov_b32 v5, v6 :: v_dual_mov_b32 v4, v2
	v_mov_b32_e32 v7, v8
.LBB7_47:
	s_wait_alu 0xfffe
	s_or_b32 exec_lo, exec_lo, s3
	s_wait_dscnt 0x2
	ds_bpermute_b32 v1, v11, v7
	s_wait_dscnt 0x2
	ds_bpermute_b32 v2, v11, v4
	;; [unrolled: 2-line block ×3, first 2 shown]
	s_mov_b32 s3, exec_lo
	v_cmpx_neq_f32_e32 0, v5
	s_cbranch_execz .LBB7_51
; %bb.48:
	s_mov_b32 s4, exec_lo
	s_wait_dscnt 0x0
	v_cmpx_neq_f32_e32 0, v3
	s_cbranch_execz .LBB7_50
; %bb.49:
	v_add_f32_e32 v6, v5, v3
	v_dual_sub_f32 v1, v1, v7 :: v_dual_add_f32 v4, v4, v2
	s_delay_alu instid0(VALU_DEP_2) | instskip(NEXT) | instid1(VALU_DEP_1)
	v_div_scale_f32 v8, null, v6, v6, v3
	v_rcp_f32_e32 v9, v8
	s_delay_alu instid0(TRANS32_DEP_1) | instskip(NEXT) | instid1(VALU_DEP_1)
	v_fma_f32 v10, -v8, v9, 1.0
	v_fmac_f32_e32 v9, v10, v9
	v_div_scale_f32 v11, vcc_lo, v3, v6, v3
	s_delay_alu instid0(VALU_DEP_1) | instskip(NEXT) | instid1(VALU_DEP_1)
	v_mul_f32_e32 v10, v11, v9
	v_fma_f32 v12, -v8, v10, v11
	s_delay_alu instid0(VALU_DEP_1) | instskip(NEXT) | instid1(VALU_DEP_1)
	v_fmac_f32_e32 v10, v12, v9
	v_fma_f32 v8, -v8, v10, v11
	s_wait_alu 0xfffd
	s_delay_alu instid0(VALU_DEP_1) | instskip(SKIP_1) | instid1(VALU_DEP_2)
	v_div_fmas_f32 v8, v8, v9, v10
	v_mul_f32_e32 v9, v1, v1
	v_div_fixup_f32 v2, v8, v6, v3
	s_delay_alu instid0(VALU_DEP_2) | instskip(SKIP_1) | instid1(VALU_DEP_3)
	v_mul_f32_e32 v3, v5, v9
	v_mov_b32_e32 v5, v6
	v_fmac_f32_e32 v7, v1, v2
	s_delay_alu instid0(VALU_DEP_3)
	v_fmac_f32_e32 v4, v3, v2
.LBB7_50:
	s_wait_alu 0xfffe
	s_or_b32 exec_lo, exec_lo, s4
	s_delay_alu instid0(VALU_DEP_1)
	v_dual_mov_b32 v3, v5 :: v_dual_mov_b32 v2, v4
	v_mov_b32_e32 v1, v7
.LBB7_51:
	s_wait_alu 0xfffe
	s_or_b32 exec_lo, exec_lo, s3
.LBB7_52:
	s_wait_alu 0xfffe
	s_or_b32 exec_lo, exec_lo, s2
	s_delay_alu instid0(SALU_CYCLE_1)
	s_mov_b32 s2, exec_lo
	v_cmpx_eq_u32_e32 0, v0
	s_cbranch_execz .LBB7_54
; %bb.53:
	s_wait_dscnt 0x0
	v_max_num_f32_e32 v0, v3, v3
	s_load_b32 s0, s[0:1], 0x8
	s_delay_alu instid0(VALU_DEP_1) | instskip(NEXT) | instid1(VALU_DEP_1)
	v_max_num_f32_e32 v0, 0, v0
	v_div_scale_f32 v3, null, v0, v0, v2
	s_delay_alu instid0(VALU_DEP_1) | instskip(NEXT) | instid1(TRANS32_DEP_1)
	v_rcp_f32_e32 v4, v3
	v_fma_f32 v5, -v3, v4, 1.0
	s_delay_alu instid0(VALU_DEP_1) | instskip(SKIP_1) | instid1(VALU_DEP_1)
	v_fmac_f32_e32 v4, v5, v4
	v_div_scale_f32 v5, vcc_lo, v2, v0, v2
	v_mul_f32_e32 v6, v5, v4
	s_delay_alu instid0(VALU_DEP_1) | instskip(NEXT) | instid1(VALU_DEP_1)
	v_fma_f32 v7, -v3, v6, v5
	v_fmac_f32_e32 v6, v7, v4
	s_delay_alu instid0(VALU_DEP_1) | instskip(SKIP_1) | instid1(VALU_DEP_1)
	v_fma_f32 v3, -v3, v6, v5
	s_wait_alu 0xfffd
	v_div_fmas_f32 v3, v3, v4, v6
	s_delay_alu instid0(VALU_DEP_1) | instskip(SKIP_1) | instid1(VALU_DEP_1)
	v_div_fixup_f32 v0, v3, v0, v2
	s_wait_kmcnt 0x0
	v_dual_mov_b32 v3, 0 :: v_dual_add_f32 v0, s0, v0
	s_lshl_b64 s[0:1], s[10:11], 2
	s_wait_alu 0xfffe
	s_add_nc_u64 s[2:3], s[6:7], s[0:1]
	s_add_nc_u64 s[0:1], s[8:9], s[0:1]
	v_mul_f32_e32 v2, 0x4b800000, v0
	v_cmp_gt_f32_e32 vcc_lo, 0x800000, v0
	s_wait_alu 0xfffd
	s_delay_alu instid0(VALU_DEP_2) | instskip(NEXT) | instid1(VALU_DEP_1)
	v_cndmask_b32_e32 v0, v0, v2, vcc_lo
	v_rsq_f32_e32 v0, v0
	s_delay_alu instid0(TRANS32_DEP_1) | instskip(NEXT) | instid1(VALU_DEP_1)
	v_mul_f32_e32 v2, 0x45800000, v0
	v_cndmask_b32_e32 v0, v0, v2, vcc_lo
	s_clause 0x1
	global_store_b32 v3, v1, s[2:3]
	global_store_b32 v3, v0, s[0:1]
.LBB7_54:
	s_endpgm
.LBB7_55:
	ds_load_b32 v1, v4
	s_wait_alu 0xfffe
	s_or_b32 exec_lo, exec_lo, s2
	s_and_saveexec_b32 s2, vcc_lo
	s_cbranch_execz .LBB7_28
.LBB7_56:
	ds_load_b32 v2, v4 offset:4
	s_wait_alu 0xfffe
	s_or_b32 exec_lo, exec_lo, s2
	v_mov_b32_e32 v3, 0
	s_and_saveexec_b32 s2, vcc_lo
	s_cbranch_execnz .LBB7_29
	s_branch .LBB7_30
	.section	.rodata,"a",@progbits
	.p2align	6, 0x0
	.amdhsa_kernel _ZN2at6native12_GLOBAL__N_124RowwiseMomentsCUDAKernelIN3c104HalfEfLb0EEEvlT0_PKT_PS5_S9_
		.amdhsa_group_segment_fixed_size 768
		.amdhsa_private_segment_fixed_size 0
		.amdhsa_kernarg_size 296
		.amdhsa_user_sgpr_count 2
		.amdhsa_user_sgpr_dispatch_ptr 0
		.amdhsa_user_sgpr_queue_ptr 0
		.amdhsa_user_sgpr_kernarg_segment_ptr 1
		.amdhsa_user_sgpr_dispatch_id 0
		.amdhsa_user_sgpr_private_segment_size 0
		.amdhsa_wavefront_size32 1
		.amdhsa_uses_dynamic_stack 0
		.amdhsa_enable_private_segment 0
		.amdhsa_system_sgpr_workgroup_id_x 1
		.amdhsa_system_sgpr_workgroup_id_y 0
		.amdhsa_system_sgpr_workgroup_id_z 0
		.amdhsa_system_sgpr_workgroup_info 0
		.amdhsa_system_vgpr_workitem_id 0
		.amdhsa_next_free_vgpr 18
		.amdhsa_next_free_sgpr 20
		.amdhsa_reserve_vcc 1
		.amdhsa_float_round_mode_32 0
		.amdhsa_float_round_mode_16_64 0
		.amdhsa_float_denorm_mode_32 3
		.amdhsa_float_denorm_mode_16_64 3
		.amdhsa_fp16_overflow 0
		.amdhsa_workgroup_processor_mode 1
		.amdhsa_memory_ordered 1
		.amdhsa_forward_progress 1
		.amdhsa_inst_pref_size 29
		.amdhsa_round_robin_scheduling 0
		.amdhsa_exception_fp_ieee_invalid_op 0
		.amdhsa_exception_fp_denorm_src 0
		.amdhsa_exception_fp_ieee_div_zero 0
		.amdhsa_exception_fp_ieee_overflow 0
		.amdhsa_exception_fp_ieee_underflow 0
		.amdhsa_exception_fp_ieee_inexact 0
		.amdhsa_exception_int_div_zero 0
	.end_amdhsa_kernel
	.section	.text._ZN2at6native12_GLOBAL__N_124RowwiseMomentsCUDAKernelIN3c104HalfEfLb0EEEvlT0_PKT_PS5_S9_,"axG",@progbits,_ZN2at6native12_GLOBAL__N_124RowwiseMomentsCUDAKernelIN3c104HalfEfLb0EEEvlT0_PKT_PS5_S9_,comdat
.Lfunc_end7:
	.size	_ZN2at6native12_GLOBAL__N_124RowwiseMomentsCUDAKernelIN3c104HalfEfLb0EEEvlT0_PKT_PS5_S9_, .Lfunc_end7-_ZN2at6native12_GLOBAL__N_124RowwiseMomentsCUDAKernelIN3c104HalfEfLb0EEEvlT0_PKT_PS5_S9_
                                        ; -- End function
	.set _ZN2at6native12_GLOBAL__N_124RowwiseMomentsCUDAKernelIN3c104HalfEfLb0EEEvlT0_PKT_PS5_S9_.num_vgpr, 18
	.set _ZN2at6native12_GLOBAL__N_124RowwiseMomentsCUDAKernelIN3c104HalfEfLb0EEEvlT0_PKT_PS5_S9_.num_agpr, 0
	.set _ZN2at6native12_GLOBAL__N_124RowwiseMomentsCUDAKernelIN3c104HalfEfLb0EEEvlT0_PKT_PS5_S9_.numbered_sgpr, 20
	.set _ZN2at6native12_GLOBAL__N_124RowwiseMomentsCUDAKernelIN3c104HalfEfLb0EEEvlT0_PKT_PS5_S9_.num_named_barrier, 0
	.set _ZN2at6native12_GLOBAL__N_124RowwiseMomentsCUDAKernelIN3c104HalfEfLb0EEEvlT0_PKT_PS5_S9_.private_seg_size, 0
	.set _ZN2at6native12_GLOBAL__N_124RowwiseMomentsCUDAKernelIN3c104HalfEfLb0EEEvlT0_PKT_PS5_S9_.uses_vcc, 1
	.set _ZN2at6native12_GLOBAL__N_124RowwiseMomentsCUDAKernelIN3c104HalfEfLb0EEEvlT0_PKT_PS5_S9_.uses_flat_scratch, 0
	.set _ZN2at6native12_GLOBAL__N_124RowwiseMomentsCUDAKernelIN3c104HalfEfLb0EEEvlT0_PKT_PS5_S9_.has_dyn_sized_stack, 0
	.set _ZN2at6native12_GLOBAL__N_124RowwiseMomentsCUDAKernelIN3c104HalfEfLb0EEEvlT0_PKT_PS5_S9_.has_recursion, 0
	.set _ZN2at6native12_GLOBAL__N_124RowwiseMomentsCUDAKernelIN3c104HalfEfLb0EEEvlT0_PKT_PS5_S9_.has_indirect_call, 0
	.section	.AMDGPU.csdata,"",@progbits
; Kernel info:
; codeLenInByte = 3588
; TotalNumSgprs: 22
; NumVgprs: 18
; ScratchSize: 0
; MemoryBound: 0
; FloatMode: 240
; IeeeMode: 1
; LDSByteSize: 768 bytes/workgroup (compile time only)
; SGPRBlocks: 0
; VGPRBlocks: 2
; NumSGPRsForWavesPerEU: 22
; NumVGPRsForWavesPerEU: 18
; Occupancy: 16
; WaveLimiterHint : 0
; COMPUTE_PGM_RSRC2:SCRATCH_EN: 0
; COMPUTE_PGM_RSRC2:USER_SGPR: 2
; COMPUTE_PGM_RSRC2:TRAP_HANDLER: 0
; COMPUTE_PGM_RSRC2:TGID_X_EN: 1
; COMPUTE_PGM_RSRC2:TGID_Y_EN: 0
; COMPUTE_PGM_RSRC2:TGID_Z_EN: 0
; COMPUTE_PGM_RSRC2:TIDIG_COMP_CNT: 0
	.section	.text._ZN2at6native12_GLOBAL__N_126LayerNormForwardCUDAKernelIN3c104HalfEfLb0EEEvlPKT_PKT0_SA_S7_S7_PS5_,"axG",@progbits,_ZN2at6native12_GLOBAL__N_126LayerNormForwardCUDAKernelIN3c104HalfEfLb0EEEvlPKT_PKT0_SA_S7_S7_PS5_,comdat
	.globl	_ZN2at6native12_GLOBAL__N_126LayerNormForwardCUDAKernelIN3c104HalfEfLb0EEEvlPKT_PKT0_SA_S7_S7_PS5_ ; -- Begin function _ZN2at6native12_GLOBAL__N_126LayerNormForwardCUDAKernelIN3c104HalfEfLb0EEEvlPKT_PKT0_SA_S7_S7_PS5_
	.p2align	8
	.type	_ZN2at6native12_GLOBAL__N_126LayerNormForwardCUDAKernelIN3c104HalfEfLb0EEEvlPKT_PKT0_SA_S7_S7_PS5_,@function
_ZN2at6native12_GLOBAL__N_126LayerNormForwardCUDAKernelIN3c104HalfEfLb0EEEvlPKT_PKT0_SA_S7_S7_PS5_: ; @_ZN2at6native12_GLOBAL__N_126LayerNormForwardCUDAKernelIN3c104HalfEfLb0EEEvlPKT_PKT0_SA_S7_S7_PS5_
; %bb.0:
	s_load_b256 s[4:11], s[0:1], 0x0
	v_mov_b32_e32 v1, 0
	s_mov_b32 s2, exec_lo
	s_wait_kmcnt 0x0
	s_delay_alu instid0(VALU_DEP_1)
	v_cmpx_gt_i64_e64 s[4:5], v[0:1]
	s_cbranch_execz .LBB8_8
; %bb.1:
	s_load_b256 s[12:19], s[0:1], 0x20
	s_mov_b32 s2, ttmp9
	s_load_b32 s0, s[0:1], 0x44
	s_mov_b32 s3, 0
	v_dual_mov_b32 v3, v1 :: v_dual_lshlrev_b32 v2, 1, v0
	s_wait_kmcnt 0x0
	s_cmp_lg_u64 s[12:13], 0
	s_cselect_b32 s1, -1, 0
	s_cmp_lg_u64 s[14:15], 0
	s_cselect_b32 s18, -1, 0
	s_lshl_b64 s[20:21], s[2:3], 2
	s_delay_alu instid0(SALU_CYCLE_1)
	s_add_nc_u64 s[8:9], s[8:9], s[20:21]
	s_add_nc_u64 s[20:21], s[10:11], s[20:21]
	s_load_b32 s10, s[8:9], 0x0
	s_load_b32 s11, s[20:21], 0x0
	s_mul_u64 s[8:9], s[4:5], s[2:3]
	s_and_b32 s2, s0, 0xffff
	s_lshl_b64 s[8:9], s[8:9], 1
	s_lshl_b32 s19, s2, 1
	s_add_nc_u64 s[6:7], s[6:7], s[8:9]
	s_add_nc_u64 s[8:9], s[16:17], s[8:9]
	s_branch .LBB8_4
.LBB8_2:                                ;   in Loop: Header=BB8_4 Depth=1
	v_add_co_u32 v5, vcc_lo, s14, v2
	s_wait_alu 0xfffd
	v_add_co_ci_u32_e64 v6, null, s15, v3, vcc_lo
	global_load_u16 v5, v[5:6], off
	s_wait_loadcnt 0x0
	v_cvt_f32_f16_e32 v5, v5
.LBB8_3:                                ;   in Loop: Header=BB8_4 Depth=1
	v_add_co_u32 v6, vcc_lo, s6, v2
	s_wait_alu 0xfffd
	v_add_co_ci_u32_e64 v7, null, s7, v3, vcc_lo
	v_add_co_u32 v0, vcc_lo, v0, s2
	s_wait_alu 0xfffd
	v_add_co_ci_u32_e64 v1, null, 0, v1, vcc_lo
	global_load_u16 v6, v[6:7], off
	s_wait_loadcnt 0x0
	v_cvt_f32_f16_e32 v6, v6
	s_wait_kmcnt 0x0
	s_delay_alu instid0(VALU_DEP_1) | instskip(NEXT) | instid1(VALU_DEP_1)
	v_subrev_f32_e32 v6, s10, v6
	v_mul_f32_e32 v8, s11, v6
	v_add_co_u32 v6, vcc_lo, s8, v2
	s_wait_alu 0xfffd
	v_add_co_ci_u32_e64 v7, null, s9, v3, vcc_lo
	v_cmp_le_i64_e32 vcc_lo, s[4:5], v[0:1]
	v_add_co_u32 v2, s0, v2, s19
	v_fma_mixlo_f16 v4, v4, v8, v5
	s_wait_alu 0xf1ff
	v_add_co_ci_u32_e64 v3, null, 0, v3, s0
	s_or_b32 s3, vcc_lo, s3
	global_store_b16 v[6:7], v4, off
	s_wait_alu 0xfffe
	s_and_not1_b32 exec_lo, exec_lo, s3
	s_cbranch_execz .LBB8_8
.LBB8_4:                                ; =>This Inner Loop Header: Depth=1
	s_and_not1_b32 vcc_lo, exec_lo, s1
	s_wait_alu 0xfffe
	s_cbranch_vccnz .LBB8_6
; %bb.5:                                ;   in Loop: Header=BB8_4 Depth=1
	v_add_co_u32 v4, vcc_lo, s12, v2
	s_wait_alu 0xfffd
	v_add_co_ci_u32_e64 v5, null, s13, v3, vcc_lo
	global_load_u16 v4, v[4:5], off
	s_wait_loadcnt 0x0
	v_cvt_f32_f16_e32 v4, v4
	s_and_not1_b32 vcc_lo, exec_lo, s18
	s_wait_alu 0xfffe
	s_cbranch_vccz .LBB8_2
	s_branch .LBB8_7
.LBB8_6:                                ;   in Loop: Header=BB8_4 Depth=1
	v_mov_b32_e32 v4, 1.0
	s_and_not1_b32 vcc_lo, exec_lo, s18
	s_wait_alu 0xfffe
	s_cbranch_vccz .LBB8_2
.LBB8_7:                                ;   in Loop: Header=BB8_4 Depth=1
	v_mov_b32_e32 v5, 0
	s_branch .LBB8_3
.LBB8_8:
	s_endpgm
	.section	.rodata,"a",@progbits
	.p2align	6, 0x0
	.amdhsa_kernel _ZN2at6native12_GLOBAL__N_126LayerNormForwardCUDAKernelIN3c104HalfEfLb0EEEvlPKT_PKT0_SA_S7_S7_PS5_
		.amdhsa_group_segment_fixed_size 0
		.amdhsa_private_segment_fixed_size 0
		.amdhsa_kernarg_size 312
		.amdhsa_user_sgpr_count 2
		.amdhsa_user_sgpr_dispatch_ptr 0
		.amdhsa_user_sgpr_queue_ptr 0
		.amdhsa_user_sgpr_kernarg_segment_ptr 1
		.amdhsa_user_sgpr_dispatch_id 0
		.amdhsa_user_sgpr_private_segment_size 0
		.amdhsa_wavefront_size32 1
		.amdhsa_uses_dynamic_stack 0
		.amdhsa_enable_private_segment 0
		.amdhsa_system_sgpr_workgroup_id_x 1
		.amdhsa_system_sgpr_workgroup_id_y 0
		.amdhsa_system_sgpr_workgroup_id_z 0
		.amdhsa_system_sgpr_workgroup_info 0
		.amdhsa_system_vgpr_workitem_id 0
		.amdhsa_next_free_vgpr 9
		.amdhsa_next_free_sgpr 22
		.amdhsa_reserve_vcc 1
		.amdhsa_float_round_mode_32 0
		.amdhsa_float_round_mode_16_64 0
		.amdhsa_float_denorm_mode_32 3
		.amdhsa_float_denorm_mode_16_64 3
		.amdhsa_fp16_overflow 0
		.amdhsa_workgroup_processor_mode 1
		.amdhsa_memory_ordered 1
		.amdhsa_forward_progress 1
		.amdhsa_inst_pref_size 4
		.amdhsa_round_robin_scheduling 0
		.amdhsa_exception_fp_ieee_invalid_op 0
		.amdhsa_exception_fp_denorm_src 0
		.amdhsa_exception_fp_ieee_div_zero 0
		.amdhsa_exception_fp_ieee_overflow 0
		.amdhsa_exception_fp_ieee_underflow 0
		.amdhsa_exception_fp_ieee_inexact 0
		.amdhsa_exception_int_div_zero 0
	.end_amdhsa_kernel
	.section	.text._ZN2at6native12_GLOBAL__N_126LayerNormForwardCUDAKernelIN3c104HalfEfLb0EEEvlPKT_PKT0_SA_S7_S7_PS5_,"axG",@progbits,_ZN2at6native12_GLOBAL__N_126LayerNormForwardCUDAKernelIN3c104HalfEfLb0EEEvlPKT_PKT0_SA_S7_S7_PS5_,comdat
.Lfunc_end8:
	.size	_ZN2at6native12_GLOBAL__N_126LayerNormForwardCUDAKernelIN3c104HalfEfLb0EEEvlPKT_PKT0_SA_S7_S7_PS5_, .Lfunc_end8-_ZN2at6native12_GLOBAL__N_126LayerNormForwardCUDAKernelIN3c104HalfEfLb0EEEvlPKT_PKT0_SA_S7_S7_PS5_
                                        ; -- End function
	.set _ZN2at6native12_GLOBAL__N_126LayerNormForwardCUDAKernelIN3c104HalfEfLb0EEEvlPKT_PKT0_SA_S7_S7_PS5_.num_vgpr, 9
	.set _ZN2at6native12_GLOBAL__N_126LayerNormForwardCUDAKernelIN3c104HalfEfLb0EEEvlPKT_PKT0_SA_S7_S7_PS5_.num_agpr, 0
	.set _ZN2at6native12_GLOBAL__N_126LayerNormForwardCUDAKernelIN3c104HalfEfLb0EEEvlPKT_PKT0_SA_S7_S7_PS5_.numbered_sgpr, 22
	.set _ZN2at6native12_GLOBAL__N_126LayerNormForwardCUDAKernelIN3c104HalfEfLb0EEEvlPKT_PKT0_SA_S7_S7_PS5_.num_named_barrier, 0
	.set _ZN2at6native12_GLOBAL__N_126LayerNormForwardCUDAKernelIN3c104HalfEfLb0EEEvlPKT_PKT0_SA_S7_S7_PS5_.private_seg_size, 0
	.set _ZN2at6native12_GLOBAL__N_126LayerNormForwardCUDAKernelIN3c104HalfEfLb0EEEvlPKT_PKT0_SA_S7_S7_PS5_.uses_vcc, 1
	.set _ZN2at6native12_GLOBAL__N_126LayerNormForwardCUDAKernelIN3c104HalfEfLb0EEEvlPKT_PKT0_SA_S7_S7_PS5_.uses_flat_scratch, 0
	.set _ZN2at6native12_GLOBAL__N_126LayerNormForwardCUDAKernelIN3c104HalfEfLb0EEEvlPKT_PKT0_SA_S7_S7_PS5_.has_dyn_sized_stack, 0
	.set _ZN2at6native12_GLOBAL__N_126LayerNormForwardCUDAKernelIN3c104HalfEfLb0EEEvlPKT_PKT0_SA_S7_S7_PS5_.has_recursion, 0
	.set _ZN2at6native12_GLOBAL__N_126LayerNormForwardCUDAKernelIN3c104HalfEfLb0EEEvlPKT_PKT0_SA_S7_S7_PS5_.has_indirect_call, 0
	.section	.AMDGPU.csdata,"",@progbits
; Kernel info:
; codeLenInByte = 444
; TotalNumSgprs: 24
; NumVgprs: 9
; ScratchSize: 0
; MemoryBound: 0
; FloatMode: 240
; IeeeMode: 1
; LDSByteSize: 0 bytes/workgroup (compile time only)
; SGPRBlocks: 0
; VGPRBlocks: 1
; NumSGPRsForWavesPerEU: 24
; NumVGPRsForWavesPerEU: 9
; Occupancy: 16
; WaveLimiterHint : 0
; COMPUTE_PGM_RSRC2:SCRATCH_EN: 0
; COMPUTE_PGM_RSRC2:USER_SGPR: 2
; COMPUTE_PGM_RSRC2:TRAP_HANDLER: 0
; COMPUTE_PGM_RSRC2:TGID_X_EN: 1
; COMPUTE_PGM_RSRC2:TGID_Y_EN: 0
; COMPUTE_PGM_RSRC2:TGID_Z_EN: 0
; COMPUTE_PGM_RSRC2:TIDIG_COMP_CNT: 0
	.section	.text._ZN2at6native12_GLOBAL__N_128vectorized_layer_norm_kernelIN3c108BFloat16EfLb0EEEviT0_PKT_S8_S8_PS5_S9_PS6_,"axG",@progbits,_ZN2at6native12_GLOBAL__N_128vectorized_layer_norm_kernelIN3c108BFloat16EfLb0EEEviT0_PKT_S8_S8_PS5_S9_PS6_,comdat
	.globl	_ZN2at6native12_GLOBAL__N_128vectorized_layer_norm_kernelIN3c108BFloat16EfLb0EEEviT0_PKT_S8_S8_PS5_S9_PS6_ ; -- Begin function _ZN2at6native12_GLOBAL__N_128vectorized_layer_norm_kernelIN3c108BFloat16EfLb0EEEviT0_PKT_S8_S8_PS5_S9_PS6_
	.p2align	8
	.type	_ZN2at6native12_GLOBAL__N_128vectorized_layer_norm_kernelIN3c108BFloat16EfLb0EEEviT0_PKT_S8_S8_PS5_S9_PS6_,@function
_ZN2at6native12_GLOBAL__N_128vectorized_layer_norm_kernelIN3c108BFloat16EfLb0EEEviT0_PKT_S8_S8_PS5_S9_PS6_: ; @_ZN2at6native12_GLOBAL__N_128vectorized_layer_norm_kernelIN3c108BFloat16EfLb0EEEviT0_PKT_S8_S8_PS5_S9_PS6_
; %bb.0:
	s_clause 0x1
	s_load_b32 s3, s[0:1], 0x44
	s_load_b128 s[12:15], s[0:1], 0x0
	v_bfe_u32 v2, v0, 10, 10
	v_and_b32_e32 v3, 0x3ff, v0
	v_dual_mov_b32 v9, 0 :: v_dual_mov_b32 v4, 0
	v_mov_b32_e32 v5, 0
	s_mov_b32 s16, ttmp9
	s_mov_b32 s17, 0
	s_wait_kmcnt 0x0
	s_and_b32 s6, s3, 0xffff
	s_ashr_i32 s5, s12, 31
	v_mul_u32_u24_e32 v0, s6, v2
	s_lshr_b32 s2, s5, 30
	v_mad_u32_u24 v6, v2, s6, v3
	s_add_co_i32 s2, s12, s2
	s_mov_b32 s4, s12
	s_ashr_i32 s22, s2, 2
	v_add_lshl_u32 v7, v0, v3, 3
	v_cmp_gt_i32_e64 s2, s22, v6
	s_lshr_b32 s8, s3, 16
	s_mul_u64 s[20:21], s[4:5], s[16:17]
	s_mul_i32 s18, s8, s6
	s_and_saveexec_b32 s9, s2
	s_cbranch_execz .LBB9_4
; %bb.1:
	s_lshl_b64 s[4:5], s[20:21], 1
	v_dual_mov_b32 v4, 0 :: v_dual_mov_b32 v5, 0
	s_add_nc_u64 s[4:5], s[14:15], s[4:5]
	v_mov_b32_e32 v8, v6
	v_add_co_u32 v0, s3, s4, v7
	s_delay_alu instid0(VALU_DEP_1)
	v_add_co_ci_u32_e64 v1, null, s5, 0, s3
	s_ashr_i32 s19, s18, 31
	s_mov_b32 s10, 0
	s_lshl_b64 s[6:7], s[18:19], 3
	s_mov_b32 s11, s17
.LBB9_2:                                ; =>This Inner Loop Header: Depth=1
	global_load_b64 v[9:10], v[0:1], off
	s_add_f32 s19, s11, 1.0
	v_add_nc_u32_e32 v8, s18, v8
	s_wait_alu 0xfffe
	s_delay_alu instid0(SALU_CYCLE_1)
	s_add_f32 s23, s19, 1.0
	v_div_scale_f32 v11, null, s19, s19, 1.0
	v_div_scale_f32 v12, vcc_lo, 1.0, s19, 1.0
	s_wait_alu 0xfffe
	s_add_f32 s24, s23, 1.0
	v_div_scale_f32 v13, null, s23, s23, 1.0
	v_xor_b32_e32 v15, 0x80000000, v11
	s_wait_alu 0xfffe
	s_add_f32 s11, s24, 1.0
	v_rcp_f32_e32 v11, v11
	v_div_scale_f32 v16, null, s24, s24, 1.0
	v_xor_b32_e32 v18, 0x80000000, v13
	v_rcp_f32_e32 v13, v13
	s_wait_alu 0xfffe
	v_div_scale_f32 v19, null, s11, s11, 1.0
	v_rcp_f32_e32 v21, v16
	v_xor_b32_e32 v16, 0x80000000, v16
	v_div_scale_f32 v14, s3, 1.0, s23, 1.0
	s_delay_alu instid0(VALU_DEP_3) | instskip(SKIP_2) | instid1(TRANS32_DEP_3)
	v_rcp_f32_e32 v23, v19
	v_fma_f32 v22, v15, v11, 1.0
	v_xor_b32_e32 v19, 0x80000000, v19
	v_fma_f32 v24, v18, v13, 1.0
	v_div_scale_f32 v20, s5, 1.0, s11, 1.0
	v_div_scale_f32 v17, s4, 1.0, s24, 1.0
	s_delay_alu instid0(VALU_DEP_3) | instskip(SKIP_2) | instid1(TRANS32_DEP_1)
	v_fmac_f32_e32 v13, v24, v13
	v_fmac_f32_e32 v11, v22, v11
	v_fma_f32 v22, v16, v21, 1.0
	v_fma_f32 v25, v19, v23, 1.0
	s_delay_alu instid0(VALU_DEP_1) | instskip(NEXT) | instid1(VALU_DEP_3)
	v_fmac_f32_e32 v23, v25, v23
	v_fmac_f32_e32 v21, v22, v21
	v_mul_f32_e32 v22, v14, v13
	s_delay_alu instid0(VALU_DEP_2) | instskip(NEXT) | instid1(VALU_DEP_2)
	v_mul_f32_e32 v25, v17, v21
	v_fma_f32 v27, v18, v22, v14
	s_delay_alu instid0(VALU_DEP_2) | instskip(NEXT) | instid1(VALU_DEP_2)
	v_fma_f32 v28, v16, v25, v17
	v_fmac_f32_e32 v22, v27, v13
	v_mul_f32_e32 v24, v12, v11
	s_delay_alu instid0(VALU_DEP_2) | instskip(NEXT) | instid1(VALU_DEP_2)
	v_fmac_f32_e32 v14, v18, v22
	v_fma_f32 v26, v15, v24, v12
	s_delay_alu instid0(VALU_DEP_1) | instskip(NEXT) | instid1(VALU_DEP_1)
	v_fmac_f32_e32 v24, v26, v11
	v_fmac_f32_e32 v12, v15, v24
	v_mul_f32_e32 v26, v20, v23
	v_fmac_f32_e32 v25, v28, v21
	s_wait_alu 0xfffd
	s_delay_alu instid0(VALU_DEP_3) | instskip(NEXT) | instid1(VALU_DEP_3)
	v_div_fmas_f32 v11, v12, v11, v24
	v_fma_f32 v15, v19, v26, v20
	s_delay_alu instid0(VALU_DEP_3)
	v_fmac_f32_e32 v17, v16, v25
	s_mov_b32 vcc_lo, s3
	v_cmp_le_i32_e64 s3, s22, v8
	v_div_fixup_f32 v11, v11, s19, 1.0
	v_fmac_f32_e32 v26, v15, v23
	s_wait_alu 0xfffe
	v_div_fmas_f32 v13, v14, v13, v22
	s_mov_b32 vcc_lo, s4
	s_or_b32 s10, s3, s10
	s_wait_alu 0xfffe
	v_div_fmas_f32 v16, v17, v21, v25
	v_fmac_f32_e32 v20, v19, v26
	s_mov_b32 vcc_lo, s5
	s_wait_alu 0xfffe
	s_delay_alu instid0(VALU_DEP_1)
	v_div_fmas_f32 v17, v20, v23, v26
	v_add_co_u32 v0, vcc_lo, v0, s6
	s_wait_alu 0xfffd
	v_add_co_ci_u32_e64 v1, null, s7, v1, vcc_lo
	s_wait_loadcnt 0x0
	v_lshlrev_b32_e32 v12, 16, v9
	v_and_b32_e32 v14, 0xffff0000, v9
	v_alignbit_b32 v9, v10, v9, 16
	s_delay_alu instid0(VALU_DEP_3) | instskip(NEXT) | instid1(VALU_DEP_1)
	v_dual_sub_f32 v15, v12, v5 :: v_dual_and_b32 v10, 0xffff0000, v10
	v_fmac_f32_e32 v5, v11, v15
	v_div_fixup_f32 v11, v13, s23, 1.0
	s_delay_alu instid0(VALU_DEP_2) | instskip(SKIP_1) | instid1(VALU_DEP_1)
	v_sub_f32_e32 v13, v14, v5
	v_sub_f32_e32 v12, v12, v5
	v_dual_fmac_f32 v4, v15, v12 :: v_dual_and_b32 v9, 0xffff0000, v9
	s_delay_alu instid0(VALU_DEP_3) | instskip(SKIP_1) | instid1(VALU_DEP_2)
	v_fmac_f32_e32 v5, v11, v13
	v_div_fixup_f32 v11, v16, s24, 1.0
	v_sub_f32_e32 v14, v14, v5
	s_delay_alu instid0(VALU_DEP_1) | instskip(SKIP_1) | instid1(VALU_DEP_1)
	v_fmac_f32_e32 v4, v13, v14
	v_sub_f32_e32 v16, v9, v5
	v_fmac_f32_e32 v5, v11, v16
	v_div_fixup_f32 v11, v17, s11, 1.0
	s_delay_alu instid0(VALU_DEP_2) | instskip(SKIP_1) | instid1(VALU_DEP_1)
	v_sub_f32_e32 v12, v10, v5
	v_sub_f32_e32 v9, v9, v5
	v_dual_fmac_f32 v5, v11, v12 :: v_dual_fmac_f32 v4, v16, v9
	s_delay_alu instid0(VALU_DEP_1) | instskip(NEXT) | instid1(VALU_DEP_1)
	v_dual_mov_b32 v9, s11 :: v_dual_sub_f32 v10, v10, v5
	v_fmac_f32_e32 v4, v12, v10
	s_and_not1_b32 exec_lo, exec_lo, s10
	s_cbranch_execnz .LBB9_2
; %bb.3:
	s_or_b32 exec_lo, exec_lo, s10
.LBB9_4:
	s_delay_alu instid0(SALU_CYCLE_1) | instskip(SKIP_3) | instid1(VALU_DEP_2)
	s_or_b32 exec_lo, exec_lo, s9
	v_mbcnt_lo_u32_b32 v0, -1, 0
	v_mov_b32_e32 v12, 0
	s_mov_b32 s3, exec_lo
	v_dual_mov_b32 v10, 0 :: v_dual_lshlrev_b32 v1, 2, v0
	s_delay_alu instid0(VALU_DEP_1)
	v_or_b32_e32 v1, 64, v1
	ds_bpermute_b32 v13, v1, v9
	ds_bpermute_b32 v11, v1, v5
	;; [unrolled: 1-line block ×3, first 2 shown]
	s_wait_dscnt 0x2
	v_dual_mov_b32 v1, 0 :: v_dual_add_f32 v8, v9, v13
	s_delay_alu instid0(VALU_DEP_1)
	v_cmpx_lt_f32_e32 0, v8
	s_cbranch_execz .LBB9_6
; %bb.5:
	v_div_scale_f32 v10, null, v8, v8, 1.0
	v_div_scale_f32 v16, vcc_lo, 1.0, v8, 1.0
	s_delay_alu instid0(VALU_DEP_2) | instskip(NEXT) | instid1(TRANS32_DEP_1)
	v_rcp_f32_e32 v12, v10
	v_fma_f32 v15, -v10, v12, 1.0
	s_delay_alu instid0(VALU_DEP_1) | instskip(NEXT) | instid1(VALU_DEP_1)
	v_fmac_f32_e32 v12, v15, v12
	v_mul_f32_e32 v15, v16, v12
	s_delay_alu instid0(VALU_DEP_1) | instskip(NEXT) | instid1(VALU_DEP_1)
	v_fma_f32 v17, -v10, v15, v16
	v_fmac_f32_e32 v15, v17, v12
	s_delay_alu instid0(VALU_DEP_1) | instskip(SKIP_1) | instid1(VALU_DEP_1)
	v_fma_f32 v10, -v10, v15, v16
	s_wait_alu 0xfffd
	v_div_fmas_f32 v10, v10, v12, v15
	s_delay_alu instid0(VALU_DEP_1) | instskip(SKIP_2) | instid1(VALU_DEP_2)
	v_div_fixup_f32 v12, v10, v8, 1.0
	s_wait_dscnt 0x1
	v_sub_f32_e32 v10, v5, v11
	v_mul_f32_e32 v9, v9, v12
	s_delay_alu instid0(VALU_DEP_2) | instskip(SKIP_4) | instid1(VALU_DEP_1)
	v_mul_f32_e32 v15, v10, v10
	s_wait_dscnt 0x0
	v_add_f32_e32 v10, v4, v14
	v_mul_f32_e32 v4, v12, v13
	v_mul_f32_e32 v12, v5, v9
	v_dual_mul_f32 v5, v15, v13 :: v_dual_fmac_f32 v12, v4, v11
	s_delay_alu instid0(VALU_DEP_1)
	v_fmac_f32_e32 v10, v5, v9
.LBB9_6:
	s_wait_alu 0xfffe
	s_or_b32 exec_lo, exec_lo, s3
	v_cmp_gt_u32_e32 vcc_lo, 24, v0
	s_mov_b32 s3, exec_lo
	s_wait_dscnt 0x1
	v_mov_b32_e32 v11, 0
	s_wait_alu 0xfffd
	v_cndmask_b32_e64 v4, 0, 8, vcc_lo
	s_delay_alu instid0(VALU_DEP_1)
	v_add_lshl_u32 v4, v4, v0, 2
	ds_bpermute_b32 v9, v4, v8
	ds_bpermute_b32 v5, v4, v12
	;; [unrolled: 1-line block ×3, first 2 shown]
	s_wait_dscnt 0x2
	v_add_f32_e32 v4, v8, v9
	s_delay_alu instid0(VALU_DEP_1)
	v_cmpx_lt_f32_e32 0, v4
	s_cbranch_execz .LBB9_8
; %bb.7:
	v_div_scale_f32 v1, null, v4, v4, 1.0
	v_div_scale_f32 v15, vcc_lo, 1.0, v4, 1.0
	s_delay_alu instid0(VALU_DEP_2) | instskip(NEXT) | instid1(TRANS32_DEP_1)
	v_rcp_f32_e32 v11, v1
	v_fma_f32 v14, -v1, v11, 1.0
	s_delay_alu instid0(VALU_DEP_1) | instskip(NEXT) | instid1(VALU_DEP_1)
	v_fmac_f32_e32 v11, v14, v11
	v_mul_f32_e32 v14, v15, v11
	s_delay_alu instid0(VALU_DEP_1) | instskip(NEXT) | instid1(VALU_DEP_1)
	v_fma_f32 v16, -v1, v14, v15
	v_fmac_f32_e32 v14, v16, v11
	s_delay_alu instid0(VALU_DEP_1) | instskip(SKIP_1) | instid1(VALU_DEP_1)
	v_fma_f32 v1, -v1, v14, v15
	s_wait_alu 0xfffd
	v_div_fmas_f32 v1, v1, v11, v14
	s_delay_alu instid0(VALU_DEP_1) | instskip(SKIP_2) | instid1(VALU_DEP_1)
	v_div_fixup_f32 v11, v1, v4, 1.0
	s_wait_dscnt 0x1
	v_sub_f32_e32 v1, v12, v5
	v_mul_f32_e32 v14, v1, v1
	s_wait_dscnt 0x0
	v_dual_mul_f32 v8, v8, v11 :: v_dual_add_f32 v1, v10, v13
	v_mul_f32_e32 v10, v11, v9
	s_delay_alu instid0(VALU_DEP_3) | instskip(NEXT) | instid1(VALU_DEP_3)
	v_mul_f32_e32 v9, v14, v9
	v_mul_f32_e32 v11, v12, v8
	s_delay_alu instid0(VALU_DEP_2) | instskip(NEXT) | instid1(VALU_DEP_2)
	v_fmac_f32_e32 v1, v9, v8
	v_fmac_f32_e32 v11, v10, v5
.LBB9_8:
	s_wait_alu 0xfffe
	s_or_b32 exec_lo, exec_lo, s3
	v_cmp_gt_u32_e32 vcc_lo, 28, v0
	v_dual_mov_b32 v9, 0 :: v_dual_mov_b32 v12, 0
	s_mov_b32 s3, exec_lo
	v_mov_b32_e32 v8, 0
	s_wait_dscnt 0x1
	s_wait_alu 0xfffd
	v_cndmask_b32_e64 v5, 0, 4, vcc_lo
	s_delay_alu instid0(VALU_DEP_1)
	v_add_lshl_u32 v5, v5, v0, 2
	s_wait_dscnt 0x0
	ds_bpermute_b32 v13, v5, v4
	ds_bpermute_b32 v10, v5, v11
	;; [unrolled: 1-line block ×3, first 2 shown]
	s_wait_dscnt 0x2
	v_add_f32_e32 v5, v4, v13
	s_delay_alu instid0(VALU_DEP_1)
	v_cmpx_lt_f32_e32 0, v5
	s_cbranch_execz .LBB9_10
; %bb.9:
	v_div_scale_f32 v8, null, v5, v5, 1.0
	v_div_scale_f32 v16, vcc_lo, 1.0, v5, 1.0
	s_delay_alu instid0(VALU_DEP_2) | instskip(NEXT) | instid1(TRANS32_DEP_1)
	v_rcp_f32_e32 v12, v8
	v_fma_f32 v15, -v8, v12, 1.0
	s_delay_alu instid0(VALU_DEP_1) | instskip(NEXT) | instid1(VALU_DEP_1)
	v_fmac_f32_e32 v12, v15, v12
	v_mul_f32_e32 v15, v16, v12
	s_delay_alu instid0(VALU_DEP_1) | instskip(NEXT) | instid1(VALU_DEP_1)
	v_fma_f32 v17, -v8, v15, v16
	v_fmac_f32_e32 v15, v17, v12
	s_delay_alu instid0(VALU_DEP_1) | instskip(SKIP_1) | instid1(VALU_DEP_1)
	v_fma_f32 v8, -v8, v15, v16
	s_wait_alu 0xfffd
	v_div_fmas_f32 v8, v8, v12, v15
	s_delay_alu instid0(VALU_DEP_1) | instskip(SKIP_3) | instid1(VALU_DEP_1)
	v_div_fixup_f32 v12, v8, v5, 1.0
	s_wait_dscnt 0x1
	v_sub_f32_e32 v8, v11, v10
	s_wait_dscnt 0x0
	v_dual_mul_f32 v15, v8, v8 :: v_dual_add_f32 v8, v1, v14
	v_mul_f32_e32 v4, v4, v12
	s_delay_alu instid0(VALU_DEP_1) | instskip(NEXT) | instid1(VALU_DEP_1)
	v_dual_mul_f32 v1, v12, v13 :: v_dual_mul_f32 v12, v11, v4
	v_dual_mul_f32 v11, v15, v13 :: v_dual_fmac_f32 v12, v1, v10
	s_delay_alu instid0(VALU_DEP_1)
	v_fmac_f32_e32 v8, v11, v4
.LBB9_10:
	s_wait_alu 0xfffe
	s_or_b32 exec_lo, exec_lo, s3
	v_cmp_gt_u32_e32 vcc_lo, 30, v0
	s_mov_b32 s3, exec_lo
	s_wait_dscnt 0x1
	v_mov_b32_e32 v10, 0
	s_wait_alu 0xfffd
	v_cndmask_b32_e64 v1, 0, 2, vcc_lo
	s_delay_alu instid0(VALU_DEP_1)
	v_add_lshl_u32 v1, v1, v0, 2
	ds_bpermute_b32 v11, v1, v5
	ds_bpermute_b32 v4, v1, v12
	;; [unrolled: 1-line block ×3, first 2 shown]
	s_wait_dscnt 0x2
	v_add_f32_e32 v1, v5, v11
	s_delay_alu instid0(VALU_DEP_1)
	v_cmpx_lt_f32_e32 0, v1
	s_cbranch_execz .LBB9_12
; %bb.11:
	v_div_scale_f32 v9, null, v1, v1, 1.0
	v_div_scale_f32 v15, vcc_lo, 1.0, v1, 1.0
	s_delay_alu instid0(VALU_DEP_2) | instskip(NEXT) | instid1(TRANS32_DEP_1)
	v_rcp_f32_e32 v10, v9
	v_fma_f32 v14, -v9, v10, 1.0
	s_delay_alu instid0(VALU_DEP_1) | instskip(NEXT) | instid1(VALU_DEP_1)
	v_fmac_f32_e32 v10, v14, v10
	v_mul_f32_e32 v14, v15, v10
	s_delay_alu instid0(VALU_DEP_1) | instskip(NEXT) | instid1(VALU_DEP_1)
	v_fma_f32 v16, -v9, v14, v15
	v_fmac_f32_e32 v14, v16, v10
	s_delay_alu instid0(VALU_DEP_1) | instskip(SKIP_1) | instid1(VALU_DEP_1)
	v_fma_f32 v9, -v9, v14, v15
	s_wait_alu 0xfffd
	v_div_fmas_f32 v9, v9, v10, v14
	s_delay_alu instid0(VALU_DEP_1) | instskip(SKIP_2) | instid1(VALU_DEP_2)
	v_div_fixup_f32 v10, v9, v1, 1.0
	s_wait_dscnt 0x1
	v_sub_f32_e32 v9, v12, v4
	v_mul_f32_e32 v5, v5, v10
	s_delay_alu instid0(VALU_DEP_2) | instskip(SKIP_2) | instid1(VALU_DEP_2)
	v_mul_f32_e32 v14, v9, v9
	s_wait_dscnt 0x0
	v_dual_add_f32 v9, v8, v13 :: v_dual_mul_f32 v8, v10, v11
	v_dual_mul_f32 v10, v12, v5 :: v_dual_mul_f32 v11, v14, v11
	s_delay_alu instid0(VALU_DEP_1)
	v_dual_fmac_f32 v10, v8, v4 :: v_dual_fmac_f32 v9, v11, v5
.LBB9_12:
	s_wait_alu 0xfffe
	s_or_b32 exec_lo, exec_lo, s3
	v_cmp_ne_u32_e32 vcc_lo, 31, v0
	v_mov_b32_e32 v8, 0
	s_mov_b32 s3, exec_lo
	s_wait_alu 0xfffd
	v_add_co_ci_u32_e64 v0, null, 0, v0, vcc_lo
	s_wait_dscnt 0x1
	s_delay_alu instid0(VALU_DEP_1)
	v_lshlrev_b32_e32 v4, 2, v0
	ds_bpermute_b32 v11, v4, v1
	s_wait_dscnt 0x0
	v_add_f32_e32 v5, v1, v11
	ds_bpermute_b32 v0, v4, v10
	ds_bpermute_b32 v12, v4, v9
	v_mov_b32_e32 v4, 0
	v_cmpx_lt_f32_e32 0, v5
	s_cbranch_execz .LBB9_14
; %bb.13:
	v_div_scale_f32 v4, null, v5, v5, 1.0
	v_div_scale_f32 v14, vcc_lo, 1.0, v5, 1.0
	s_delay_alu instid0(VALU_DEP_2) | instskip(NEXT) | instid1(TRANS32_DEP_1)
	v_rcp_f32_e32 v8, v4
	v_fma_f32 v13, -v4, v8, 1.0
	s_delay_alu instid0(VALU_DEP_1) | instskip(NEXT) | instid1(VALU_DEP_1)
	v_fmac_f32_e32 v8, v13, v8
	v_mul_f32_e32 v13, v14, v8
	s_delay_alu instid0(VALU_DEP_1) | instskip(NEXT) | instid1(VALU_DEP_1)
	v_fma_f32 v15, -v4, v13, v14
	v_fmac_f32_e32 v13, v15, v8
	s_delay_alu instid0(VALU_DEP_1) | instskip(SKIP_1) | instid1(VALU_DEP_1)
	v_fma_f32 v4, -v4, v13, v14
	s_wait_alu 0xfffd
	v_div_fmas_f32 v4, v4, v8, v13
	s_wait_dscnt 0x1
	v_sub_f32_e32 v8, v10, v0
	s_delay_alu instid0(VALU_DEP_2) | instskip(NEXT) | instid1(VALU_DEP_1)
	v_div_fixup_f32 v4, v4, v5, 1.0
	v_mul_f32_e32 v1, v1, v4
	s_delay_alu instid0(VALU_DEP_3) | instskip(SKIP_2) | instid1(VALU_DEP_3)
	v_mul_f32_e32 v13, v8, v8
	s_wait_dscnt 0x0
	v_dual_add_f32 v8, v9, v12 :: v_dual_mul_f32 v9, v4, v11
	v_mul_f32_e32 v4, v10, v1
	s_delay_alu instid0(VALU_DEP_3) | instskip(NEXT) | instid1(VALU_DEP_2)
	v_mul_f32_e32 v10, v13, v11
	v_fmac_f32_e32 v4, v9, v0
	s_delay_alu instid0(VALU_DEP_2)
	v_fmac_f32_e32 v8, v10, v1
.LBB9_14:
	s_wait_alu 0xfffe
	s_or_b32 exec_lo, exec_lo, s3
	s_cmp_lt_u32 s8, 2
	s_cbranch_scc0 .LBB9_16
; %bb.15:
	s_wait_dscnt 0x1
	v_mov_b32_e32 v0, 0
	s_cvt_f32_i32 s3, s12
	ds_bpermute_b32 v1, v0, v8
	ds_bpermute_b32 v0, v0, v4
	s_wait_dscnt 0x1
	s_wait_alu 0xfffe
	v_div_scale_f32 v9, null, s3, s3, v1
	s_delay_alu instid0(VALU_DEP_1) | instskip(NEXT) | instid1(TRANS32_DEP_1)
	v_rcp_f32_e32 v10, v9
	v_fma_f32 v11, -v9, v10, 1.0
	s_delay_alu instid0(VALU_DEP_1) | instskip(SKIP_1) | instid1(VALU_DEP_1)
	v_fmac_f32_e32 v10, v11, v10
	v_div_scale_f32 v11, vcc_lo, v1, s3, v1
	v_mul_f32_e32 v12, v11, v10
	s_delay_alu instid0(VALU_DEP_1) | instskip(NEXT) | instid1(VALU_DEP_1)
	v_fma_f32 v13, -v9, v12, v11
	v_fmac_f32_e32 v12, v13, v10
	s_delay_alu instid0(VALU_DEP_1) | instskip(SKIP_1) | instid1(VALU_DEP_1)
	v_fma_f32 v9, -v9, v12, v11
	s_wait_alu 0xfffd
	v_div_fmas_f32 v9, v9, v10, v12
	s_delay_alu instid0(VALU_DEP_1)
	v_div_fixup_f32 v1, v9, s3, v1
	s_cbranch_execz .LBB9_17
	s_branch .LBB9_29
.LBB9_16:
                                        ; implicit-def: $vgpr1
.LBB9_17:
	v_lshlrev_b32_e32 v1, 3, v2
	s_lshl_b32 s3, s8, 2
	s_wait_alu 0xfffe
	s_add_co_i32 s5, s3, 0
	v_cmp_eq_u32_e64 s3, 0, v3
	s_wait_dscnt 0x0
	s_wait_alu 0xfffe
	v_lshl_add_u32 v0, v2, 2, s5
	v_add_nc_u32_e32 v1, 0, v1
.LBB9_18:                               ; =>This Inner Loop Header: Depth=1
	s_lshr_b32 s6, s8, 1
	s_and_b32 s4, s8, 0xfffe
	s_wait_alu 0xfffe
	v_cmp_le_u32_e32 vcc_lo, s6, v2
	v_cmp_gt_u32_e64 s4, s4, v2
	s_and_b32 s7, s3, vcc_lo
	s_wait_alu 0xfffe
	s_and_b32 s7, s7, s4
	s_wait_alu 0xfffe
	s_and_saveexec_b32 s4, s7
	s_cbranch_execz .LBB9_20
; %bb.19:                               ;   in Loop: Header=BB9_18 Depth=1
	v_subrev_nc_u32_e32 v9, s6, v2
	s_delay_alu instid0(VALU_DEP_1)
	v_lshl_add_u32 v10, v9, 3, 0
	v_lshl_add_u32 v9, v9, 2, s5
	ds_store_2addr_b32 v10, v4, v8 offset1:1
	ds_store_b32 v9, v5
.LBB9_20:                               ;   in Loop: Header=BB9_18 Depth=1
	s_wait_alu 0xfffe
	s_or_b32 exec_lo, exec_lo, s4
	v_cmp_gt_u32_e32 vcc_lo, s6, v2
	s_wait_dscnt 0x0
	s_barrier_signal -1
	s_barrier_wait -1
	global_inv scope:SCOPE_SE
	s_and_b32 s7, s3, vcc_lo
	s_wait_alu 0xfffe
	s_and_saveexec_b32 s4, s7
	s_cbranch_execz .LBB9_24
; %bb.21:                               ;   in Loop: Header=BB9_18 Depth=1
	ds_load_b32 v10, v0
	v_mov_b32_e32 v11, 0
	s_mov_b32 s7, exec_lo
	s_wait_dscnt 0x0
	v_dual_mov_b32 v12, 0 :: v_dual_add_f32 v9, v5, v10
	s_delay_alu instid0(VALU_DEP_1)
	v_cmpx_lt_f32_e32 0, v9
	s_cbranch_execz .LBB9_23
; %bb.22:                               ;   in Loop: Header=BB9_18 Depth=1
	v_div_scale_f32 v11, null, v9, v9, 1.0
	v_div_scale_f32 v15, vcc_lo, 1.0, v9, 1.0
	s_delay_alu instid0(VALU_DEP_2) | instskip(NEXT) | instid1(TRANS32_DEP_1)
	v_rcp_f32_e32 v14, v11
	v_fma_f32 v12, -v11, v14, 1.0
	s_delay_alu instid0(VALU_DEP_1) | instskip(SKIP_2) | instid1(VALU_DEP_1)
	v_fmac_f32_e32 v14, v12, v14
	ds_load_2addr_b32 v[12:13], v1 offset1:1
	v_mul_f32_e32 v16, v15, v14
	v_fma_f32 v17, -v11, v16, v15
	s_delay_alu instid0(VALU_DEP_1) | instskip(NEXT) | instid1(VALU_DEP_1)
	v_fmac_f32_e32 v16, v17, v14
	v_fma_f32 v11, -v11, v16, v15
	s_wait_alu 0xfffd
	s_delay_alu instid0(VALU_DEP_1) | instskip(NEXT) | instid1(VALU_DEP_1)
	v_div_fmas_f32 v11, v11, v14, v16
	v_div_fixup_f32 v14, v11, v9, 1.0
	s_wait_dscnt 0x0
	v_sub_f32_e32 v11, v4, v12
	s_delay_alu instid0(VALU_DEP_1) | instskip(SKIP_1) | instid1(VALU_DEP_2)
	v_dual_mul_f32 v15, v10, v14 :: v_dual_mul_f32 v16, v11, v11
	v_add_f32_e32 v11, v8, v13
	v_dual_mul_f32 v5, v5, v14 :: v_dual_mul_f32 v12, v15, v12
	s_delay_alu instid0(VALU_DEP_3) | instskip(NEXT) | instid1(VALU_DEP_1)
	v_mul_f32_e32 v8, v10, v16
	v_dual_fmac_f32 v12, v4, v5 :: v_dual_fmac_f32 v11, v5, v8
.LBB9_23:                               ;   in Loop: Header=BB9_18 Depth=1
	s_wait_alu 0xfffe
	s_or_b32 exec_lo, exec_lo, s7
	s_delay_alu instid0(VALU_DEP_1) | instskip(NEXT) | instid1(VALU_DEP_2)
	v_dual_mov_b32 v4, v12 :: v_dual_mov_b32 v5, v9
	v_mov_b32_e32 v8, v11
.LBB9_24:                               ;   in Loop: Header=BB9_18 Depth=1
	s_wait_alu 0xfffe
	s_or_b32 exec_lo, exec_lo, s4
	s_cmp_lt_u32 s8, 4
	s_wait_loadcnt 0x0
	s_barrier_signal -1
	s_barrier_wait -1
	global_inv scope:SCOPE_SE
	s_cbranch_scc1 .LBB9_26
; %bb.25:                               ;   in Loop: Header=BB9_18 Depth=1
	s_mov_b32 s8, s6
	s_branch .LBB9_18
.LBB9_26:
	v_or_b32_e32 v0, v3, v2
	s_mov_b32 s3, exec_lo
	s_delay_alu instid0(VALU_DEP_1)
	v_cmpx_eq_u32_e32 0, v0
	s_cbranch_execz .LBB9_28
; %bb.27:
	s_cvt_f32_i32 s4, s12
	s_wait_alu 0xfffe
	s_delay_alu instid0(SALU_CYCLE_2) | instskip(SKIP_1) | instid1(VALU_DEP_2)
	v_div_scale_f32 v0, null, s4, s4, v8
	v_div_scale_f32 v3, vcc_lo, v8, s4, v8
	v_rcp_f32_e32 v1, v0
	s_delay_alu instid0(TRANS32_DEP_1) | instskip(NEXT) | instid1(VALU_DEP_1)
	v_fma_f32 v2, -v0, v1, 1.0
	v_fmac_f32_e32 v1, v2, v1
	s_delay_alu instid0(VALU_DEP_1) | instskip(NEXT) | instid1(VALU_DEP_1)
	v_mul_f32_e32 v2, v3, v1
	v_fma_f32 v5, -v0, v2, v3
	s_delay_alu instid0(VALU_DEP_1) | instskip(NEXT) | instid1(VALU_DEP_1)
	v_fmac_f32_e32 v2, v5, v1
	v_fma_f32 v0, -v0, v2, v3
	s_wait_alu 0xfffd
	s_delay_alu instid0(VALU_DEP_1) | instskip(SKIP_1) | instid1(VALU_DEP_2)
	v_div_fmas_f32 v0, v0, v1, v2
	v_mov_b32_e32 v1, 0
	v_div_fixup_f32 v0, v0, s4, v8
	ds_store_2addr_b32 v1, v4, v0 offset1:1
.LBB9_28:
	s_wait_alu 0xfffe
	s_or_b32 exec_lo, exec_lo, s3
	v_mov_b32_e32 v0, 0
	s_wait_loadcnt_dscnt 0x0
	s_barrier_signal -1
	s_barrier_wait -1
	global_inv scope:SCOPE_SE
	ds_load_2addr_b32 v[0:1], v0 offset1:1
.LBB9_29:
	s_wait_dscnt 0x0
	s_delay_alu instid0(VALU_DEP_1) | instskip(SKIP_3) | instid1(VALU_DEP_1)
	v_add_f32_e32 v1, s13, v1
	s_clause 0x1
	s_load_b256 s[4:11], s[0:1], 0x10
	s_load_b64 s[0:1], s[0:1], 0x30
	v_mul_f32_e32 v2, 0x4b800000, v1
	v_cmp_gt_f32_e32 vcc_lo, 0x800000, v1
	s_wait_alu 0xfffd
	s_delay_alu instid0(VALU_DEP_2) | instskip(NEXT) | instid1(VALU_DEP_1)
	v_cndmask_b32_e32 v1, v1, v2, vcc_lo
	v_rsq_f32_e32 v1, v1
	s_delay_alu instid0(TRANS32_DEP_1) | instskip(NEXT) | instid1(VALU_DEP_1)
	v_mul_f32_e32 v2, 0x45800000, v1
	v_cndmask_b32_e32 v8, v1, v2, vcc_lo
	s_and_saveexec_b32 s23, s2
	s_cbranch_execz .LBB9_44
; %bb.30:
	s_wait_kmcnt 0x0
	s_cmp_eq_u64 s[4:5], 0
	v_dual_mov_b32 v9, v8 :: v_dual_mov_b32 v10, v0
	s_cselect_b32 s24, -1, 0
	s_cmp_eq_u64 s[6:7], 0
	v_mov_b32_e32 v11, 0
	s_cselect_b32 s12, -1, 0
	v_mov_b32_e32 v13, v6
	s_wait_alu 0xfffe
	v_cndmask_b32_e64 v12, 0, 1, s12
	s_lshl_b64 s[2:3], s[20:21], 1
	s_ashr_i32 s19, s18, 31
	s_wait_alu 0xfffe
	s_add_nc_u64 s[0:1], s[0:1], s[2:3]
	s_add_nc_u64 s[2:3], s[14:15], s[2:3]
	s_or_b32 s14, s24, s12
	s_lshl_b64 s[12:13], s[18:19], 3
	s_mov_b32 s15, 0
	s_branch .LBB9_32
.LBB9_31:                               ;   in Loop: Header=BB9_32 Depth=1
	s_delay_alu instid0(VALU_DEP_1)
	v_bfe_u32 v1, v15, 16, 1
	v_and_b32_e32 v2, 0xffff, v5
	v_cmp_o_f32_e32 vcc_lo, v15, v15
	v_add_nc_u32_e32 v13, s18, v13
	v_lshl_or_b32 v3, v4, 16, v14
	v_add3_u32 v1, v15, v1, 0x7fff
	v_or_b32_e32 v5, v11, v2
	s_add_nc_u64 s[2:3], s[2:3], s[12:13]
	s_add_nc_u64 s[4:5], s[4:5], s[12:13]
	;; [unrolled: 1-line block ×3, first 2 shown]
	v_and_b32_e32 v1, 0xffff0000, v1
	s_wait_alu 0xfffd
	s_delay_alu instid0(VALU_DEP_1)
	v_cndmask_b32_e32 v15, 0x7fc00000, v1, vcc_lo
	v_add_co_u32 v1, s19, s0, v7
	v_cmp_le_i32_e32 vcc_lo, s22, v13
	s_wait_alu 0xf1ff
	v_add_co_ci_u32_e64 v2, null, s1, 0, s19
	v_or_b32_e32 v4, v5, v15
	s_add_nc_u64 s[0:1], s[0:1], s[12:13]
	s_or_b32 s15, vcc_lo, s15
	global_store_b64 v[1:2], v[3:4], off
	s_and_not1_b32 exec_lo, exec_lo, s15
	s_cbranch_execz .LBB9_44
.LBB9_32:                               ; =>This Inner Loop Header: Depth=1
	s_wait_alu 0xfffe
	v_add_co_u32 v1, s19, s2, v7
	s_wait_alu 0xf1ff
	v_add_co_ci_u32_e64 v2, null, s3, 0, s19
	s_and_b32 vcc_lo, exec_lo, s14
	s_mov_b32 s19, -1
                                        ; implicit-def: $vgpr15
                                        ; implicit-def: $vgpr14
	global_load_b64 v[1:2], v[1:2], off
	s_wait_loadcnt 0x0
	v_lshrrev_b64 v[3:4], 16, v[1:2]
                                        ; implicit-def: $vgpr4_vgpr5
	s_wait_alu 0xfffe
	s_cbranch_vccz .LBB9_42
; %bb.33:                               ;   in Loop: Header=BB9_32 Depth=1
	s_and_b32 vcc_lo, exec_lo, s24
                                        ; implicit-def: $vgpr4_vgpr5
                                        ; implicit-def: $vgpr15
                                        ; implicit-def: $vgpr14
	s_wait_alu 0xfffe
	s_cbranch_vccz .LBB9_39
; %bb.34:                               ;   in Loop: Header=BB9_32 Depth=1
	v_cmp_ne_u32_e32 vcc_lo, 1, v12
                                        ; implicit-def: $vgpr4_vgpr5
                                        ; implicit-def: $vgpr15
                                        ; implicit-def: $vgpr14
	s_cbranch_vccnz .LBB9_36
; %bb.35:                               ;   in Loop: Header=BB9_32 Depth=1
	v_lshlrev_b32_e32 v5, 16, v3
	v_lshlrev_b32_e32 v4, 16, v2
	;; [unrolled: 1-line block ×3, first 2 shown]
	v_and_b32_e32 v18, 0xffff0000, v2
	s_mov_b32 s19, 0
	s_delay_alu instid0(VALU_DEP_3) | instskip(NEXT) | instid1(VALU_DEP_3)
	v_dual_sub_f32 v5, v5, v0 :: v_dual_sub_f32 v4, v4, v10
	v_sub_f32_e32 v14, v14, v0
	s_delay_alu instid0(VALU_DEP_2) | instskip(NEXT) | instid1(VALU_DEP_2)
	v_dual_sub_f32 v18, v18, v0 :: v_dual_mul_f32 v15, v8, v5
	v_dual_mul_f32 v4, v9, v4 :: v_dual_mul_f32 v5, v8, v14
	s_delay_alu instid0(VALU_DEP_2) | instskip(NEXT) | instid1(VALU_DEP_2)
	v_lshrrev_b32_e32 v16, 16, v15
	v_lshrrev_b32_e32 v14, 16, v4
	s_delay_alu instid0(VALU_DEP_3) | instskip(SKIP_1) | instid1(VALU_DEP_4)
	v_bfe_u32 v17, v5, 16, 1
	v_cmp_o_f32_e32 vcc_lo, v5, v5
	v_and_b32_e32 v16, 1, v16
	s_delay_alu instid0(VALU_DEP_4) | instskip(NEXT) | instid1(VALU_DEP_4)
	v_and_b32_e32 v14, 1, v14
	v_add3_u32 v17, v5, v17, 0x7fff
	s_delay_alu instid0(VALU_DEP_3) | instskip(NEXT) | instid1(VALU_DEP_3)
	v_add3_u32 v16, v15, v16, 0x7fff
	v_add3_u32 v14, v4, v14, 0x7fff
	s_delay_alu instid0(VALU_DEP_3) | instskip(NEXT) | instid1(VALU_DEP_3)
	v_lshrrev_b32_e32 v17, 16, v17
	v_lshrrev_b32_e32 v16, 16, v16
	s_delay_alu instid0(VALU_DEP_3) | instskip(SKIP_1) | instid1(VALU_DEP_3)
	v_lshrrev_b32_e32 v19, 16, v14
	s_wait_alu 0xfffd
	v_cndmask_b32_e32 v14, 0x7fc0, v17, vcc_lo
	v_cmp_o_f32_e32 vcc_lo, v4, v4
	s_wait_alu 0xfffd
	v_cndmask_b32_e32 v5, 0x7fc0, v19, vcc_lo
	v_cmp_o_f32_e32 vcc_lo, v15, v15
	s_wait_alu 0xfffd
	v_dual_mul_f32 v15, v8, v18 :: v_dual_cndmask_b32 v4, 0x7fc0, v16
.LBB9_36:                               ;   in Loop: Header=BB9_32 Depth=1
	s_wait_alu 0xfffe
	s_and_not1_b32 vcc_lo, exec_lo, s19
	s_wait_alu 0xfffe
	s_cbranch_vccnz .LBB9_38
; %bb.37:                               ;   in Loop: Header=BB9_32 Depth=1
	v_add_co_u32 v4, s19, s6, v7
	s_wait_alu 0xf1ff
	v_add_co_ci_u32_e64 v5, null, s7, 0, s19
	v_lshlrev_b32_e32 v15, 16, v3
	v_lshlrev_b32_e32 v14, 16, v2
	v_and_b32_e32 v19, 0xffff0000, v2
	global_load_b64 v[4:5], v[4:5], off
	v_dual_sub_f32 v15, v15, v0 :: v_dual_sub_f32 v14, v14, v10
	v_sub_f32_e32 v19, v19, v0
	s_wait_loadcnt 0x0
	v_lshlrev_b32_e32 v17, 16, v5
	v_lshlrev_b32_e32 v16, 16, v1
	s_delay_alu instid0(VALU_DEP_2) | instskip(NEXT) | instid1(VALU_DEP_2)
	v_dual_fmac_f32 v17, v9, v14 :: v_dual_and_b32 v18, 0xffff0000, v4
	v_sub_f32_e32 v16, v16, v0
	s_delay_alu instid0(VALU_DEP_2) | instskip(NEXT) | instid1(VALU_DEP_3)
	v_fmac_f32_e32 v18, v8, v15
	v_lshrrev_b32_e32 v14, 16, v17
	s_delay_alu instid0(VALU_DEP_2) | instskip(NEXT) | instid1(VALU_DEP_2)
	v_lshrrev_b32_e32 v15, 16, v18
	v_and_b32_e32 v14, 1, v14
	s_delay_alu instid0(VALU_DEP_2) | instskip(NEXT) | instid1(VALU_DEP_2)
	v_and_b32_e32 v15, 1, v15
	v_add3_u32 v14, v17, v14, 0x7fff
	s_delay_alu instid0(VALU_DEP_2) | instskip(SKIP_1) | instid1(VALU_DEP_3)
	v_add3_u32 v20, v18, v15, 0x7fff
	v_and_b32_e32 v15, 0xffff0000, v5
	v_lshrrev_b32_e32 v5, 16, v14
	v_lshlrev_b32_e32 v4, 16, v4
	s_delay_alu instid0(VALU_DEP_4) | instskip(NEXT) | instid1(VALU_DEP_4)
	v_lshrrev_b32_e32 v20, 16, v20
	v_fmac_f32_e32 v15, v8, v19
	s_delay_alu instid0(VALU_DEP_3) | instskip(NEXT) | instid1(VALU_DEP_1)
	v_fmac_f32_e32 v4, v8, v16
	v_bfe_u32 v16, v4, 16, 1
	v_cmp_o_f32_e32 vcc_lo, v4, v4
	s_delay_alu instid0(VALU_DEP_2) | instskip(NEXT) | instid1(VALU_DEP_1)
	v_add3_u32 v16, v4, v16, 0x7fff
	v_lshrrev_b32_e32 v16, 16, v16
	s_wait_alu 0xfffd
	s_delay_alu instid0(VALU_DEP_1)
	v_cndmask_b32_e32 v14, 0x7fc0, v16, vcc_lo
	v_cmp_o_f32_e32 vcc_lo, v17, v17
	s_wait_alu 0xfffd
	v_cndmask_b32_e32 v5, 0x7fc0, v5, vcc_lo
	v_cmp_o_f32_e32 vcc_lo, v18, v18
	s_wait_alu 0xfffd
	v_cndmask_b32_e32 v4, 0x7fc0, v20, vcc_lo
.LBB9_38:                               ;   in Loop: Header=BB9_32 Depth=1
	s_mov_b32 s19, 0
.LBB9_39:                               ;   in Loop: Header=BB9_32 Depth=1
	s_wait_alu 0xfffe
	s_and_not1_b32 vcc_lo, exec_lo, s19
	s_wait_alu 0xfffe
	s_cbranch_vccnz .LBB9_41
; %bb.40:                               ;   in Loop: Header=BB9_32 Depth=1
	v_add_co_u32 v4, s19, s4, v7
	s_wait_alu 0xf1ff
	v_add_co_ci_u32_e64 v5, null, s5, 0, s19
	v_lshlrev_b32_e32 v15, 16, v3
	v_lshlrev_b32_e32 v14, 16, v2
	global_load_b64 v[4:5], v[4:5], off
	v_dual_sub_f32 v15, v15, v0 :: v_dual_lshlrev_b32 v16, 16, v1
	s_delay_alu instid0(VALU_DEP_1) | instskip(NEXT) | instid1(VALU_DEP_2)
	v_dual_sub_f32 v14, v14, v10 :: v_dual_mul_f32 v15, v8, v15
	v_sub_f32_e32 v16, v16, v0
	s_wait_loadcnt 0x0
	s_delay_alu instid0(VALU_DEP_2) | instskip(SKIP_3) | instid1(VALU_DEP_4)
	v_dual_mul_f32 v14, v9, v14 :: v_dual_lshlrev_b32 v17, 16, v5
	v_and_b32_e32 v18, 0xffff0000, v4
	v_lshlrev_b32_e32 v4, 16, v4
	v_and_b32_e32 v20, 0xffff0000, v5
	v_dual_mul_f32 v17, v14, v17 :: v_dual_mul_f32 v16, v8, v16
	s_delay_alu instid0(VALU_DEP_4) | instskip(SKIP_1) | instid1(VALU_DEP_3)
	v_mul_f32_e32 v15, v15, v18
	v_and_b32_e32 v18, 0xffff0000, v2
	v_lshrrev_b32_e32 v14, 16, v17
	s_delay_alu instid0(VALU_DEP_4) | instskip(NEXT) | instid1(VALU_DEP_4)
	v_mul_f32_e32 v4, v16, v4
	v_lshrrev_b32_e32 v16, 16, v15
	s_delay_alu instid0(VALU_DEP_4) | instskip(NEXT) | instid1(VALU_DEP_3)
	v_sub_f32_e32 v18, v18, v0
	v_bfe_u32 v19, v4, 16, 1
	s_delay_alu instid0(VALU_DEP_3) | instskip(NEXT) | instid1(VALU_DEP_3)
	v_and_b32_e32 v16, 1, v16
	v_mul_f32_e32 v18, v8, v18
	v_and_b32_e32 v14, 1, v14
	v_cmp_o_f32_e32 vcc_lo, v4, v4
	v_add3_u32 v19, v4, v19, 0x7fff
	v_add3_u32 v16, v15, v16, 0x7fff
	s_delay_alu instid0(VALU_DEP_4) | instskip(NEXT) | instid1(VALU_DEP_3)
	v_add3_u32 v14, v17, v14, 0x7fff
	v_lshrrev_b32_e32 v19, 16, v19
	s_delay_alu instid0(VALU_DEP_3) | instskip(NEXT) | instid1(VALU_DEP_3)
	v_lshrrev_b32_e32 v16, 16, v16
	v_lshrrev_b32_e32 v5, 16, v14
	s_wait_alu 0xfffd
	s_delay_alu instid0(VALU_DEP_3)
	v_cndmask_b32_e32 v14, 0x7fc0, v19, vcc_lo
	v_cmp_o_f32_e32 vcc_lo, v17, v17
	s_wait_alu 0xfffd
	v_cndmask_b32_e32 v5, 0x7fc0, v5, vcc_lo
	v_cmp_o_f32_e32 vcc_lo, v15, v15
	v_mul_f32_e32 v15, v18, v20
	s_wait_alu 0xfffd
	v_cndmask_b32_e32 v4, 0x7fc0, v16, vcc_lo
.LBB9_41:                               ;   in Loop: Header=BB9_32 Depth=1
	s_mov_b32 s19, 0
.LBB9_42:                               ;   in Loop: Header=BB9_32 Depth=1
	s_wait_alu 0xfffe
	s_and_not1_b32 vcc_lo, exec_lo, s19
	s_wait_alu 0xfffe
	s_cbranch_vccnz .LBB9_31
; %bb.43:                               ;   in Loop: Header=BB9_32 Depth=1
	v_add_co_u32 v4, s19, s4, v7
	s_wait_alu 0xf1ff
	v_add_co_ci_u32_e64 v5, null, s5, 0, s19
	v_add_co_u32 v14, s19, s6, v7
	s_wait_alu 0xf1ff
	v_add_co_ci_u32_e64 v15, null, s7, 0, s19
	global_load_b64 v[4:5], v[4:5], off
	global_load_b64 v[14:15], v[14:15], off
	v_lshlrev_b32_e32 v16, 16, v2
	s_delay_alu instid0(VALU_DEP_1) | instskip(SKIP_1) | instid1(VALU_DEP_2)
	v_dual_sub_f32 v16, v16, v10 :: v_dual_lshlrev_b32 v1, 16, v1
	v_lshlrev_b32_e32 v3, 16, v3
	v_sub_f32_e32 v1, v1, v0
	s_delay_alu instid0(VALU_DEP_3) | instskip(NEXT) | instid1(VALU_DEP_3)
	v_mul_f32_e32 v16, v9, v16
	v_sub_f32_e32 v3, v3, v0
	s_wait_loadcnt 0x1
	s_delay_alu instid0(VALU_DEP_3) | instskip(SKIP_1) | instid1(VALU_DEP_2)
	v_dual_mul_f32 v1, v8, v1 :: v_dual_and_b32 v18, 0xffff0000, v4
	s_wait_loadcnt 0x0
	v_dual_mul_f32 v3, v8, v3 :: v_dual_and_b32 v20, 0xffff0000, v14
	v_lshlrev_b32_e32 v4, 16, v4
	s_delay_alu instid0(VALU_DEP_2) | instskip(SKIP_3) | instid1(VALU_DEP_4)
	v_dual_fmac_f32 v20, v3, v18 :: v_dual_lshlrev_b32 v17, 16, v5
	v_lshlrev_b32_e32 v14, 16, v14
	v_lshlrev_b32_e32 v19, 16, v15
	v_and_b32_e32 v15, 0xffff0000, v15
	v_lshrrev_b32_e32 v3, 16, v20
	s_delay_alu instid0(VALU_DEP_3) | instskip(SKIP_2) | instid1(VALU_DEP_3)
	v_dual_fmac_f32 v14, v1, v4 :: v_dual_fmac_f32 v19, v16, v17
	v_and_b32_e32 v1, 0xffff0000, v2
	v_and_b32_e32 v16, 0xffff0000, v5
	v_bfe_u32 v4, v14, 16, 1
	s_delay_alu instid0(VALU_DEP_4) | instskip(NEXT) | instid1(VALU_DEP_4)
	v_lshrrev_b32_e32 v2, 16, v19
	v_sub_f32_e32 v1, v1, v0
	v_cmp_o_f32_e32 vcc_lo, v14, v14
	s_delay_alu instid0(VALU_DEP_4) | instskip(NEXT) | instid1(VALU_DEP_4)
	v_add3_u32 v4, v14, v4, 0x7fff
	v_and_b32_e32 v2, 1, v2
	s_delay_alu instid0(VALU_DEP_2) | instskip(SKIP_1) | instid1(VALU_DEP_3)
	v_lshrrev_b32_e32 v4, 16, v4
	v_and_b32_e32 v3, 1, v3
	v_add3_u32 v2, v19, v2, 0x7fff
	s_wait_alu 0xfffd
	s_delay_alu instid0(VALU_DEP_3) | instskip(NEXT) | instid1(VALU_DEP_3)
	v_cndmask_b32_e32 v14, 0x7fc0, v4, vcc_lo
	v_add3_u32 v3, v20, v3, 0x7fff
	s_delay_alu instid0(VALU_DEP_3) | instskip(SKIP_1) | instid1(VALU_DEP_3)
	v_lshrrev_b32_e32 v2, 16, v2
	v_cmp_o_f32_e32 vcc_lo, v19, v19
	v_lshrrev_b32_e32 v3, 16, v3
	s_wait_alu 0xfffd
	s_delay_alu instid0(VALU_DEP_3) | instskip(SKIP_3) | instid1(VALU_DEP_1)
	v_cndmask_b32_e32 v5, 0x7fc0, v2, vcc_lo
	v_cmp_o_f32_e32 vcc_lo, v20, v20
	s_wait_alu 0xfffd
	v_dual_mul_f32 v1, v8, v1 :: v_dual_cndmask_b32 v4, 0x7fc0, v3
	v_fmac_f32_e32 v15, v1, v16
	s_branch .LBB9_31
.LBB9_44:
	s_wait_alu 0xfffe
	s_or_b32 exec_lo, exec_lo, s23
	s_wait_kmcnt 0x0
	s_mov_b32 s0, exec_lo
	v_cmpx_eq_u32_e32 0, v6
	s_cbranch_execz .LBB9_46
; %bb.45:
	v_mov_b32_e32 v1, 0
	s_lshl_b64 s[0:1], s[16:17], 2
	s_wait_alu 0xfffe
	s_add_nc_u64 s[2:3], s[8:9], s[0:1]
	s_add_nc_u64 s[0:1], s[10:11], s[0:1]
	s_clause 0x1
	global_store_b32 v1, v0, s[2:3]
	global_store_b32 v1, v8, s[0:1]
.LBB9_46:
	s_endpgm
	.section	.rodata,"a",@progbits
	.p2align	6, 0x0
	.amdhsa_kernel _ZN2at6native12_GLOBAL__N_128vectorized_layer_norm_kernelIN3c108BFloat16EfLb0EEEviT0_PKT_S8_S8_PS5_S9_PS6_
		.amdhsa_group_segment_fixed_size 0
		.amdhsa_private_segment_fixed_size 0
		.amdhsa_kernarg_size 312
		.amdhsa_user_sgpr_count 2
		.amdhsa_user_sgpr_dispatch_ptr 0
		.amdhsa_user_sgpr_queue_ptr 0
		.amdhsa_user_sgpr_kernarg_segment_ptr 1
		.amdhsa_user_sgpr_dispatch_id 0
		.amdhsa_user_sgpr_private_segment_size 0
		.amdhsa_wavefront_size32 1
		.amdhsa_uses_dynamic_stack 0
		.amdhsa_enable_private_segment 0
		.amdhsa_system_sgpr_workgroup_id_x 1
		.amdhsa_system_sgpr_workgroup_id_y 0
		.amdhsa_system_sgpr_workgroup_id_z 0
		.amdhsa_system_sgpr_workgroup_info 0
		.amdhsa_system_vgpr_workitem_id 1
		.amdhsa_next_free_vgpr 29
		.amdhsa_next_free_sgpr 25
		.amdhsa_reserve_vcc 1
		.amdhsa_float_round_mode_32 0
		.amdhsa_float_round_mode_16_64 0
		.amdhsa_float_denorm_mode_32 3
		.amdhsa_float_denorm_mode_16_64 3
		.amdhsa_fp16_overflow 0
		.amdhsa_workgroup_processor_mode 1
		.amdhsa_memory_ordered 1
		.amdhsa_forward_progress 1
		.amdhsa_inst_pref_size 35
		.amdhsa_round_robin_scheduling 0
		.amdhsa_exception_fp_ieee_invalid_op 0
		.amdhsa_exception_fp_denorm_src 0
		.amdhsa_exception_fp_ieee_div_zero 0
		.amdhsa_exception_fp_ieee_overflow 0
		.amdhsa_exception_fp_ieee_underflow 0
		.amdhsa_exception_fp_ieee_inexact 0
		.amdhsa_exception_int_div_zero 0
	.end_amdhsa_kernel
	.section	.text._ZN2at6native12_GLOBAL__N_128vectorized_layer_norm_kernelIN3c108BFloat16EfLb0EEEviT0_PKT_S8_S8_PS5_S9_PS6_,"axG",@progbits,_ZN2at6native12_GLOBAL__N_128vectorized_layer_norm_kernelIN3c108BFloat16EfLb0EEEviT0_PKT_S8_S8_PS5_S9_PS6_,comdat
.Lfunc_end9:
	.size	_ZN2at6native12_GLOBAL__N_128vectorized_layer_norm_kernelIN3c108BFloat16EfLb0EEEviT0_PKT_S8_S8_PS5_S9_PS6_, .Lfunc_end9-_ZN2at6native12_GLOBAL__N_128vectorized_layer_norm_kernelIN3c108BFloat16EfLb0EEEviT0_PKT_S8_S8_PS5_S9_PS6_
                                        ; -- End function
	.set _ZN2at6native12_GLOBAL__N_128vectorized_layer_norm_kernelIN3c108BFloat16EfLb0EEEviT0_PKT_S8_S8_PS5_S9_PS6_.num_vgpr, 29
	.set _ZN2at6native12_GLOBAL__N_128vectorized_layer_norm_kernelIN3c108BFloat16EfLb0EEEviT0_PKT_S8_S8_PS5_S9_PS6_.num_agpr, 0
	.set _ZN2at6native12_GLOBAL__N_128vectorized_layer_norm_kernelIN3c108BFloat16EfLb0EEEviT0_PKT_S8_S8_PS5_S9_PS6_.numbered_sgpr, 25
	.set _ZN2at6native12_GLOBAL__N_128vectorized_layer_norm_kernelIN3c108BFloat16EfLb0EEEviT0_PKT_S8_S8_PS5_S9_PS6_.num_named_barrier, 0
	.set _ZN2at6native12_GLOBAL__N_128vectorized_layer_norm_kernelIN3c108BFloat16EfLb0EEEviT0_PKT_S8_S8_PS5_S9_PS6_.private_seg_size, 0
	.set _ZN2at6native12_GLOBAL__N_128vectorized_layer_norm_kernelIN3c108BFloat16EfLb0EEEviT0_PKT_S8_S8_PS5_S9_PS6_.uses_vcc, 1
	.set _ZN2at6native12_GLOBAL__N_128vectorized_layer_norm_kernelIN3c108BFloat16EfLb0EEEviT0_PKT_S8_S8_PS5_S9_PS6_.uses_flat_scratch, 0
	.set _ZN2at6native12_GLOBAL__N_128vectorized_layer_norm_kernelIN3c108BFloat16EfLb0EEEviT0_PKT_S8_S8_PS5_S9_PS6_.has_dyn_sized_stack, 0
	.set _ZN2at6native12_GLOBAL__N_128vectorized_layer_norm_kernelIN3c108BFloat16EfLb0EEEviT0_PKT_S8_S8_PS5_S9_PS6_.has_recursion, 0
	.set _ZN2at6native12_GLOBAL__N_128vectorized_layer_norm_kernelIN3c108BFloat16EfLb0EEEviT0_PKT_S8_S8_PS5_S9_PS6_.has_indirect_call, 0
	.section	.AMDGPU.csdata,"",@progbits
; Kernel info:
; codeLenInByte = 4432
; TotalNumSgprs: 27
; NumVgprs: 29
; ScratchSize: 0
; MemoryBound: 0
; FloatMode: 240
; IeeeMode: 1
; LDSByteSize: 0 bytes/workgroup (compile time only)
; SGPRBlocks: 0
; VGPRBlocks: 3
; NumSGPRsForWavesPerEU: 27
; NumVGPRsForWavesPerEU: 29
; Occupancy: 16
; WaveLimiterHint : 0
; COMPUTE_PGM_RSRC2:SCRATCH_EN: 0
; COMPUTE_PGM_RSRC2:USER_SGPR: 2
; COMPUTE_PGM_RSRC2:TRAP_HANDLER: 0
; COMPUTE_PGM_RSRC2:TGID_X_EN: 1
; COMPUTE_PGM_RSRC2:TGID_Y_EN: 0
; COMPUTE_PGM_RSRC2:TGID_Z_EN: 0
; COMPUTE_PGM_RSRC2:TIDIG_COMP_CNT: 1
	.section	.text._ZN2at6native12_GLOBAL__N_124RowwiseMomentsCUDAKernelIN3c108BFloat16EfLb0EEEvlT0_PKT_PS5_S9_,"axG",@progbits,_ZN2at6native12_GLOBAL__N_124RowwiseMomentsCUDAKernelIN3c108BFloat16EfLb0EEEvlT0_PKT_PS5_S9_,comdat
	.globl	_ZN2at6native12_GLOBAL__N_124RowwiseMomentsCUDAKernelIN3c108BFloat16EfLb0EEEvlT0_PKT_PS5_S9_ ; -- Begin function _ZN2at6native12_GLOBAL__N_124RowwiseMomentsCUDAKernelIN3c108BFloat16EfLb0EEEvlT0_PKT_PS5_S9_
	.p2align	8
	.type	_ZN2at6native12_GLOBAL__N_124RowwiseMomentsCUDAKernelIN3c108BFloat16EfLb0EEEvlT0_PKT_PS5_S9_,@function
_ZN2at6native12_GLOBAL__N_124RowwiseMomentsCUDAKernelIN3c108BFloat16EfLb0EEEvlT0_PKT_PS5_S9_: ; @_ZN2at6native12_GLOBAL__N_124RowwiseMomentsCUDAKernelIN3c108BFloat16EfLb0EEEvlT0_PKT_PS5_S9_
; %bb.0:
	s_clause 0x2
	s_load_b64 s[12:13], s[0:1], 0x0
	s_load_b128 s[4:7], s[0:1], 0x10
	s_load_b64 s[8:9], s[0:1], 0x20
	v_dual_mov_b32 v1, 0 :: v_dual_mov_b32 v2, 0
	v_mov_b32_e32 v3, 0
	s_mov_b32 s10, ttmp9
	s_mov_b32 s11, 0
	s_delay_alu instid0(VALU_DEP_2)
	v_dual_mov_b32 v8, v1 :: v_dual_mov_b32 v9, v1
	s_mov_b32 s3, exec_lo
	s_wait_kmcnt 0x0
	v_cmpx_gt_i64_e64 s[12:13], v[0:1]
	s_cbranch_execz .LBB10_4
; %bb.1:
	s_load_b32 s2, s[0:1], 0x34
	s_mul_u64 s[14:15], s[12:13], s[10:11]
	v_dual_mov_b32 v5, v1 :: v_dual_lshlrev_b32 v2, 1, v0
	s_lshl_b64 s[14:15], s[14:15], 1
	v_dual_mov_b32 v8, 0 :: v_dual_mov_b32 v9, 0
	s_add_nc_u64 s[4:5], s[4:5], s[14:15]
	v_mov_b32_e32 v4, v0
	v_add_co_u32 v6, s4, s4, v2
	s_wait_alu 0xf1ff
	v_add_co_ci_u32_e64 v7, null, s5, 0, s4
	s_mov_b64 s[4:5], 0
	s_mov_b32 s15, s11
	s_wait_kmcnt 0x0
	s_and_b32 s14, s2, 0xffff
	s_delay_alu instid0(SALU_CYCLE_1)
	s_lshl_b32 s16, s14, 1
.LBB10_2:                               ; =>This Inner Loop Header: Depth=1
	global_load_u16 v1, v[6:7], off
	s_wait_alu 0xfffe
	s_add_nc_u64 s[4:5], s[4:5], 1
	s_wait_alu 0xfffe
	s_clz_i32_u32 s2, s5
	s_wait_alu 0xfffe
	s_min_u32 s2, s2, 32
	s_wait_alu 0xfffe
	s_lshl_b64 s[18:19], s[4:5], s2
	s_sub_co_i32 s2, 32, s2
	s_min_u32 s17, s18, 1
	s_wait_alu 0xfffe
	s_or_b32 s17, s19, s17
	s_wait_alu 0xfffe
	s_cvt_f32_u32 s17, s17
	s_wait_loadcnt 0x0
	v_lshlrev_b32_e32 v2, 16, v1
	s_wait_alu 0xfffe
	v_ldexp_f32 v1, s17, s2
	s_delay_alu instid0(VALU_DEP_2) | instskip(NEXT) | instid1(VALU_DEP_1)
	v_sub_f32_e32 v10, v2, v9
	v_div_scale_f32 v3, null, v1, v1, v10
	v_div_scale_f32 v13, vcc_lo, v10, v1, v10
	s_delay_alu instid0(VALU_DEP_2) | instskip(NEXT) | instid1(TRANS32_DEP_1)
	v_rcp_f32_e32 v11, v3
	v_fma_f32 v12, -v3, v11, 1.0
	s_delay_alu instid0(VALU_DEP_1) | instskip(NEXT) | instid1(VALU_DEP_1)
	v_fmac_f32_e32 v11, v12, v11
	v_mul_f32_e32 v12, v13, v11
	s_delay_alu instid0(VALU_DEP_1) | instskip(NEXT) | instid1(VALU_DEP_1)
	v_fma_f32 v14, -v3, v12, v13
	v_fmac_f32_e32 v12, v14, v11
	s_delay_alu instid0(VALU_DEP_1) | instskip(SKIP_1) | instid1(VALU_DEP_1)
	v_fma_f32 v3, -v3, v12, v13
	s_wait_alu 0xfffd
	v_div_fmas_f32 v3, v3, v11, v12
	v_add_co_u32 v4, vcc_lo, v4, s14
	s_wait_alu 0xfffd
	v_add_co_ci_u32_e64 v5, null, 0, v5, vcc_lo
	s_delay_alu instid0(VALU_DEP_3) | instskip(SKIP_1) | instid1(VALU_DEP_3)
	v_div_fixup_f32 v3, v3, v1, v10
	v_add_co_u32 v6, vcc_lo, v6, s16
	v_cmp_le_i64_e64 s2, s[12:13], v[4:5]
	s_wait_alu 0xfffd
	v_add_co_ci_u32_e64 v7, null, 0, v7, vcc_lo
	v_add_f32_e32 v9, v9, v3
	s_delay_alu instid0(VALU_DEP_3) | instskip(NEXT) | instid1(VALU_DEP_1)
	s_or_b32 s15, s2, s15
	v_dual_sub_f32 v11, v2, v9 :: v_dual_mov_b32 v2, s4
	s_delay_alu instid0(VALU_DEP_1)
	v_dual_mov_b32 v3, s5 :: v_dual_fmac_f32 v8, v10, v11
	s_wait_alu 0xfffe
	s_and_not1_b32 exec_lo, exec_lo, s15
	s_cbranch_execnz .LBB10_2
; %bb.3:
	s_or_b32 exec_lo, exec_lo, s15
.LBB10_4:
	s_delay_alu instid0(SALU_CYCLE_1) | instskip(SKIP_2) | instid1(VALU_DEP_1)
	s_or_b32 exec_lo, exec_lo, s3
	v_mbcnt_lo_u32_b32 v11, -1, 0
	s_mov_b32 s2, exec_lo
	v_lshl_or_b32 v7, v11, 2, 64
	ds_bpermute_b32 v12, v7, v9
	ds_bpermute_b32 v6, v7, v8
	;; [unrolled: 1-line block ×5, first 2 shown]
	v_cmpx_neq_f32_e32 0, v1
	s_cbranch_execz .LBB10_8
; %bb.5:
	s_mov_b32 s3, exec_lo
	s_wait_dscnt 0x0
	v_cmpx_neq_f32_e32 0, v14
	s_cbranch_execz .LBB10_7
; %bb.6:
	v_add_f32_e32 v4, v1, v14
	v_add_f32_e32 v8, v8, v6
	s_delay_alu instid0(VALU_DEP_2) | instskip(SKIP_1) | instid1(VALU_DEP_2)
	v_div_scale_f32 v2, null, v4, v4, v14
	v_div_scale_f32 v10, vcc_lo, v14, v4, v14
	v_rcp_f32_e32 v3, v2
	s_delay_alu instid0(TRANS32_DEP_1) | instskip(NEXT) | instid1(VALU_DEP_1)
	v_fma_f32 v5, -v2, v3, 1.0
	v_fmac_f32_e32 v3, v5, v3
	s_delay_alu instid0(VALU_DEP_1) | instskip(NEXT) | instid1(VALU_DEP_1)
	v_mul_f32_e32 v5, v10, v3
	v_fma_f32 v13, -v2, v5, v10
	s_delay_alu instid0(VALU_DEP_1) | instskip(NEXT) | instid1(VALU_DEP_1)
	v_fmac_f32_e32 v5, v13, v3
	v_fma_f32 v2, -v2, v5, v10
	v_sub_f32_e32 v10, v12, v9
	s_wait_alu 0xfffd
	s_delay_alu instid0(VALU_DEP_2) | instskip(NEXT) | instid1(VALU_DEP_1)
	v_div_fmas_f32 v2, v2, v3, v5
	v_div_fixup_f32 v5, v2, v4, v14
	s_delay_alu instid0(VALU_DEP_3) | instskip(NEXT) | instid1(VALU_DEP_2)
	v_mul_f32_e32 v3, v10, v10
	v_fmac_f32_e32 v9, v10, v5
	s_delay_alu instid0(VALU_DEP_2) | instskip(NEXT) | instid1(VALU_DEP_1)
	v_dual_mul_f32 v1, v1, v3 :: v_dual_mov_b32 v2, -1
	v_dual_mov_b32 v3, -1 :: v_dual_fmac_f32 v8, v1, v5
	v_mov_b32_e32 v1, v4
.LBB10_7:
	s_wait_alu 0xfffe
	s_or_b32 exec_lo, exec_lo, s3
	s_delay_alu instid0(VALU_DEP_1)
	v_dual_mov_b32 v14, v1 :: v_dual_mov_b32 v5, v3
	v_mov_b32_e32 v4, v2
	v_mov_b32_e32 v6, v8
	;; [unrolled: 1-line block ×3, first 2 shown]
.LBB10_8:
	s_wait_alu 0xfffe
	s_or_b32 exec_lo, exec_lo, s2
	v_cmp_gt_u32_e32 vcc_lo, 24, v11
	s_mov_b32 s2, exec_lo
	s_wait_alu 0xfffd
	v_cndmask_b32_e64 v1, 0, 8, vcc_lo
	s_delay_alu instid0(VALU_DEP_1)
	v_add_lshl_u32 v8, v1, v11, 2
	s_wait_dscnt 0x4
	ds_bpermute_b32 v13, v8, v12
	s_wait_dscnt 0x4
	ds_bpermute_b32 v10, v8, v6
	;; [unrolled: 2-line block ×5, first 2 shown]
	v_cmpx_neq_f32_e32 0, v14
	s_cbranch_execz .LBB10_12
; %bb.9:
	s_mov_b32 s3, exec_lo
	s_wait_dscnt 0x0
	v_cmpx_neq_f32_e32 0, v15
	s_cbranch_execz .LBB10_11
; %bb.10:
	v_add_f32_e32 v1, v14, v15
	v_add_f32_e32 v6, v6, v10
	s_delay_alu instid0(VALU_DEP_2) | instskip(SKIP_1) | instid1(VALU_DEP_2)
	v_div_scale_f32 v2, null, v1, v1, v15
	v_div_scale_f32 v5, vcc_lo, v15, v1, v15
	v_rcp_f32_e32 v3, v2
	s_delay_alu instid0(TRANS32_DEP_1) | instskip(NEXT) | instid1(VALU_DEP_1)
	v_fma_f32 v4, -v2, v3, 1.0
	v_fmac_f32_e32 v3, v4, v3
	s_delay_alu instid0(VALU_DEP_1) | instskip(NEXT) | instid1(VALU_DEP_1)
	v_mul_f32_e32 v4, v5, v3
	v_fma_f32 v9, -v2, v4, v5
	s_delay_alu instid0(VALU_DEP_1) | instskip(NEXT) | instid1(VALU_DEP_1)
	v_fmac_f32_e32 v4, v9, v3
	v_fma_f32 v2, -v2, v4, v5
	s_wait_alu 0xfffd
	s_delay_alu instid0(VALU_DEP_1) | instskip(SKIP_2) | instid1(VALU_DEP_3)
	v_div_fmas_f32 v2, v2, v3, v4
	v_mov_b32_e32 v4, -1
	v_mov_b32_e32 v5, -1
	v_div_fixup_f32 v2, v2, v1, v15
	v_sub_f32_e32 v9, v13, v12
	s_delay_alu instid0(VALU_DEP_1) | instskip(NEXT) | instid1(VALU_DEP_1)
	v_mul_f32_e32 v3, v9, v9
	v_dual_mul_f32 v3, v14, v3 :: v_dual_mov_b32 v14, v1
	s_delay_alu instid0(VALU_DEP_1)
	v_fmac_f32_e32 v6, v3, v2
	v_fmac_f32_e32 v12, v9, v2
.LBB10_11:
	s_wait_alu 0xfffe
	s_or_b32 exec_lo, exec_lo, s3
	s_delay_alu instid0(VALU_DEP_2)
	v_dual_mov_b32 v1, v4 :: v_dual_mov_b32 v10, v6
	v_dual_mov_b32 v15, v14 :: v_dual_mov_b32 v2, v5
	v_mov_b32_e32 v13, v12
.LBB10_12:
	s_wait_alu 0xfffe
	s_or_b32 exec_lo, exec_lo, s2
	v_cmp_gt_u32_e32 vcc_lo, 28, v11
	s_mov_b32 s2, exec_lo
	s_wait_alu 0xfffd
	v_cndmask_b32_e64 v3, 0, 4, vcc_lo
	s_delay_alu instid0(VALU_DEP_1)
	v_add_lshl_u32 v9, v3, v11, 2
	s_wait_dscnt 0x4
	ds_bpermute_b32 v14, v9, v13
	s_wait_dscnt 0x4
	ds_bpermute_b32 v12, v9, v10
	;; [unrolled: 2-line block ×5, first 2 shown]
	v_cmpx_neq_f32_e32 0, v15
	s_cbranch_execz .LBB10_16
; %bb.13:
	s_mov_b32 s3, exec_lo
	s_wait_dscnt 0x0
	v_cmpx_neq_f32_e32 0, v16
	s_cbranch_execz .LBB10_15
; %bb.14:
	v_add_f32_e32 v3, v15, v16
	v_add_f32_e32 v10, v10, v12
	s_delay_alu instid0(VALU_DEP_2) | instskip(NEXT) | instid1(VALU_DEP_1)
	v_div_scale_f32 v1, null, v3, v3, v16
	v_rcp_f32_e32 v2, v1
	s_delay_alu instid0(TRANS32_DEP_1) | instskip(NEXT) | instid1(VALU_DEP_1)
	v_fma_f32 v4, -v1, v2, 1.0
	v_fmac_f32_e32 v2, v4, v2
	v_div_scale_f32 v5, vcc_lo, v16, v3, v16
	s_delay_alu instid0(VALU_DEP_1) | instskip(NEXT) | instid1(VALU_DEP_1)
	v_mul_f32_e32 v4, v5, v2
	v_fma_f32 v6, -v1, v4, v5
	s_delay_alu instid0(VALU_DEP_1) | instskip(NEXT) | instid1(VALU_DEP_1)
	v_fmac_f32_e32 v4, v6, v2
	v_fma_f32 v1, -v1, v4, v5
	v_sub_f32_e32 v5, v14, v13
	s_wait_alu 0xfffd
	s_delay_alu instid0(VALU_DEP_2) | instskip(NEXT) | instid1(VALU_DEP_2)
	v_div_fmas_f32 v1, v1, v2, v4
	v_mul_f32_e32 v2, v5, v5
	s_delay_alu instid0(VALU_DEP_2) | instskip(NEXT) | instid1(VALU_DEP_2)
	v_div_fixup_f32 v4, v1, v3, v16
	v_dual_mul_f32 v6, v15, v2 :: v_dual_mov_b32 v1, -1
	v_dual_mov_b32 v2, -1 :: v_dual_mov_b32 v15, v3
	s_delay_alu instid0(VALU_DEP_3) | instskip(NEXT) | instid1(VALU_DEP_3)
	v_fmac_f32_e32 v13, v5, v4
	v_fmac_f32_e32 v10, v6, v4
.LBB10_15:
	s_wait_alu 0xfffe
	s_or_b32 exec_lo, exec_lo, s3
	v_mov_b32_e32 v4, v2
	v_dual_mov_b32 v16, v15 :: v_dual_mov_b32 v3, v1
	v_mov_b32_e32 v12, v10
	v_mov_b32_e32 v14, v13
.LBB10_16:
	s_wait_alu 0xfffe
	s_or_b32 exec_lo, exec_lo, s2
	v_cmp_gt_u32_e32 vcc_lo, 30, v11
	s_mov_b32 s2, exec_lo
	s_wait_alu 0xfffd
	v_cndmask_b32_e64 v1, 0, 2, vcc_lo
	s_delay_alu instid0(VALU_DEP_1)
	v_add_lshl_u32 v10, v1, v11, 2
	s_wait_dscnt 0x4
	ds_bpermute_b32 v15, v10, v14
	s_wait_dscnt 0x4
	ds_bpermute_b32 v13, v10, v12
	;; [unrolled: 2-line block ×5, first 2 shown]
	v_cmpx_neq_f32_e32 0, v16
	s_cbranch_execz .LBB10_20
; %bb.17:
	s_mov_b32 s3, exec_lo
	s_wait_dscnt 0x0
	v_cmpx_neq_f32_e32 0, v17
	s_cbranch_execz .LBB10_19
; %bb.18:
	v_add_f32_e32 v1, v16, v17
	v_add_f32_e32 v12, v12, v13
	s_delay_alu instid0(VALU_DEP_2) | instskip(SKIP_1) | instid1(VALU_DEP_2)
	v_div_scale_f32 v2, null, v1, v1, v17
	v_div_scale_f32 v5, vcc_lo, v17, v1, v17
	v_rcp_f32_e32 v3, v2
	s_delay_alu instid0(TRANS32_DEP_1) | instskip(NEXT) | instid1(VALU_DEP_1)
	v_fma_f32 v4, -v2, v3, 1.0
	v_fmac_f32_e32 v3, v4, v3
	s_delay_alu instid0(VALU_DEP_1) | instskip(NEXT) | instid1(VALU_DEP_1)
	v_mul_f32_e32 v4, v5, v3
	v_fma_f32 v6, -v2, v4, v5
	s_delay_alu instid0(VALU_DEP_1) | instskip(NEXT) | instid1(VALU_DEP_1)
	v_fmac_f32_e32 v4, v6, v3
	v_fma_f32 v2, -v2, v4, v5
	v_sub_f32_e32 v5, v15, v14
	s_wait_alu 0xfffd
	s_delay_alu instid0(VALU_DEP_2) | instskip(NEXT) | instid1(VALU_DEP_1)
	v_div_fmas_f32 v2, v2, v3, v4
	v_div_fixup_f32 v2, v2, v1, v17
	s_delay_alu instid0(VALU_DEP_3) | instskip(NEXT) | instid1(VALU_DEP_2)
	v_mul_f32_e32 v3, v5, v5
	v_fmac_f32_e32 v14, v5, v2
	s_delay_alu instid0(VALU_DEP_2) | instskip(SKIP_2) | instid1(VALU_DEP_3)
	v_dual_mul_f32 v6, v16, v3 :: v_dual_mov_b32 v3, -1
	v_mov_b32_e32 v4, -1
	v_mov_b32_e32 v16, v1
	v_fmac_f32_e32 v12, v6, v2
.LBB10_19:
	s_wait_alu 0xfffe
	s_or_b32 exec_lo, exec_lo, s3
	s_delay_alu instid0(VALU_DEP_2)
	v_dual_mov_b32 v17, v16 :: v_dual_mov_b32 v6, v4
	v_mov_b32_e32 v5, v3
	v_mov_b32_e32 v13, v12
	;; [unrolled: 1-line block ×3, first 2 shown]
.LBB10_20:
	s_wait_alu 0xfffe
	s_or_b32 exec_lo, exec_lo, s2
	v_cmp_ne_u32_e32 vcc_lo, 31, v11
	s_mov_b32 s2, exec_lo
	s_wait_alu 0xfffd
	v_add_co_ci_u32_e64 v1, null, 0, v11, vcc_lo
	s_delay_alu instid0(VALU_DEP_1)
	v_lshlrev_b32_e32 v11, 2, v1
	s_wait_dscnt 0x4
	ds_bpermute_b32 v1, v11, v15
	s_wait_dscnt 0x4
	ds_bpermute_b32 v2, v11, v13
	;; [unrolled: 2-line block ×5, first 2 shown]
	v_cmpx_neq_f32_e32 0, v17
	s_cbranch_execz .LBB10_24
; %bb.21:
	s_mov_b32 s3, exec_lo
	s_wait_dscnt 0x0
	v_cmpx_neq_f32_e32 0, v12
	s_cbranch_execz .LBB10_23
; %bb.22:
	v_add_f32_e32 v3, v17, v12
	v_add_f32_e32 v13, v13, v2
	v_sub_f32_e32 v1, v1, v15
	s_delay_alu instid0(VALU_DEP_3) | instskip(SKIP_1) | instid1(VALU_DEP_2)
	v_div_scale_f32 v4, null, v3, v3, v12
	v_div_scale_f32 v14, vcc_lo, v12, v3, v12
	v_rcp_f32_e32 v5, v4
	s_delay_alu instid0(TRANS32_DEP_1) | instskip(NEXT) | instid1(VALU_DEP_1)
	v_fma_f32 v6, -v4, v5, 1.0
	v_fmac_f32_e32 v5, v6, v5
	s_delay_alu instid0(VALU_DEP_1) | instskip(NEXT) | instid1(VALU_DEP_1)
	v_mul_f32_e32 v6, v14, v5
	v_fma_f32 v16, -v4, v6, v14
	s_delay_alu instid0(VALU_DEP_1) | instskip(NEXT) | instid1(VALU_DEP_1)
	v_fmac_f32_e32 v6, v16, v5
	v_fma_f32 v4, -v4, v6, v14
	s_wait_alu 0xfffd
	s_delay_alu instid0(VALU_DEP_1) | instskip(SKIP_1) | instid1(VALU_DEP_2)
	v_div_fmas_f32 v4, v4, v5, v6
	v_mul_f32_e32 v5, v1, v1
	v_div_fixup_f32 v2, v4, v3, v12
	s_delay_alu instid0(VALU_DEP_2) | instskip(SKIP_1) | instid1(VALU_DEP_3)
	v_dual_mul_f32 v4, v17, v5 :: v_dual_mov_b32 v5, -1
	v_dual_mov_b32 v6, -1 :: v_dual_mov_b32 v17, v3
	v_fmac_f32_e32 v15, v1, v2
	s_delay_alu instid0(VALU_DEP_3)
	v_fmac_f32_e32 v13, v4, v2
.LBB10_23:
	s_wait_alu 0xfffe
	s_or_b32 exec_lo, exec_lo, s3
	v_dual_mov_b32 v12, v17 :: v_dual_mov_b32 v3, v5
	v_dual_mov_b32 v4, v6 :: v_dual_mov_b32 v1, v15
	v_mov_b32_e32 v2, v13
.LBB10_24:
	s_wait_alu 0xfffe
	s_or_b32 exec_lo, exec_lo, s2
	v_and_b32_e32 v5, 31, v0
	s_mov_b32 s2, exec_lo
	s_wait_dscnt 0x0
	s_barrier_signal -1
	s_barrier_wait -1
	global_inv scope:SCOPE_SE
	v_cmpx_eq_u32_e32 0, v5
	s_cbranch_execz .LBB10_26
; %bb.25:
	v_lshrrev_b32_e32 v6, 5, v0
	s_delay_alu instid0(VALU_DEP_1)
	v_mul_u32_u24_e32 v6, 24, v6
	ds_store_2addr_b64 v6, v[1:2], v[3:4] offset1:1
	ds_store_b32 v6, v12 offset:16
.LBB10_26:
	s_wait_alu 0xfffe
	s_or_b32 exec_lo, exec_lo, s2
	s_wait_loadcnt_dscnt 0x0
	s_barrier_signal -1
	s_barrier_wait -1
	global_inv scope:SCOPE_SE
	s_load_b32 s2, s[0:1], 0x34
	v_mul_u32_u24_e32 v4, 24, v5
	v_dual_mov_b32 v2, 0 :: v_dual_mov_b32 v1, 0
	s_wait_kmcnt 0x0
	s_bfe_u32 s2, s2, 0xb0005
	s_wait_alu 0xfffe
	v_cmp_gt_u32_e32 vcc_lo, s2, v0
	s_and_saveexec_b32 s2, vcc_lo
	s_cbranch_execnz .LBB10_55
; %bb.27:
	s_wait_alu 0xfffe
	s_or_b32 exec_lo, exec_lo, s2
	s_and_saveexec_b32 s2, vcc_lo
	s_cbranch_execnz .LBB10_56
.LBB10_28:
	s_wait_alu 0xfffe
	s_or_b32 exec_lo, exec_lo, s2
	v_mov_b32_e32 v3, 0
	s_and_saveexec_b32 s2, vcc_lo
.LBB10_29:
	ds_load_b32 v3, v4 offset:16
.LBB10_30:
	s_wait_alu 0xfffe
	s_or_b32 exec_lo, exec_lo, s2
	s_delay_alu instid0(SALU_CYCLE_1)
	s_mov_b32 s2, exec_lo
	v_cmpx_gt_u32_e32 32, v0
	s_cbranch_execz .LBB10_52
; %bb.31:
	s_wait_dscnt 0x0
	ds_bpermute_b32 v6, v7, v1
	ds_bpermute_b32 v4, v7, v2
	;; [unrolled: 1-line block ×3, first 2 shown]
	s_mov_b32 s3, exec_lo
	v_cmpx_neq_f32_e32 0, v3
	s_cbranch_execz .LBB10_35
; %bb.32:
	s_mov_b32 s4, exec_lo
	s_wait_dscnt 0x0
	v_cmpx_neq_f32_e32 0, v5
	s_cbranch_execz .LBB10_34
; %bb.33:
	v_dual_add_f32 v7, v3, v5 :: v_dual_add_f32 v2, v2, v4
	v_sub_f32_e32 v6, v6, v1
	s_delay_alu instid0(VALU_DEP_2) | instskip(SKIP_1) | instid1(VALU_DEP_2)
	v_div_scale_f32 v12, null, v7, v7, v5
	v_div_scale_f32 v15, vcc_lo, v5, v7, v5
	v_rcp_f32_e32 v13, v12
	s_delay_alu instid0(TRANS32_DEP_1) | instskip(NEXT) | instid1(VALU_DEP_1)
	v_fma_f32 v14, -v12, v13, 1.0
	v_fmac_f32_e32 v13, v14, v13
	s_delay_alu instid0(VALU_DEP_1) | instskip(NEXT) | instid1(VALU_DEP_1)
	v_mul_f32_e32 v14, v15, v13
	v_fma_f32 v16, -v12, v14, v15
	s_delay_alu instid0(VALU_DEP_1) | instskip(NEXT) | instid1(VALU_DEP_1)
	v_fmac_f32_e32 v14, v16, v13
	v_fma_f32 v12, -v12, v14, v15
	s_wait_alu 0xfffd
	s_delay_alu instid0(VALU_DEP_1) | instskip(SKIP_1) | instid1(VALU_DEP_2)
	v_div_fmas_f32 v12, v12, v13, v14
	v_mul_f32_e32 v13, v6, v6
	v_div_fixup_f32 v4, v12, v7, v5
	s_delay_alu instid0(VALU_DEP_2) | instskip(NEXT) | instid1(VALU_DEP_1)
	v_mul_f32_e32 v3, v3, v13
	v_fmac_f32_e32 v2, v3, v4
	v_mov_b32_e32 v3, v7
	v_fmac_f32_e32 v1, v6, v4
.LBB10_34:
	s_wait_alu 0xfffe
	s_or_b32 exec_lo, exec_lo, s4
	s_delay_alu instid0(VALU_DEP_2) | instskip(NEXT) | instid1(VALU_DEP_2)
	v_dual_mov_b32 v5, v3 :: v_dual_mov_b32 v4, v2
	v_mov_b32_e32 v6, v1
.LBB10_35:
	s_wait_alu 0xfffe
	s_or_b32 exec_lo, exec_lo, s3
	s_wait_dscnt 0x2
	ds_bpermute_b32 v7, v8, v6
	s_wait_dscnt 0x2
	ds_bpermute_b32 v1, v8, v4
	;; [unrolled: 2-line block ×3, first 2 shown]
	s_mov_b32 s3, exec_lo
	v_cmpx_neq_f32_e32 0, v5
	s_cbranch_execz .LBB10_39
; %bb.36:
	s_mov_b32 s4, exec_lo
	s_wait_dscnt 0x0
	v_cmpx_neq_f32_e32 0, v3
	s_cbranch_execz .LBB10_38
; %bb.37:
	v_dual_add_f32 v2, v5, v3 :: v_dual_sub_f32 v7, v7, v6
	v_add_f32_e32 v4, v4, v1
	s_delay_alu instid0(VALU_DEP_2) | instskip(SKIP_1) | instid1(VALU_DEP_2)
	v_div_scale_f32 v8, null, v2, v2, v3
	v_div_scale_f32 v14, vcc_lo, v3, v2, v3
	v_rcp_f32_e32 v12, v8
	s_delay_alu instid0(TRANS32_DEP_1) | instskip(NEXT) | instid1(VALU_DEP_1)
	v_fma_f32 v13, -v8, v12, 1.0
	v_fmac_f32_e32 v12, v13, v12
	s_delay_alu instid0(VALU_DEP_1) | instskip(NEXT) | instid1(VALU_DEP_1)
	v_mul_f32_e32 v13, v14, v12
	v_fma_f32 v15, -v8, v13, v14
	s_delay_alu instid0(VALU_DEP_1) | instskip(NEXT) | instid1(VALU_DEP_1)
	v_fmac_f32_e32 v13, v15, v12
	v_fma_f32 v8, -v8, v13, v14
	s_wait_alu 0xfffd
	s_delay_alu instid0(VALU_DEP_1) | instskip(SKIP_1) | instid1(VALU_DEP_2)
	v_div_fmas_f32 v8, v8, v12, v13
	v_mul_f32_e32 v12, v7, v7
	v_div_fixup_f32 v1, v8, v2, v3
	s_delay_alu instid0(VALU_DEP_2) | instskip(NEXT) | instid1(VALU_DEP_2)
	v_mul_f32_e32 v3, v5, v12
	v_dual_mov_b32 v5, v2 :: v_dual_fmac_f32 v6, v7, v1
	s_delay_alu instid0(VALU_DEP_2)
	v_fmac_f32_e32 v4, v3, v1
.LBB10_38:
	s_wait_alu 0xfffe
	s_or_b32 exec_lo, exec_lo, s4
	s_delay_alu instid0(VALU_DEP_2) | instskip(NEXT) | instid1(VALU_DEP_2)
	v_mov_b32_e32 v3, v5
	v_mov_b32_e32 v1, v4
	;; [unrolled: 1-line block ×3, first 2 shown]
.LBB10_39:
	s_wait_alu 0xfffe
	s_or_b32 exec_lo, exec_lo, s3
	s_wait_dscnt 0x2
	ds_bpermute_b32 v8, v9, v7
	s_wait_dscnt 0x2
	ds_bpermute_b32 v2, v9, v1
	;; [unrolled: 2-line block ×3, first 2 shown]
	s_mov_b32 s3, exec_lo
	v_cmpx_neq_f32_e32 0, v3
	s_cbranch_execz .LBB10_43
; %bb.40:
	s_mov_b32 s4, exec_lo
	s_wait_dscnt 0x0
	v_cmpx_neq_f32_e32 0, v6
	s_cbranch_execz .LBB10_42
; %bb.41:
	v_add_f32_e32 v4, v3, v6
	v_dual_sub_f32 v8, v8, v7 :: v_dual_add_f32 v1, v1, v2
	s_delay_alu instid0(VALU_DEP_2) | instskip(NEXT) | instid1(VALU_DEP_1)
	v_div_scale_f32 v5, null, v4, v4, v6
	v_rcp_f32_e32 v9, v5
	s_delay_alu instid0(TRANS32_DEP_1) | instskip(NEXT) | instid1(VALU_DEP_1)
	v_fma_f32 v12, -v5, v9, 1.0
	v_fmac_f32_e32 v9, v12, v9
	v_div_scale_f32 v13, vcc_lo, v6, v4, v6
	s_delay_alu instid0(VALU_DEP_1) | instskip(NEXT) | instid1(VALU_DEP_1)
	v_mul_f32_e32 v12, v13, v9
	v_fma_f32 v14, -v5, v12, v13
	s_delay_alu instid0(VALU_DEP_1) | instskip(NEXT) | instid1(VALU_DEP_1)
	v_fmac_f32_e32 v12, v14, v9
	v_fma_f32 v5, -v5, v12, v13
	s_wait_alu 0xfffd
	s_delay_alu instid0(VALU_DEP_1) | instskip(SKIP_1) | instid1(VALU_DEP_2)
	v_div_fmas_f32 v5, v5, v9, v12
	v_mul_f32_e32 v9, v8, v8
	v_div_fixup_f32 v2, v5, v4, v6
	s_delay_alu instid0(VALU_DEP_2) | instskip(NEXT) | instid1(VALU_DEP_2)
	v_mul_f32_e32 v3, v3, v9
	v_fmac_f32_e32 v7, v8, v2
	s_delay_alu instid0(VALU_DEP_2)
	v_fmac_f32_e32 v1, v3, v2
	v_mov_b32_e32 v3, v4
.LBB10_42:
	s_wait_alu 0xfffe
	s_or_b32 exec_lo, exec_lo, s4
	s_delay_alu instid0(VALU_DEP_1)
	v_mov_b32_e32 v6, v3
	v_mov_b32_e32 v2, v1
	v_mov_b32_e32 v8, v7
.LBB10_43:
	s_wait_alu 0xfffe
	s_or_b32 exec_lo, exec_lo, s3
	s_wait_dscnt 0x2
	ds_bpermute_b32 v7, v10, v8
	s_wait_dscnt 0x2
	ds_bpermute_b32 v4, v10, v2
	;; [unrolled: 2-line block ×3, first 2 shown]
	s_mov_b32 s3, exec_lo
	v_cmpx_neq_f32_e32 0, v6
	s_cbranch_execz .LBB10_47
; %bb.44:
	s_mov_b32 s4, exec_lo
	s_wait_dscnt 0x0
	v_cmpx_neq_f32_e32 0, v5
	s_cbranch_execz .LBB10_46
; %bb.45:
	v_sub_f32_e32 v7, v7, v8
	v_add_f32_e32 v1, v6, v5
	v_add_f32_e32 v2, v2, v4
	s_delay_alu instid0(VALU_DEP_2) | instskip(SKIP_1) | instid1(VALU_DEP_2)
	v_div_scale_f32 v3, null, v1, v1, v5
	v_div_scale_f32 v12, vcc_lo, v5, v1, v5
	v_rcp_f32_e32 v9, v3
	s_delay_alu instid0(TRANS32_DEP_1) | instskip(NEXT) | instid1(VALU_DEP_1)
	v_fma_f32 v10, -v3, v9, 1.0
	v_fmac_f32_e32 v9, v10, v9
	s_delay_alu instid0(VALU_DEP_1) | instskip(NEXT) | instid1(VALU_DEP_1)
	v_mul_f32_e32 v10, v12, v9
	v_fma_f32 v13, -v3, v10, v12
	s_delay_alu instid0(VALU_DEP_1) | instskip(NEXT) | instid1(VALU_DEP_1)
	v_fmac_f32_e32 v10, v13, v9
	v_fma_f32 v3, -v3, v10, v12
	s_wait_alu 0xfffd
	s_delay_alu instid0(VALU_DEP_1) | instskip(SKIP_1) | instid1(VALU_DEP_2)
	v_div_fmas_f32 v3, v3, v9, v10
	v_mul_f32_e32 v9, v7, v7
	v_div_fixup_f32 v3, v3, v1, v5
	s_delay_alu instid0(VALU_DEP_2) | instskip(NEXT) | instid1(VALU_DEP_2)
	v_mul_f32_e32 v4, v6, v9
	v_fmac_f32_e32 v8, v7, v3
	s_delay_alu instid0(VALU_DEP_2)
	v_fmac_f32_e32 v2, v4, v3
	v_mov_b32_e32 v6, v1
.LBB10_46:
	s_wait_alu 0xfffe
	s_or_b32 exec_lo, exec_lo, s4
	s_delay_alu instid0(VALU_DEP_1)
	v_dual_mov_b32 v5, v6 :: v_dual_mov_b32 v4, v2
	v_mov_b32_e32 v7, v8
.LBB10_47:
	s_wait_alu 0xfffe
	s_or_b32 exec_lo, exec_lo, s3
	s_wait_dscnt 0x2
	ds_bpermute_b32 v1, v11, v7
	s_wait_dscnt 0x2
	ds_bpermute_b32 v2, v11, v4
	;; [unrolled: 2-line block ×3, first 2 shown]
	s_mov_b32 s3, exec_lo
	v_cmpx_neq_f32_e32 0, v5
	s_cbranch_execz .LBB10_51
; %bb.48:
	s_mov_b32 s4, exec_lo
	s_wait_dscnt 0x0
	v_cmpx_neq_f32_e32 0, v3
	s_cbranch_execz .LBB10_50
; %bb.49:
	v_add_f32_e32 v6, v5, v3
	v_dual_sub_f32 v1, v1, v7 :: v_dual_add_f32 v4, v4, v2
	s_delay_alu instid0(VALU_DEP_2) | instskip(NEXT) | instid1(VALU_DEP_1)
	v_div_scale_f32 v8, null, v6, v6, v3
	v_rcp_f32_e32 v9, v8
	s_delay_alu instid0(TRANS32_DEP_1) | instskip(NEXT) | instid1(VALU_DEP_1)
	v_fma_f32 v10, -v8, v9, 1.0
	v_fmac_f32_e32 v9, v10, v9
	v_div_scale_f32 v11, vcc_lo, v3, v6, v3
	s_delay_alu instid0(VALU_DEP_1) | instskip(NEXT) | instid1(VALU_DEP_1)
	v_mul_f32_e32 v10, v11, v9
	v_fma_f32 v12, -v8, v10, v11
	s_delay_alu instid0(VALU_DEP_1) | instskip(NEXT) | instid1(VALU_DEP_1)
	v_fmac_f32_e32 v10, v12, v9
	v_fma_f32 v8, -v8, v10, v11
	s_wait_alu 0xfffd
	s_delay_alu instid0(VALU_DEP_1) | instskip(SKIP_1) | instid1(VALU_DEP_2)
	v_div_fmas_f32 v8, v8, v9, v10
	v_mul_f32_e32 v9, v1, v1
	v_div_fixup_f32 v2, v8, v6, v3
	s_delay_alu instid0(VALU_DEP_2) | instskip(SKIP_1) | instid1(VALU_DEP_3)
	v_mul_f32_e32 v3, v5, v9
	v_mov_b32_e32 v5, v6
	v_fmac_f32_e32 v7, v1, v2
	s_delay_alu instid0(VALU_DEP_3)
	v_fmac_f32_e32 v4, v3, v2
.LBB10_50:
	s_wait_alu 0xfffe
	s_or_b32 exec_lo, exec_lo, s4
	s_delay_alu instid0(VALU_DEP_1)
	v_dual_mov_b32 v3, v5 :: v_dual_mov_b32 v2, v4
	v_mov_b32_e32 v1, v7
.LBB10_51:
	s_wait_alu 0xfffe
	s_or_b32 exec_lo, exec_lo, s3
.LBB10_52:
	s_wait_alu 0xfffe
	s_or_b32 exec_lo, exec_lo, s2
	s_delay_alu instid0(SALU_CYCLE_1)
	s_mov_b32 s2, exec_lo
	v_cmpx_eq_u32_e32 0, v0
	s_cbranch_execz .LBB10_54
; %bb.53:
	s_wait_dscnt 0x0
	v_max_num_f32_e32 v0, v3, v3
	s_load_b32 s0, s[0:1], 0x8
	s_delay_alu instid0(VALU_DEP_1) | instskip(NEXT) | instid1(VALU_DEP_1)
	v_max_num_f32_e32 v0, 0, v0
	v_div_scale_f32 v3, null, v0, v0, v2
	s_delay_alu instid0(VALU_DEP_1) | instskip(NEXT) | instid1(TRANS32_DEP_1)
	v_rcp_f32_e32 v4, v3
	v_fma_f32 v5, -v3, v4, 1.0
	s_delay_alu instid0(VALU_DEP_1) | instskip(SKIP_1) | instid1(VALU_DEP_1)
	v_fmac_f32_e32 v4, v5, v4
	v_div_scale_f32 v5, vcc_lo, v2, v0, v2
	v_mul_f32_e32 v6, v5, v4
	s_delay_alu instid0(VALU_DEP_1) | instskip(NEXT) | instid1(VALU_DEP_1)
	v_fma_f32 v7, -v3, v6, v5
	v_fmac_f32_e32 v6, v7, v4
	s_delay_alu instid0(VALU_DEP_1) | instskip(SKIP_1) | instid1(VALU_DEP_1)
	v_fma_f32 v3, -v3, v6, v5
	s_wait_alu 0xfffd
	v_div_fmas_f32 v3, v3, v4, v6
	s_delay_alu instid0(VALU_DEP_1) | instskip(SKIP_1) | instid1(VALU_DEP_1)
	v_div_fixup_f32 v0, v3, v0, v2
	s_wait_kmcnt 0x0
	v_dual_mov_b32 v3, 0 :: v_dual_add_f32 v0, s0, v0
	s_lshl_b64 s[0:1], s[10:11], 2
	s_wait_alu 0xfffe
	s_add_nc_u64 s[2:3], s[6:7], s[0:1]
	s_add_nc_u64 s[0:1], s[8:9], s[0:1]
	v_mul_f32_e32 v2, 0x4b800000, v0
	v_cmp_gt_f32_e32 vcc_lo, 0x800000, v0
	s_wait_alu 0xfffd
	s_delay_alu instid0(VALU_DEP_2) | instskip(NEXT) | instid1(VALU_DEP_1)
	v_cndmask_b32_e32 v0, v0, v2, vcc_lo
	v_rsq_f32_e32 v0, v0
	s_delay_alu instid0(TRANS32_DEP_1) | instskip(NEXT) | instid1(VALU_DEP_1)
	v_mul_f32_e32 v2, 0x45800000, v0
	v_cndmask_b32_e32 v0, v0, v2, vcc_lo
	s_clause 0x1
	global_store_b32 v3, v1, s[2:3]
	global_store_b32 v3, v0, s[0:1]
.LBB10_54:
	s_endpgm
.LBB10_55:
	ds_load_b32 v1, v4
	s_wait_alu 0xfffe
	s_or_b32 exec_lo, exec_lo, s2
	s_and_saveexec_b32 s2, vcc_lo
	s_cbranch_execz .LBB10_28
.LBB10_56:
	ds_load_b32 v2, v4 offset:4
	s_wait_alu 0xfffe
	s_or_b32 exec_lo, exec_lo, s2
	v_mov_b32_e32 v3, 0
	s_and_saveexec_b32 s2, vcc_lo
	s_cbranch_execnz .LBB10_29
	s_branch .LBB10_30
	.section	.rodata,"a",@progbits
	.p2align	6, 0x0
	.amdhsa_kernel _ZN2at6native12_GLOBAL__N_124RowwiseMomentsCUDAKernelIN3c108BFloat16EfLb0EEEvlT0_PKT_PS5_S9_
		.amdhsa_group_segment_fixed_size 768
		.amdhsa_private_segment_fixed_size 0
		.amdhsa_kernarg_size 296
		.amdhsa_user_sgpr_count 2
		.amdhsa_user_sgpr_dispatch_ptr 0
		.amdhsa_user_sgpr_queue_ptr 0
		.amdhsa_user_sgpr_kernarg_segment_ptr 1
		.amdhsa_user_sgpr_dispatch_id 0
		.amdhsa_user_sgpr_private_segment_size 0
		.amdhsa_wavefront_size32 1
		.amdhsa_uses_dynamic_stack 0
		.amdhsa_enable_private_segment 0
		.amdhsa_system_sgpr_workgroup_id_x 1
		.amdhsa_system_sgpr_workgroup_id_y 0
		.amdhsa_system_sgpr_workgroup_id_z 0
		.amdhsa_system_sgpr_workgroup_info 0
		.amdhsa_system_vgpr_workitem_id 0
		.amdhsa_next_free_vgpr 18
		.amdhsa_next_free_sgpr 20
		.amdhsa_reserve_vcc 1
		.amdhsa_float_round_mode_32 0
		.amdhsa_float_round_mode_16_64 0
		.amdhsa_float_denorm_mode_32 3
		.amdhsa_float_denorm_mode_16_64 3
		.amdhsa_fp16_overflow 0
		.amdhsa_workgroup_processor_mode 1
		.amdhsa_memory_ordered 1
		.amdhsa_forward_progress 1
		.amdhsa_inst_pref_size 29
		.amdhsa_round_robin_scheduling 0
		.amdhsa_exception_fp_ieee_invalid_op 0
		.amdhsa_exception_fp_denorm_src 0
		.amdhsa_exception_fp_ieee_div_zero 0
		.amdhsa_exception_fp_ieee_overflow 0
		.amdhsa_exception_fp_ieee_underflow 0
		.amdhsa_exception_fp_ieee_inexact 0
		.amdhsa_exception_int_div_zero 0
	.end_amdhsa_kernel
	.section	.text._ZN2at6native12_GLOBAL__N_124RowwiseMomentsCUDAKernelIN3c108BFloat16EfLb0EEEvlT0_PKT_PS5_S9_,"axG",@progbits,_ZN2at6native12_GLOBAL__N_124RowwiseMomentsCUDAKernelIN3c108BFloat16EfLb0EEEvlT0_PKT_PS5_S9_,comdat
.Lfunc_end10:
	.size	_ZN2at6native12_GLOBAL__N_124RowwiseMomentsCUDAKernelIN3c108BFloat16EfLb0EEEvlT0_PKT_PS5_S9_, .Lfunc_end10-_ZN2at6native12_GLOBAL__N_124RowwiseMomentsCUDAKernelIN3c108BFloat16EfLb0EEEvlT0_PKT_PS5_S9_
                                        ; -- End function
	.set _ZN2at6native12_GLOBAL__N_124RowwiseMomentsCUDAKernelIN3c108BFloat16EfLb0EEEvlT0_PKT_PS5_S9_.num_vgpr, 18
	.set _ZN2at6native12_GLOBAL__N_124RowwiseMomentsCUDAKernelIN3c108BFloat16EfLb0EEEvlT0_PKT_PS5_S9_.num_agpr, 0
	.set _ZN2at6native12_GLOBAL__N_124RowwiseMomentsCUDAKernelIN3c108BFloat16EfLb0EEEvlT0_PKT_PS5_S9_.numbered_sgpr, 20
	.set _ZN2at6native12_GLOBAL__N_124RowwiseMomentsCUDAKernelIN3c108BFloat16EfLb0EEEvlT0_PKT_PS5_S9_.num_named_barrier, 0
	.set _ZN2at6native12_GLOBAL__N_124RowwiseMomentsCUDAKernelIN3c108BFloat16EfLb0EEEvlT0_PKT_PS5_S9_.private_seg_size, 0
	.set _ZN2at6native12_GLOBAL__N_124RowwiseMomentsCUDAKernelIN3c108BFloat16EfLb0EEEvlT0_PKT_PS5_S9_.uses_vcc, 1
	.set _ZN2at6native12_GLOBAL__N_124RowwiseMomentsCUDAKernelIN3c108BFloat16EfLb0EEEvlT0_PKT_PS5_S9_.uses_flat_scratch, 0
	.set _ZN2at6native12_GLOBAL__N_124RowwiseMomentsCUDAKernelIN3c108BFloat16EfLb0EEEvlT0_PKT_PS5_S9_.has_dyn_sized_stack, 0
	.set _ZN2at6native12_GLOBAL__N_124RowwiseMomentsCUDAKernelIN3c108BFloat16EfLb0EEEvlT0_PKT_PS5_S9_.has_recursion, 0
	.set _ZN2at6native12_GLOBAL__N_124RowwiseMomentsCUDAKernelIN3c108BFloat16EfLb0EEEvlT0_PKT_PS5_S9_.has_indirect_call, 0
	.section	.AMDGPU.csdata,"",@progbits
; Kernel info:
; codeLenInByte = 3588
; TotalNumSgprs: 22
; NumVgprs: 18
; ScratchSize: 0
; MemoryBound: 0
; FloatMode: 240
; IeeeMode: 1
; LDSByteSize: 768 bytes/workgroup (compile time only)
; SGPRBlocks: 0
; VGPRBlocks: 2
; NumSGPRsForWavesPerEU: 22
; NumVGPRsForWavesPerEU: 18
; Occupancy: 16
; WaveLimiterHint : 0
; COMPUTE_PGM_RSRC2:SCRATCH_EN: 0
; COMPUTE_PGM_RSRC2:USER_SGPR: 2
; COMPUTE_PGM_RSRC2:TRAP_HANDLER: 0
; COMPUTE_PGM_RSRC2:TGID_X_EN: 1
; COMPUTE_PGM_RSRC2:TGID_Y_EN: 0
; COMPUTE_PGM_RSRC2:TGID_Z_EN: 0
; COMPUTE_PGM_RSRC2:TIDIG_COMP_CNT: 0
	.section	.text._ZN2at6native12_GLOBAL__N_126LayerNormForwardCUDAKernelIN3c108BFloat16EfLb0EEEvlPKT_PKT0_SA_S7_S7_PS5_,"axG",@progbits,_ZN2at6native12_GLOBAL__N_126LayerNormForwardCUDAKernelIN3c108BFloat16EfLb0EEEvlPKT_PKT0_SA_S7_S7_PS5_,comdat
	.globl	_ZN2at6native12_GLOBAL__N_126LayerNormForwardCUDAKernelIN3c108BFloat16EfLb0EEEvlPKT_PKT0_SA_S7_S7_PS5_ ; -- Begin function _ZN2at6native12_GLOBAL__N_126LayerNormForwardCUDAKernelIN3c108BFloat16EfLb0EEEvlPKT_PKT0_SA_S7_S7_PS5_
	.p2align	8
	.type	_ZN2at6native12_GLOBAL__N_126LayerNormForwardCUDAKernelIN3c108BFloat16EfLb0EEEvlPKT_PKT0_SA_S7_S7_PS5_,@function
_ZN2at6native12_GLOBAL__N_126LayerNormForwardCUDAKernelIN3c108BFloat16EfLb0EEEvlPKT_PKT0_SA_S7_S7_PS5_: ; @_ZN2at6native12_GLOBAL__N_126LayerNormForwardCUDAKernelIN3c108BFloat16EfLb0EEEvlPKT_PKT0_SA_S7_S7_PS5_
; %bb.0:
	s_load_b256 s[4:11], s[0:1], 0x0
	v_mov_b32_e32 v1, 0
	s_mov_b32 s2, exec_lo
	s_wait_kmcnt 0x0
	s_delay_alu instid0(VALU_DEP_1)
	v_cmpx_gt_i64_e64 s[4:5], v[0:1]
	s_cbranch_execz .LBB11_8
; %bb.1:
	s_load_b256 s[12:19], s[0:1], 0x20
	s_mov_b32 s2, ttmp9
	s_load_b32 s0, s[0:1], 0x44
	s_mov_b32 s3, 0
	v_dual_mov_b32 v3, v1 :: v_dual_lshlrev_b32 v2, 1, v0
	s_wait_kmcnt 0x0
	s_cmp_lg_u64 s[12:13], 0
	s_cselect_b32 s1, -1, 0
	s_cmp_lg_u64 s[14:15], 0
	s_cselect_b32 s18, -1, 0
	s_lshl_b64 s[20:21], s[2:3], 2
	s_delay_alu instid0(SALU_CYCLE_1)
	s_add_nc_u64 s[8:9], s[8:9], s[20:21]
	s_add_nc_u64 s[20:21], s[10:11], s[20:21]
	s_load_b32 s10, s[8:9], 0x0
	s_load_b32 s11, s[20:21], 0x0
	s_mul_u64 s[8:9], s[4:5], s[2:3]
	s_and_b32 s2, s0, 0xffff
	s_lshl_b64 s[8:9], s[8:9], 1
	s_lshl_b32 s19, s2, 1
	s_add_nc_u64 s[6:7], s[6:7], s[8:9]
	s_add_nc_u64 s[8:9], s[16:17], s[8:9]
	s_branch .LBB11_4
.LBB11_2:                               ;   in Loop: Header=BB11_4 Depth=1
	v_add_co_u32 v6, vcc_lo, s14, v2
	s_wait_alu 0xfffd
	v_add_co_ci_u32_e64 v7, null, s15, v3, vcc_lo
	global_load_u16 v4, v[6:7], off
	s_wait_loadcnt 0x0
	v_lshlrev_b32_e32 v4, 16, v4
.LBB11_3:                               ;   in Loop: Header=BB11_4 Depth=1
	v_add_co_u32 v6, vcc_lo, s6, v2
	s_wait_alu 0xfffd
	v_add_co_ci_u32_e64 v7, null, s7, v3, vcc_lo
	v_add_co_u32 v0, vcc_lo, v0, s2
	s_wait_alu 0xfffd
	v_add_co_ci_u32_e64 v1, null, 0, v1, vcc_lo
	global_load_u16 v6, v[6:7], off
	s_wait_loadcnt 0x0
	v_lshlrev_b32_e32 v6, 16, v6
	s_wait_kmcnt 0x0
	s_delay_alu instid0(VALU_DEP_1) | instskip(NEXT) | instid1(VALU_DEP_1)
	v_subrev_f32_e32 v6, s10, v6
	v_mul_f32_e32 v6, s11, v6
	s_delay_alu instid0(VALU_DEP_1) | instskip(NEXT) | instid1(VALU_DEP_1)
	v_fmac_f32_e32 v4, v5, v6
	v_bfe_u32 v5, v4, 16, 1
	v_cmp_o_f32_e64 s0, v4, v4
	s_delay_alu instid0(VALU_DEP_2) | instskip(NEXT) | instid1(VALU_DEP_1)
	v_add3_u32 v5, v4, v5, 0x7fff
	v_lshrrev_b32_e32 v7, 16, v5
	v_add_co_u32 v5, vcc_lo, s8, v2
	s_wait_alu 0xfffd
	v_add_co_ci_u32_e64 v6, null, s9, v3, vcc_lo
	v_cmp_le_i64_e32 vcc_lo, s[4:5], v[0:1]
	s_wait_alu 0xf1ff
	v_cndmask_b32_e64 v4, 0x7fc0, v7, s0
	v_add_co_u32 v2, s0, v2, s19
	s_wait_alu 0xf1ff
	v_add_co_ci_u32_e64 v3, null, 0, v3, s0
	s_or_b32 s3, vcc_lo, s3
	global_store_b16 v[5:6], v4, off
	s_wait_alu 0xfffe
	s_and_not1_b32 exec_lo, exec_lo, s3
	s_cbranch_execz .LBB11_8
.LBB11_4:                               ; =>This Inner Loop Header: Depth=1
	s_and_not1_b32 vcc_lo, exec_lo, s1
	s_wait_alu 0xfffe
	s_cbranch_vccnz .LBB11_6
; %bb.5:                                ;   in Loop: Header=BB11_4 Depth=1
	v_add_co_u32 v4, vcc_lo, s12, v2
	s_wait_alu 0xfffd
	v_add_co_ci_u32_e64 v5, null, s13, v3, vcc_lo
	global_load_u16 v4, v[4:5], off
	s_wait_loadcnt 0x0
	v_lshlrev_b32_e32 v5, 16, v4
	s_and_not1_b32 vcc_lo, exec_lo, s18
	s_wait_alu 0xfffe
	s_cbranch_vccz .LBB11_2
	s_branch .LBB11_7
.LBB11_6:                               ;   in Loop: Header=BB11_4 Depth=1
	v_mov_b32_e32 v5, 1.0
	s_and_not1_b32 vcc_lo, exec_lo, s18
	s_wait_alu 0xfffe
	s_cbranch_vccz .LBB11_2
.LBB11_7:                               ;   in Loop: Header=BB11_4 Depth=1
	v_mov_b32_e32 v4, 0
	s_branch .LBB11_3
.LBB11_8:
	s_endpgm
	.section	.rodata,"a",@progbits
	.p2align	6, 0x0
	.amdhsa_kernel _ZN2at6native12_GLOBAL__N_126LayerNormForwardCUDAKernelIN3c108BFloat16EfLb0EEEvlPKT_PKT0_SA_S7_S7_PS5_
		.amdhsa_group_segment_fixed_size 0
		.amdhsa_private_segment_fixed_size 0
		.amdhsa_kernarg_size 312
		.amdhsa_user_sgpr_count 2
		.amdhsa_user_sgpr_dispatch_ptr 0
		.amdhsa_user_sgpr_queue_ptr 0
		.amdhsa_user_sgpr_kernarg_segment_ptr 1
		.amdhsa_user_sgpr_dispatch_id 0
		.amdhsa_user_sgpr_private_segment_size 0
		.amdhsa_wavefront_size32 1
		.amdhsa_uses_dynamic_stack 0
		.amdhsa_enable_private_segment 0
		.amdhsa_system_sgpr_workgroup_id_x 1
		.amdhsa_system_sgpr_workgroup_id_y 0
		.amdhsa_system_sgpr_workgroup_id_z 0
		.amdhsa_system_sgpr_workgroup_info 0
		.amdhsa_system_vgpr_workitem_id 0
		.amdhsa_next_free_vgpr 8
		.amdhsa_next_free_sgpr 22
		.amdhsa_reserve_vcc 1
		.amdhsa_float_round_mode_32 0
		.amdhsa_float_round_mode_16_64 0
		.amdhsa_float_denorm_mode_32 3
		.amdhsa_float_denorm_mode_16_64 3
		.amdhsa_fp16_overflow 0
		.amdhsa_workgroup_processor_mode 1
		.amdhsa_memory_ordered 1
		.amdhsa_forward_progress 1
		.amdhsa_inst_pref_size 4
		.amdhsa_round_robin_scheduling 0
		.amdhsa_exception_fp_ieee_invalid_op 0
		.amdhsa_exception_fp_denorm_src 0
		.amdhsa_exception_fp_ieee_div_zero 0
		.amdhsa_exception_fp_ieee_overflow 0
		.amdhsa_exception_fp_ieee_underflow 0
		.amdhsa_exception_fp_ieee_inexact 0
		.amdhsa_exception_int_div_zero 0
	.end_amdhsa_kernel
	.section	.text._ZN2at6native12_GLOBAL__N_126LayerNormForwardCUDAKernelIN3c108BFloat16EfLb0EEEvlPKT_PKT0_SA_S7_S7_PS5_,"axG",@progbits,_ZN2at6native12_GLOBAL__N_126LayerNormForwardCUDAKernelIN3c108BFloat16EfLb0EEEvlPKT_PKT0_SA_S7_S7_PS5_,comdat
.Lfunc_end11:
	.size	_ZN2at6native12_GLOBAL__N_126LayerNormForwardCUDAKernelIN3c108BFloat16EfLb0EEEvlPKT_PKT0_SA_S7_S7_PS5_, .Lfunc_end11-_ZN2at6native12_GLOBAL__N_126LayerNormForwardCUDAKernelIN3c108BFloat16EfLb0EEEvlPKT_PKT0_SA_S7_S7_PS5_
                                        ; -- End function
	.set _ZN2at6native12_GLOBAL__N_126LayerNormForwardCUDAKernelIN3c108BFloat16EfLb0EEEvlPKT_PKT0_SA_S7_S7_PS5_.num_vgpr, 8
	.set _ZN2at6native12_GLOBAL__N_126LayerNormForwardCUDAKernelIN3c108BFloat16EfLb0EEEvlPKT_PKT0_SA_S7_S7_PS5_.num_agpr, 0
	.set _ZN2at6native12_GLOBAL__N_126LayerNormForwardCUDAKernelIN3c108BFloat16EfLb0EEEvlPKT_PKT0_SA_S7_S7_PS5_.numbered_sgpr, 22
	.set _ZN2at6native12_GLOBAL__N_126LayerNormForwardCUDAKernelIN3c108BFloat16EfLb0EEEvlPKT_PKT0_SA_S7_S7_PS5_.num_named_barrier, 0
	.set _ZN2at6native12_GLOBAL__N_126LayerNormForwardCUDAKernelIN3c108BFloat16EfLb0EEEvlPKT_PKT0_SA_S7_S7_PS5_.private_seg_size, 0
	.set _ZN2at6native12_GLOBAL__N_126LayerNormForwardCUDAKernelIN3c108BFloat16EfLb0EEEvlPKT_PKT0_SA_S7_S7_PS5_.uses_vcc, 1
	.set _ZN2at6native12_GLOBAL__N_126LayerNormForwardCUDAKernelIN3c108BFloat16EfLb0EEEvlPKT_PKT0_SA_S7_S7_PS5_.uses_flat_scratch, 0
	.set _ZN2at6native12_GLOBAL__N_126LayerNormForwardCUDAKernelIN3c108BFloat16EfLb0EEEvlPKT_PKT0_SA_S7_S7_PS5_.has_dyn_sized_stack, 0
	.set _ZN2at6native12_GLOBAL__N_126LayerNormForwardCUDAKernelIN3c108BFloat16EfLb0EEEvlPKT_PKT0_SA_S7_S7_PS5_.has_recursion, 0
	.set _ZN2at6native12_GLOBAL__N_126LayerNormForwardCUDAKernelIN3c108BFloat16EfLb0EEEvlPKT_PKT0_SA_S7_S7_PS5_.has_indirect_call, 0
	.section	.AMDGPU.csdata,"",@progbits
; Kernel info:
; codeLenInByte = 496
; TotalNumSgprs: 24
; NumVgprs: 8
; ScratchSize: 0
; MemoryBound: 0
; FloatMode: 240
; IeeeMode: 1
; LDSByteSize: 0 bytes/workgroup (compile time only)
; SGPRBlocks: 0
; VGPRBlocks: 0
; NumSGPRsForWavesPerEU: 24
; NumVGPRsForWavesPerEU: 8
; Occupancy: 16
; WaveLimiterHint : 0
; COMPUTE_PGM_RSRC2:SCRATCH_EN: 0
; COMPUTE_PGM_RSRC2:USER_SGPR: 2
; COMPUTE_PGM_RSRC2:TRAP_HANDLER: 0
; COMPUTE_PGM_RSRC2:TGID_X_EN: 1
; COMPUTE_PGM_RSRC2:TGID_Y_EN: 0
; COMPUTE_PGM_RSRC2:TGID_Z_EN: 0
; COMPUTE_PGM_RSRC2:TIDIG_COMP_CNT: 0
	.section	.text.unlikely._ZN2at6native12_GLOBAL__N_128vectorized_layer_norm_kernelIddLb1EEEviT0_PKT_S6_S6_PS3_S7_PS4_,"axG",@progbits,_ZN2at6native12_GLOBAL__N_128vectorized_layer_norm_kernelIddLb1EEEviT0_PKT_S6_S6_PS3_S7_PS4_,comdat
	.globl	_ZN2at6native12_GLOBAL__N_128vectorized_layer_norm_kernelIddLb1EEEviT0_PKT_S6_S6_PS3_S7_PS4_ ; -- Begin function _ZN2at6native12_GLOBAL__N_128vectorized_layer_norm_kernelIddLb1EEEviT0_PKT_S6_S6_PS3_S7_PS4_
	.p2align	8
	.type	_ZN2at6native12_GLOBAL__N_128vectorized_layer_norm_kernelIddLb1EEEviT0_PKT_S6_S6_PS3_S7_PS4_,@function
_ZN2at6native12_GLOBAL__N_128vectorized_layer_norm_kernelIddLb1EEEviT0_PKT_S6_S6_PS3_S7_PS4_: ; @_ZN2at6native12_GLOBAL__N_128vectorized_layer_norm_kernelIddLb1EEEviT0_PKT_S6_S6_PS3_S7_PS4_
; %bb.0:
	s_trap 2
	.section	.rodata,"a",@progbits
	.p2align	6, 0x0
	.amdhsa_kernel _ZN2at6native12_GLOBAL__N_128vectorized_layer_norm_kernelIddLb1EEEviT0_PKT_S6_S6_PS3_S7_PS4_
		.amdhsa_group_segment_fixed_size 0
		.amdhsa_private_segment_fixed_size 0
		.amdhsa_kernarg_size 64
		.amdhsa_user_sgpr_count 2
		.amdhsa_user_sgpr_dispatch_ptr 0
		.amdhsa_user_sgpr_queue_ptr 0
		.amdhsa_user_sgpr_kernarg_segment_ptr 1
		.amdhsa_user_sgpr_dispatch_id 0
		.amdhsa_user_sgpr_private_segment_size 0
		.amdhsa_wavefront_size32 1
		.amdhsa_uses_dynamic_stack 0
		.amdhsa_enable_private_segment 0
		.amdhsa_system_sgpr_workgroup_id_x 1
		.amdhsa_system_sgpr_workgroup_id_y 0
		.amdhsa_system_sgpr_workgroup_id_z 0
		.amdhsa_system_sgpr_workgroup_info 0
		.amdhsa_system_vgpr_workitem_id 0
		.amdhsa_next_free_vgpr 1
		.amdhsa_next_free_sgpr 1
		.amdhsa_reserve_vcc 0
		.amdhsa_float_round_mode_32 0
		.amdhsa_float_round_mode_16_64 0
		.amdhsa_float_denorm_mode_32 3
		.amdhsa_float_denorm_mode_16_64 3
		.amdhsa_fp16_overflow 0
		.amdhsa_workgroup_processor_mode 1
		.amdhsa_memory_ordered 1
		.amdhsa_forward_progress 1
		.amdhsa_inst_pref_size 1
		.amdhsa_round_robin_scheduling 0
		.amdhsa_exception_fp_ieee_invalid_op 0
		.amdhsa_exception_fp_denorm_src 0
		.amdhsa_exception_fp_ieee_div_zero 0
		.amdhsa_exception_fp_ieee_overflow 0
		.amdhsa_exception_fp_ieee_underflow 0
		.amdhsa_exception_fp_ieee_inexact 0
		.amdhsa_exception_int_div_zero 0
	.end_amdhsa_kernel
	.section	.text.unlikely._ZN2at6native12_GLOBAL__N_128vectorized_layer_norm_kernelIddLb1EEEviT0_PKT_S6_S6_PS3_S7_PS4_,"axG",@progbits,_ZN2at6native12_GLOBAL__N_128vectorized_layer_norm_kernelIddLb1EEEviT0_PKT_S6_S6_PS3_S7_PS4_,comdat
.Lfunc_end12:
	.size	_ZN2at6native12_GLOBAL__N_128vectorized_layer_norm_kernelIddLb1EEEviT0_PKT_S6_S6_PS3_S7_PS4_, .Lfunc_end12-_ZN2at6native12_GLOBAL__N_128vectorized_layer_norm_kernelIddLb1EEEviT0_PKT_S6_S6_PS3_S7_PS4_
                                        ; -- End function
	.set _ZN2at6native12_GLOBAL__N_128vectorized_layer_norm_kernelIddLb1EEEviT0_PKT_S6_S6_PS3_S7_PS4_.num_vgpr, 0
	.set _ZN2at6native12_GLOBAL__N_128vectorized_layer_norm_kernelIddLb1EEEviT0_PKT_S6_S6_PS3_S7_PS4_.num_agpr, 0
	.set _ZN2at6native12_GLOBAL__N_128vectorized_layer_norm_kernelIddLb1EEEviT0_PKT_S6_S6_PS3_S7_PS4_.numbered_sgpr, 0
	.set _ZN2at6native12_GLOBAL__N_128vectorized_layer_norm_kernelIddLb1EEEviT0_PKT_S6_S6_PS3_S7_PS4_.num_named_barrier, 0
	.set _ZN2at6native12_GLOBAL__N_128vectorized_layer_norm_kernelIddLb1EEEviT0_PKT_S6_S6_PS3_S7_PS4_.private_seg_size, 0
	.set _ZN2at6native12_GLOBAL__N_128vectorized_layer_norm_kernelIddLb1EEEviT0_PKT_S6_S6_PS3_S7_PS4_.uses_vcc, 0
	.set _ZN2at6native12_GLOBAL__N_128vectorized_layer_norm_kernelIddLb1EEEviT0_PKT_S6_S6_PS3_S7_PS4_.uses_flat_scratch, 0
	.set _ZN2at6native12_GLOBAL__N_128vectorized_layer_norm_kernelIddLb1EEEviT0_PKT_S6_S6_PS3_S7_PS4_.has_dyn_sized_stack, 0
	.set _ZN2at6native12_GLOBAL__N_128vectorized_layer_norm_kernelIddLb1EEEviT0_PKT_S6_S6_PS3_S7_PS4_.has_recursion, 0
	.set _ZN2at6native12_GLOBAL__N_128vectorized_layer_norm_kernelIddLb1EEEviT0_PKT_S6_S6_PS3_S7_PS4_.has_indirect_call, 0
	.section	.AMDGPU.csdata,"",@progbits
; Kernel info:
; codeLenInByte = 4
; TotalNumSgprs: 0
; NumVgprs: 0
; ScratchSize: 0
; MemoryBound: 0
; FloatMode: 240
; IeeeMode: 1
; LDSByteSize: 0 bytes/workgroup (compile time only)
; SGPRBlocks: 0
; VGPRBlocks: 0
; NumSGPRsForWavesPerEU: 1
; NumVGPRsForWavesPerEU: 1
; Occupancy: 16
; WaveLimiterHint : 0
; COMPUTE_PGM_RSRC2:SCRATCH_EN: 0
; COMPUTE_PGM_RSRC2:USER_SGPR: 2
; COMPUTE_PGM_RSRC2:TRAP_HANDLER: 0
; COMPUTE_PGM_RSRC2:TGID_X_EN: 1
; COMPUTE_PGM_RSRC2:TGID_Y_EN: 0
; COMPUTE_PGM_RSRC2:TGID_Z_EN: 0
; COMPUTE_PGM_RSRC2:TIDIG_COMP_CNT: 0
	.section	.text._ZN2at6native12_GLOBAL__N_124RowwiseMomentsCUDAKernelIddLb1EEEvlT0_PKT_PS3_S7_,"axG",@progbits,_ZN2at6native12_GLOBAL__N_124RowwiseMomentsCUDAKernelIddLb1EEEvlT0_PKT_PS3_S7_,comdat
	.globl	_ZN2at6native12_GLOBAL__N_124RowwiseMomentsCUDAKernelIddLb1EEEvlT0_PKT_PS3_S7_ ; -- Begin function _ZN2at6native12_GLOBAL__N_124RowwiseMomentsCUDAKernelIddLb1EEEvlT0_PKT_PS3_S7_
	.p2align	8
	.type	_ZN2at6native12_GLOBAL__N_124RowwiseMomentsCUDAKernelIddLb1EEEvlT0_PKT_PS3_S7_,@function
_ZN2at6native12_GLOBAL__N_124RowwiseMomentsCUDAKernelIddLb1EEEvlT0_PKT_PS3_S7_: ; @_ZN2at6native12_GLOBAL__N_124RowwiseMomentsCUDAKernelIddLb1EEEvlT0_PKT_PS3_S7_
; %bb.0:
	s_clause 0x1
	s_load_b128 s[4:7], s[0:1], 0x0
	s_load_b64 s[2:3], s[0:1], 0x10
	v_dual_mov_b32 v1, 0 :: v_dual_mov_b32 v14, 0
	v_dual_mov_b32 v15, 0 :: v_dual_mov_b32 v6, 0
	;; [unrolled: 1-line block ×4, first 2 shown]
	v_mov_b32_e32 v5, 0
	s_mov_b32 s8, ttmp9
	s_mov_b32 s9, 0
	s_mov_b32 s12, exec_lo
	s_wait_kmcnt 0x0
	v_cmpx_gt_i64_e64 s[4:5], v[0:1]
	s_cbranch_execz .LBB13_4
; %bb.1:
	s_load_b32 s13, s[0:1], 0x34
	s_mul_u64 s[10:11], s[4:5], s[8:9]
	v_lshlrev_b32_e32 v6, 3, v0
	s_lshl_b64 s[10:11], s[10:11], 3
	v_dual_mov_b32 v2, 0 :: v_dual_mov_b32 v9, v1
	s_add_nc_u64 s[2:3], s[2:3], s[10:11]
	v_mov_b32_e32 v3, 0
	v_add_co_u32 v10, s2, s2, v6
	v_mov_b32_e32 v4, 0
	v_dual_mov_b32 v8, v0 :: v_dual_mov_b32 v5, 0
	s_wait_alu 0xf1ff
	v_add_co_ci_u32_e64 v11, null, s3, 0, s2
	s_mov_b64 s[10:11], 0
	s_wait_kmcnt 0x0
	s_and_b32 s3, s13, 0xffff
	s_mov_b32 s13, s9
	s_wait_alu 0xfffe
	s_lshl_b32 s14, s3, 3
.LBB13_2:                               ; =>This Inner Loop Header: Depth=1
	global_load_b64 v[12:13], v[10:11], off
	s_add_nc_u64 s[10:11], s[10:11], 1
	v_add_co_u32 v10, s2, v10, s14
	s_wait_alu 0xfffe
	v_cvt_f64_u32_e32 v[6:7], s11
	v_cvt_f64_u32_e32 v[14:15], s10
	s_wait_alu 0xf1ff
	v_add_co_ci_u32_e64 v11, null, 0, v11, s2
	s_delay_alu instid0(VALU_DEP_3) | instskip(NEXT) | instid1(VALU_DEP_1)
	v_ldexp_f64 v[6:7], v[6:7], 32
	v_add_f64_e32 v[6:7], v[6:7], v[14:15]
	s_wait_loadcnt 0x0
	v_add_f64_e64 v[14:15], v[12:13], -v[4:5]
	s_delay_alu instid0(VALU_DEP_1) | instskip(SKIP_1) | instid1(VALU_DEP_2)
	v_div_scale_f64 v[16:17], null, v[6:7], v[6:7], v[14:15]
	v_div_scale_f64 v[22:23], vcc_lo, v[14:15], v[6:7], v[14:15]
	v_rcp_f64_e32 v[18:19], v[16:17]
	s_delay_alu instid0(TRANS32_DEP_1) | instskip(NEXT) | instid1(VALU_DEP_1)
	v_fma_f64 v[20:21], -v[16:17], v[18:19], 1.0
	v_fma_f64 v[18:19], v[18:19], v[20:21], v[18:19]
	s_delay_alu instid0(VALU_DEP_1) | instskip(NEXT) | instid1(VALU_DEP_1)
	v_fma_f64 v[20:21], -v[16:17], v[18:19], 1.0
	v_fma_f64 v[18:19], v[18:19], v[20:21], v[18:19]
	s_delay_alu instid0(VALU_DEP_1) | instskip(NEXT) | instid1(VALU_DEP_1)
	v_mul_f64_e32 v[20:21], v[22:23], v[18:19]
	v_fma_f64 v[16:17], -v[16:17], v[20:21], v[22:23]
	s_wait_alu 0xfffd
	s_delay_alu instid0(VALU_DEP_1) | instskip(SKIP_3) | instid1(VALU_DEP_1)
	v_div_fmas_f64 v[16:17], v[16:17], v[18:19], v[20:21]
	v_add_co_u32 v8, vcc_lo, v8, s3
	s_wait_alu 0xfffd
	v_add_co_ci_u32_e64 v9, null, 0, v9, vcc_lo
	v_cmp_le_i64_e32 vcc_lo, s[4:5], v[8:9]
	s_or_b32 s13, vcc_lo, s13
	s_delay_alu instid0(VALU_DEP_4) | instskip(NEXT) | instid1(VALU_DEP_1)
	v_div_fixup_f64 v[16:17], v[16:17], v[6:7], v[14:15]
	v_add_f64_e32 v[4:5], v[4:5], v[16:17]
	s_delay_alu instid0(VALU_DEP_1) | instskip(NEXT) | instid1(VALU_DEP_1)
	v_add_f64_e64 v[12:13], v[12:13], -v[4:5]
	v_fma_f64 v[2:3], v[14:15], v[12:13], v[2:3]
	v_dual_mov_b32 v15, s11 :: v_dual_mov_b32 v14, s10
	s_and_not1_b32 exec_lo, exec_lo, s13
	s_cbranch_execnz .LBB13_2
; %bb.3:
	s_or_b32 exec_lo, exec_lo, s13
.LBB13_4:
	s_delay_alu instid0(SALU_CYCLE_1) | instskip(SKIP_2) | instid1(VALU_DEP_1)
	s_or_b32 exec_lo, exec_lo, s12
	v_mbcnt_lo_u32_b32 v23, -1, 0
	s_mov_b32 s2, exec_lo
	v_lshl_or_b32 v20, v23, 2, 64
	ds_bpermute_b32 v10, v20, v4
	ds_bpermute_b32 v11, v20, v5
	;; [unrolled: 1-line block ×8, first 2 shown]
	v_cmpx_neq_f64_e32 0, v[6:7]
	s_cbranch_execz .LBB13_8
; %bb.5:
	s_mov_b32 s3, exec_lo
	s_wait_dscnt 0x0
	v_cmpx_neq_f64_e32 0, v[12:13]
	s_cbranch_execz .LBB13_7
; %bb.6:
	v_add_f64_e32 v[16:17], v[6:7], v[12:13]
	v_add_f64_e64 v[10:11], v[10:11], -v[4:5]
	v_add_f64_e32 v[1:2], v[2:3], v[8:9]
	s_delay_alu instid0(VALU_DEP_3) | instskip(SKIP_1) | instid1(VALU_DEP_2)
	v_div_scale_f64 v[14:15], null, v[16:17], v[16:17], v[12:13]
	v_div_scale_f64 v[24:25], vcc_lo, v[12:13], v[16:17], v[12:13]
	v_rcp_f64_e32 v[18:19], v[14:15]
	s_delay_alu instid0(TRANS32_DEP_1) | instskip(NEXT) | instid1(VALU_DEP_1)
	v_fma_f64 v[21:22], -v[14:15], v[18:19], 1.0
	v_fma_f64 v[18:19], v[18:19], v[21:22], v[18:19]
	s_delay_alu instid0(VALU_DEP_1) | instskip(NEXT) | instid1(VALU_DEP_1)
	v_fma_f64 v[21:22], -v[14:15], v[18:19], 1.0
	v_fma_f64 v[18:19], v[18:19], v[21:22], v[18:19]
	s_delay_alu instid0(VALU_DEP_1) | instskip(NEXT) | instid1(VALU_DEP_1)
	v_mul_f64_e32 v[21:22], v[24:25], v[18:19]
	v_fma_f64 v[14:15], -v[14:15], v[21:22], v[24:25]
	s_wait_alu 0xfffd
	s_delay_alu instid0(VALU_DEP_1) | instskip(SKIP_1) | instid1(VALU_DEP_2)
	v_div_fmas_f64 v[14:15], v[14:15], v[18:19], v[21:22]
	v_mul_f64_e32 v[18:19], v[10:11], v[10:11]
	v_div_fixup_f64 v[8:9], v[14:15], v[16:17], v[12:13]
	s_delay_alu instid0(VALU_DEP_2) | instskip(SKIP_2) | instid1(VALU_DEP_4)
	v_mul_f64_e32 v[6:7], v[6:7], v[18:19]
	v_mov_b32_e32 v14, -1
	v_mov_b32_e32 v15, -1
	v_fma_f64 v[4:5], v[10:11], v[8:9], v[4:5]
	s_delay_alu instid0(VALU_DEP_4)
	v_fma_f64 v[2:3], v[6:7], v[8:9], v[1:2]
	v_dual_mov_b32 v6, v16 :: v_dual_mov_b32 v7, v17
.LBB13_7:
	s_wait_alu 0xfffe
	s_or_b32 exec_lo, exec_lo, s3
	s_delay_alu instid0(VALU_DEP_1) | instskip(SKIP_1) | instid1(VALU_DEP_4)
	v_dual_mov_b32 v13, v7 :: v_dual_mov_b32 v12, v6
	v_dual_mov_b32 v17, v15 :: v_dual_mov_b32 v16, v14
	;; [unrolled: 1-line block ×4, first 2 shown]
.LBB13_8:
	s_wait_alu 0xfffe
	s_or_b32 exec_lo, exec_lo, s2
	v_cmp_gt_u32_e64 s2, 24, v23
	s_wait_alu 0xf1ff
	s_delay_alu instid0(VALU_DEP_1) | instskip(SKIP_1) | instid1(VALU_DEP_1)
	v_cndmask_b32_e64 v1, 0, 8, s2
	s_mov_b32 s2, exec_lo
	v_add_lshl_u32 v21, v1, v23, 2
	s_wait_dscnt 0x7
	ds_bpermute_b32 v5, v21, v10
	s_wait_dscnt 0x7
	ds_bpermute_b32 v6, v21, v11
	;; [unrolled: 2-line block ×8, first 2 shown]
	v_cmpx_neq_f64_e32 0, v[12:13]
	s_cbranch_execz .LBB13_12
; %bb.9:
	s_mov_b32 s3, exec_lo
	s_wait_dscnt 0x0
	v_cmpx_neq_f64_e32 0, v[14:15]
	s_cbranch_execz .LBB13_11
; %bb.10:
	v_add_f64_e32 v[3:4], v[12:13], v[14:15]
	v_add_f64_e64 v[5:6], v[5:6], -v[10:11]
	v_add_f64_e32 v[1:2], v[8:9], v[1:2]
	s_delay_alu instid0(VALU_DEP_3) | instskip(SKIP_1) | instid1(VALU_DEP_2)
	v_div_scale_f64 v[16:17], null, v[3:4], v[3:4], v[14:15]
	v_div_scale_f64 v[26:27], vcc_lo, v[14:15], v[3:4], v[14:15]
	v_rcp_f64_e32 v[18:19], v[16:17]
	s_delay_alu instid0(TRANS32_DEP_1) | instskip(NEXT) | instid1(VALU_DEP_1)
	v_fma_f64 v[24:25], -v[16:17], v[18:19], 1.0
	v_fma_f64 v[18:19], v[18:19], v[24:25], v[18:19]
	s_delay_alu instid0(VALU_DEP_1) | instskip(NEXT) | instid1(VALU_DEP_1)
	v_fma_f64 v[24:25], -v[16:17], v[18:19], 1.0
	v_fma_f64 v[18:19], v[18:19], v[24:25], v[18:19]
	s_delay_alu instid0(VALU_DEP_1) | instskip(NEXT) | instid1(VALU_DEP_1)
	v_mul_f64_e32 v[24:25], v[26:27], v[18:19]
	v_fma_f64 v[16:17], -v[16:17], v[24:25], v[26:27]
	s_wait_alu 0xfffd
	s_delay_alu instid0(VALU_DEP_1) | instskip(SKIP_1) | instid1(VALU_DEP_2)
	v_div_fmas_f64 v[16:17], v[16:17], v[18:19], v[24:25]
	v_mul_f64_e32 v[18:19], v[5:6], v[5:6]
	v_div_fixup_f64 v[7:8], v[16:17], v[3:4], v[14:15]
	s_delay_alu instid0(VALU_DEP_2) | instskip(SKIP_2) | instid1(VALU_DEP_4)
	v_mul_f64_e32 v[12:13], v[12:13], v[18:19]
	v_mov_b32_e32 v16, -1
	v_mov_b32_e32 v17, -1
	v_fma_f64 v[10:11], v[5:6], v[7:8], v[10:11]
	s_delay_alu instid0(VALU_DEP_4)
	v_fma_f64 v[8:9], v[12:13], v[7:8], v[1:2]
	v_dual_mov_b32 v13, v4 :: v_dual_mov_b32 v12, v3
.LBB13_11:
	s_wait_alu 0xfffe
	s_or_b32 exec_lo, exec_lo, s3
	s_delay_alu instid0(VALU_DEP_1) | instskip(SKIP_1) | instid1(VALU_DEP_4)
	v_dual_mov_b32 v15, v13 :: v_dual_mov_b32 v14, v12
	v_dual_mov_b32 v19, v17 :: v_dual_mov_b32 v18, v16
	;; [unrolled: 1-line block ×4, first 2 shown]
.LBB13_12:
	s_wait_alu 0xfffe
	s_or_b32 exec_lo, exec_lo, s2
	v_cmp_gt_u32_e64 s2, 28, v23
	s_wait_alu 0xf1ff
	s_delay_alu instid0(VALU_DEP_1) | instskip(SKIP_1) | instid1(VALU_DEP_1)
	v_cndmask_b32_e64 v3, 0, 4, s2
	s_mov_b32 s2, exec_lo
	v_add_lshl_u32 v22, v3, v23, 2
	s_wait_dscnt 0x7
	ds_bpermute_b32 v7, v22, v5
	s_wait_dscnt 0x7
	ds_bpermute_b32 v8, v22, v6
	;; [unrolled: 2-line block ×8, first 2 shown]
	v_cmpx_neq_f64_e32 0, v[14:15]
	s_cbranch_execz .LBB13_16
; %bb.13:
	s_mov_b32 s3, exec_lo
	s_wait_dscnt 0x0
	v_cmpx_neq_f64_e32 0, v[9:10]
	s_cbranch_execz .LBB13_15
; %bb.14:
	v_add_f64_e32 v[11:12], v[14:15], v[9:10]
	v_add_f64_e64 v[7:8], v[7:8], -v[5:6]
	v_add_f64_e32 v[1:2], v[1:2], v[3:4]
	s_delay_alu instid0(VALU_DEP_3) | instskip(SKIP_1) | instid1(VALU_DEP_2)
	v_div_scale_f64 v[16:17], null, v[11:12], v[11:12], v[9:10]
	v_div_scale_f64 v[26:27], vcc_lo, v[9:10], v[11:12], v[9:10]
	v_rcp_f64_e32 v[18:19], v[16:17]
	s_delay_alu instid0(TRANS32_DEP_1) | instskip(NEXT) | instid1(VALU_DEP_1)
	v_fma_f64 v[24:25], -v[16:17], v[18:19], 1.0
	v_fma_f64 v[18:19], v[18:19], v[24:25], v[18:19]
	s_delay_alu instid0(VALU_DEP_1) | instskip(NEXT) | instid1(VALU_DEP_1)
	v_fma_f64 v[24:25], -v[16:17], v[18:19], 1.0
	v_fma_f64 v[18:19], v[18:19], v[24:25], v[18:19]
	s_delay_alu instid0(VALU_DEP_1) | instskip(NEXT) | instid1(VALU_DEP_1)
	v_mul_f64_e32 v[24:25], v[26:27], v[18:19]
	v_fma_f64 v[16:17], -v[16:17], v[24:25], v[26:27]
	s_wait_alu 0xfffd
	s_delay_alu instid0(VALU_DEP_1) | instskip(SKIP_1) | instid1(VALU_DEP_2)
	v_div_fmas_f64 v[16:17], v[16:17], v[18:19], v[24:25]
	v_mul_f64_e32 v[18:19], v[7:8], v[7:8]
	v_div_fixup_f64 v[3:4], v[16:17], v[11:12], v[9:10]
	s_delay_alu instid0(VALU_DEP_2) | instskip(SKIP_2) | instid1(VALU_DEP_4)
	v_mul_f64_e32 v[9:10], v[14:15], v[18:19]
	v_dual_mov_b32 v18, -1 :: v_dual_mov_b32 v15, v12
	v_dual_mov_b32 v19, -1 :: v_dual_mov_b32 v14, v11
	v_fma_f64 v[5:6], v[7:8], v[3:4], v[5:6]
	s_delay_alu instid0(VALU_DEP_4)
	v_fma_f64 v[1:2], v[9:10], v[3:4], v[1:2]
.LBB13_15:
	s_wait_alu 0xfffe
	s_or_b32 exec_lo, exec_lo, s3
	v_dual_mov_b32 v9, v14 :: v_dual_mov_b32 v10, v15
	v_dual_mov_b32 v16, v18 :: v_dual_mov_b32 v17, v19
	s_delay_alu instid0(VALU_DEP_3)
	v_dual_mov_b32 v4, v2 :: v_dual_mov_b32 v3, v1
	v_dual_mov_b32 v8, v6 :: v_dual_mov_b32 v7, v5
.LBB13_16:
	s_wait_alu 0xfffe
	s_or_b32 exec_lo, exec_lo, s2
	v_cmp_gt_u32_e64 s2, 30, v23
	s_wait_alu 0xf1ff
	s_delay_alu instid0(VALU_DEP_1) | instskip(SKIP_1) | instid1(VALU_DEP_1)
	v_cndmask_b32_e64 v1, 0, 2, s2
	s_mov_b32 s2, exec_lo
	v_add_lshl_u32 v18, v1, v23, 2
	s_wait_dscnt 0x7
	ds_bpermute_b32 v5, v18, v7
	s_wait_dscnt 0x7
	ds_bpermute_b32 v6, v18, v8
	;; [unrolled: 2-line block ×8, first 2 shown]
	v_cmpx_neq_f64_e32 0, v[9:10]
	s_cbranch_execz .LBB13_20
; %bb.17:
	s_mov_b32 s3, exec_lo
	s_wait_dscnt 0x0
	v_cmpx_neq_f64_e32 0, v[11:12]
	s_cbranch_execz .LBB13_19
; %bb.18:
	v_add_f64_e32 v[13:14], v[9:10], v[11:12]
	v_add_f64_e64 v[5:6], v[5:6], -v[7:8]
	v_add_f64_e32 v[1:2], v[3:4], v[1:2]
	s_delay_alu instid0(VALU_DEP_3) | instskip(SKIP_1) | instid1(VALU_DEP_2)
	v_div_scale_f64 v[15:16], null, v[13:14], v[13:14], v[11:12]
	v_div_scale_f64 v[28:29], vcc_lo, v[11:12], v[13:14], v[11:12]
	v_rcp_f64_e32 v[24:25], v[15:16]
	s_delay_alu instid0(TRANS32_DEP_1) | instskip(NEXT) | instid1(VALU_DEP_1)
	v_fma_f64 v[26:27], -v[15:16], v[24:25], 1.0
	v_fma_f64 v[24:25], v[24:25], v[26:27], v[24:25]
	s_delay_alu instid0(VALU_DEP_1) | instskip(NEXT) | instid1(VALU_DEP_1)
	v_fma_f64 v[26:27], -v[15:16], v[24:25], 1.0
	v_fma_f64 v[24:25], v[24:25], v[26:27], v[24:25]
	s_delay_alu instid0(VALU_DEP_1) | instskip(NEXT) | instid1(VALU_DEP_1)
	v_mul_f64_e32 v[26:27], v[28:29], v[24:25]
	v_fma_f64 v[15:16], -v[15:16], v[26:27], v[28:29]
	s_wait_alu 0xfffd
	s_delay_alu instid0(VALU_DEP_1) | instskip(SKIP_1) | instid1(VALU_DEP_2)
	v_div_fmas_f64 v[15:16], v[15:16], v[24:25], v[26:27]
	v_mul_f64_e32 v[24:25], v[5:6], v[5:6]
	v_div_fixup_f64 v[3:4], v[15:16], v[13:14], v[11:12]
	s_delay_alu instid0(VALU_DEP_2) | instskip(SKIP_2) | instid1(VALU_DEP_4)
	v_mul_f64_e32 v[9:10], v[9:10], v[24:25]
	v_mov_b32_e32 v16, -1
	v_mov_b32_e32 v17, -1
	v_fma_f64 v[7:8], v[5:6], v[3:4], v[7:8]
	s_delay_alu instid0(VALU_DEP_4)
	v_fma_f64 v[3:4], v[9:10], v[3:4], v[1:2]
	v_dual_mov_b32 v9, v13 :: v_dual_mov_b32 v10, v14
.LBB13_19:
	s_wait_alu 0xfffe
	s_or_b32 exec_lo, exec_lo, s3
	s_delay_alu instid0(VALU_DEP_1) | instskip(SKIP_1) | instid1(VALU_DEP_4)
	v_dual_mov_b32 v12, v10 :: v_dual_mov_b32 v11, v9
	v_dual_mov_b32 v13, v16 :: v_dual_mov_b32 v14, v17
	;; [unrolled: 1-line block ×4, first 2 shown]
.LBB13_20:
	s_wait_alu 0xfffe
	s_or_b32 exec_lo, exec_lo, s2
	v_cmp_ne_u32_e64 s2, 31, v23
	s_wait_alu 0xf1ff
	s_delay_alu instid0(VALU_DEP_1)
	v_add_co_ci_u32_e64 v3, null, 0, v23, s2
	s_mov_b32 s2, exec_lo
	v_lshlrev_b32_e32 v17, 2, v3
	s_wait_dscnt 0x7
	ds_bpermute_b32 v9, v17, v5
	s_wait_dscnt 0x7
	ds_bpermute_b32 v10, v17, v6
	;; [unrolled: 2-line block ×8, first 2 shown]
	v_cmpx_neq_f64_e32 0, v[11:12]
	s_cbranch_execz .LBB13_24
; %bb.21:
	s_mov_b32 s3, exec_lo
	s_wait_dscnt 0x0
	v_cmpx_neq_f64_e32 0, v[3:4]
	s_cbranch_execz .LBB13_23
; %bb.22:
	v_add_f64_e32 v[15:16], v[11:12], v[3:4]
	v_add_f64_e64 v[9:10], v[9:10], -v[5:6]
	v_add_f64_e32 v[1:2], v[1:2], v[7:8]
	s_delay_alu instid0(VALU_DEP_3) | instskip(SKIP_1) | instid1(VALU_DEP_2)
	v_div_scale_f64 v[13:14], null, v[15:16], v[15:16], v[3:4]
	v_div_scale_f64 v[27:28], vcc_lo, v[3:4], v[15:16], v[3:4]
	v_rcp_f64_e32 v[23:24], v[13:14]
	s_delay_alu instid0(TRANS32_DEP_1) | instskip(NEXT) | instid1(VALU_DEP_1)
	v_fma_f64 v[25:26], -v[13:14], v[23:24], 1.0
	v_fma_f64 v[23:24], v[23:24], v[25:26], v[23:24]
	s_delay_alu instid0(VALU_DEP_1) | instskip(NEXT) | instid1(VALU_DEP_1)
	v_fma_f64 v[25:26], -v[13:14], v[23:24], 1.0
	v_fma_f64 v[23:24], v[23:24], v[25:26], v[23:24]
	s_delay_alu instid0(VALU_DEP_1) | instskip(NEXT) | instid1(VALU_DEP_1)
	v_mul_f64_e32 v[25:26], v[27:28], v[23:24]
	v_fma_f64 v[13:14], -v[13:14], v[25:26], v[27:28]
	s_wait_alu 0xfffd
	s_delay_alu instid0(VALU_DEP_1) | instskip(SKIP_1) | instid1(VALU_DEP_2)
	v_div_fmas_f64 v[13:14], v[13:14], v[23:24], v[25:26]
	v_mul_f64_e32 v[23:24], v[9:10], v[9:10]
	v_div_fixup_f64 v[3:4], v[13:14], v[15:16], v[3:4]
	s_delay_alu instid0(VALU_DEP_2)
	v_mul_f64_e32 v[7:8], v[11:12], v[23:24]
	v_mov_b32_e32 v13, -1
	v_dual_mov_b32 v14, -1 :: v_dual_mov_b32 v11, v15
	v_mov_b32_e32 v12, v16
	v_fma_f64 v[5:6], v[9:10], v[3:4], v[5:6]
	v_fma_f64 v[1:2], v[7:8], v[3:4], v[1:2]
.LBB13_23:
	s_wait_alu 0xfffe
	s_or_b32 exec_lo, exec_lo, s3
	v_dual_mov_b32 v3, v11 :: v_dual_mov_b32 v4, v12
	v_dual_mov_b32 v16, v14 :: v_dual_mov_b32 v15, v13
	s_delay_alu instid0(VALU_DEP_3)
	v_dual_mov_b32 v8, v2 :: v_dual_mov_b32 v7, v1
	v_dual_mov_b32 v10, v6 :: v_dual_mov_b32 v9, v5
.LBB13_24:
	s_wait_alu 0xfffe
	s_or_b32 exec_lo, exec_lo, s2
	v_and_b32_e32 v5, 31, v0
	s_mov_b32 s2, exec_lo
	s_wait_dscnt 0x0
	s_barrier_signal -1
	s_barrier_wait -1
	global_inv scope:SCOPE_SE
	v_cmpx_eq_u32_e32 0, v5
	s_cbranch_execz .LBB13_26
; %bb.25:
	ds_store_2addr_b64 v0, v[9:10], v[7:8] offset1:1
	ds_store_2addr_b64 v0, v[15:16], v[3:4] offset0:2 offset1:3
.LBB13_26:
	s_wait_alu 0xfffe
	s_or_b32 exec_lo, exec_lo, s2
	s_wait_loadcnt_dscnt 0x0
	s_barrier_signal -1
	s_barrier_wait -1
	global_inv scope:SCOPE_SE
	s_load_b32 s2, s[0:1], 0x34
	v_mov_b32_e32 v1, 0
	v_dual_mov_b32 v2, 0 :: v_dual_mov_b32 v3, 0
	v_dual_mov_b32 v4, 0 :: v_dual_lshlrev_b32 v7, 5, v5
	s_wait_kmcnt 0x0
	s_bfe_u32 s2, s2, 0xb0005
	s_wait_alu 0xfffe
	v_cmp_gt_u32_e32 vcc_lo, s2, v0
	s_and_saveexec_b32 s2, vcc_lo
; %bb.27:
	ds_load_b64 v[3:4], v7
; %bb.28:
	s_wait_alu 0xfffe
	s_or_b32 exec_lo, exec_lo, s2
	s_and_saveexec_b32 s2, vcc_lo
; %bb.29:
	ds_load_b64 v[1:2], v7 offset:8
; %bb.30:
	s_wait_alu 0xfffe
	s_or_b32 exec_lo, exec_lo, s2
	v_mov_b32_e32 v5, 0
	v_mov_b32_e32 v6, 0
	s_and_saveexec_b32 s2, vcc_lo
; %bb.31:
	ds_load_b64 v[5:6], v7 offset:24
; %bb.32:
	s_wait_alu 0xfffe
	s_or_b32 exec_lo, exec_lo, s2
	s_delay_alu instid0(SALU_CYCLE_1)
	s_mov_b32 s2, exec_lo
	v_cmpx_gt_u32_e32 32, v0
	s_cbranch_execz .LBB13_54
; %bb.33:
	s_wait_dscnt 0x0
	ds_bpermute_b32 v9, v20, v3
	ds_bpermute_b32 v10, v20, v4
	;; [unrolled: 1-line block ×6, first 2 shown]
	s_mov_b32 s3, exec_lo
	v_cmpx_neq_f64_e32 0, v[5:6]
	s_cbranch_execz .LBB13_37
; %bb.34:
	s_mov_b32 s4, exec_lo
	s_wait_dscnt 0x0
	v_cmpx_neq_f64_e32 0, v[11:12]
	s_cbranch_execz .LBB13_36
; %bb.35:
	v_add_f64_e32 v[13:14], v[5:6], v[11:12]
	v_add_f64_e64 v[9:10], v[9:10], -v[3:4]
	v_add_f64_e32 v[1:2], v[1:2], v[7:8]
	s_delay_alu instid0(VALU_DEP_3) | instskip(SKIP_1) | instid1(VALU_DEP_2)
	v_div_scale_f64 v[15:16], null, v[13:14], v[13:14], v[11:12]
	v_div_scale_f64 v[25:26], vcc_lo, v[11:12], v[13:14], v[11:12]
	v_rcp_f64_e32 v[19:20], v[15:16]
	s_delay_alu instid0(TRANS32_DEP_1) | instskip(NEXT) | instid1(VALU_DEP_1)
	v_fma_f64 v[23:24], -v[15:16], v[19:20], 1.0
	v_fma_f64 v[19:20], v[19:20], v[23:24], v[19:20]
	s_delay_alu instid0(VALU_DEP_1) | instskip(NEXT) | instid1(VALU_DEP_1)
	v_fma_f64 v[23:24], -v[15:16], v[19:20], 1.0
	v_fma_f64 v[19:20], v[19:20], v[23:24], v[19:20]
	s_delay_alu instid0(VALU_DEP_1) | instskip(NEXT) | instid1(VALU_DEP_1)
	v_mul_f64_e32 v[23:24], v[25:26], v[19:20]
	v_fma_f64 v[15:16], -v[15:16], v[23:24], v[25:26]
	s_wait_alu 0xfffd
	s_delay_alu instid0(VALU_DEP_1) | instskip(SKIP_1) | instid1(VALU_DEP_2)
	v_div_fmas_f64 v[15:16], v[15:16], v[19:20], v[23:24]
	v_mul_f64_e32 v[19:20], v[9:10], v[9:10]
	v_div_fixup_f64 v[7:8], v[15:16], v[13:14], v[11:12]
	s_delay_alu instid0(VALU_DEP_2) | instskip(NEXT) | instid1(VALU_DEP_2)
	v_mul_f64_e32 v[5:6], v[5:6], v[19:20]
	v_fma_f64 v[3:4], v[9:10], v[7:8], v[3:4]
	s_delay_alu instid0(VALU_DEP_2)
	v_fma_f64 v[1:2], v[5:6], v[7:8], v[1:2]
	v_dual_mov_b32 v5, v13 :: v_dual_mov_b32 v6, v14
.LBB13_36:
	s_wait_alu 0xfffe
	s_or_b32 exec_lo, exec_lo, s4
	s_delay_alu instid0(VALU_DEP_1) | instskip(NEXT) | instid1(VALU_DEP_3)
	v_dual_mov_b32 v12, v6 :: v_dual_mov_b32 v11, v5
	v_dual_mov_b32 v8, v2 :: v_dual_mov_b32 v7, v1
	;; [unrolled: 1-line block ×3, first 2 shown]
.LBB13_37:
	s_wait_alu 0xfffe
	s_or_b32 exec_lo, exec_lo, s3
	s_wait_dscnt 0x5
	ds_bpermute_b32 v5, v21, v9
	s_wait_dscnt 0x5
	ds_bpermute_b32 v6, v21, v10
	;; [unrolled: 2-line block ×6, first 2 shown]
	s_mov_b32 s3, exec_lo
	v_cmpx_neq_f64_e32 0, v[11:12]
	s_cbranch_execz .LBB13_41
; %bb.38:
	s_mov_b32 s4, exec_lo
	s_wait_dscnt 0x0
	v_cmpx_neq_f64_e32 0, v[13:14]
	s_cbranch_execz .LBB13_40
; %bb.39:
	v_add_f64_e32 v[3:4], v[11:12], v[13:14]
	v_add_f64_e64 v[5:6], v[5:6], -v[9:10]
	v_add_f64_e32 v[1:2], v[7:8], v[1:2]
	s_delay_alu instid0(VALU_DEP_3) | instskip(SKIP_1) | instid1(VALU_DEP_2)
	v_div_scale_f64 v[15:16], null, v[3:4], v[3:4], v[13:14]
	v_div_scale_f64 v[25:26], vcc_lo, v[13:14], v[3:4], v[13:14]
	v_rcp_f64_e32 v[19:20], v[15:16]
	s_delay_alu instid0(TRANS32_DEP_1) | instskip(NEXT) | instid1(VALU_DEP_1)
	v_fma_f64 v[23:24], -v[15:16], v[19:20], 1.0
	v_fma_f64 v[19:20], v[19:20], v[23:24], v[19:20]
	s_delay_alu instid0(VALU_DEP_1) | instskip(NEXT) | instid1(VALU_DEP_1)
	v_fma_f64 v[23:24], -v[15:16], v[19:20], 1.0
	v_fma_f64 v[19:20], v[19:20], v[23:24], v[19:20]
	s_delay_alu instid0(VALU_DEP_1) | instskip(NEXT) | instid1(VALU_DEP_1)
	v_mul_f64_e32 v[23:24], v[25:26], v[19:20]
	v_fma_f64 v[15:16], -v[15:16], v[23:24], v[25:26]
	s_wait_alu 0xfffd
	s_delay_alu instid0(VALU_DEP_1) | instskip(SKIP_1) | instid1(VALU_DEP_2)
	v_div_fmas_f64 v[15:16], v[15:16], v[19:20], v[23:24]
	v_mul_f64_e32 v[19:20], v[5:6], v[5:6]
	v_div_fixup_f64 v[7:8], v[15:16], v[3:4], v[13:14]
	s_delay_alu instid0(VALU_DEP_2) | instskip(NEXT) | instid1(VALU_DEP_2)
	v_mul_f64_e32 v[11:12], v[11:12], v[19:20]
	v_fma_f64 v[9:10], v[5:6], v[7:8], v[9:10]
	s_delay_alu instid0(VALU_DEP_2)
	v_fma_f64 v[7:8], v[11:12], v[7:8], v[1:2]
	v_dual_mov_b32 v12, v4 :: v_dual_mov_b32 v11, v3
.LBB13_40:
	s_wait_alu 0xfffe
	s_or_b32 exec_lo, exec_lo, s4
	s_delay_alu instid0(VALU_DEP_1) | instskip(NEXT) | instid1(VALU_DEP_3)
	v_dual_mov_b32 v14, v12 :: v_dual_mov_b32 v13, v11
	v_dual_mov_b32 v1, v7 :: v_dual_mov_b32 v2, v8
	;; [unrolled: 1-line block ×3, first 2 shown]
.LBB13_41:
	s_wait_alu 0xfffe
	s_or_b32 exec_lo, exec_lo, s3
	s_wait_dscnt 0x5
	ds_bpermute_b32 v11, v22, v5
	s_wait_dscnt 0x5
	ds_bpermute_b32 v12, v22, v6
	;; [unrolled: 2-line block ×6, first 2 shown]
	s_mov_b32 s3, exec_lo
	v_cmpx_neq_f64_e32 0, v[13:14]
	s_cbranch_execz .LBB13_45
; %bb.42:
	s_mov_b32 s4, exec_lo
	s_wait_dscnt 0x0
	v_cmpx_neq_f64_e32 0, v[15:16]
	s_cbranch_execz .LBB13_44
; %bb.43:
	v_add_f64_e32 v[7:8], v[13:14], v[15:16]
	v_add_f64_e64 v[11:12], v[11:12], -v[5:6]
	v_add_f64_e32 v[1:2], v[1:2], v[3:4]
	s_delay_alu instid0(VALU_DEP_3) | instskip(SKIP_1) | instid1(VALU_DEP_2)
	v_div_scale_f64 v[9:10], null, v[7:8], v[7:8], v[15:16]
	v_div_scale_f64 v[23:24], vcc_lo, v[15:16], v[7:8], v[15:16]
	v_rcp_f64_e32 v[19:20], v[9:10]
	s_delay_alu instid0(TRANS32_DEP_1) | instskip(NEXT) | instid1(VALU_DEP_1)
	v_fma_f64 v[21:22], -v[9:10], v[19:20], 1.0
	v_fma_f64 v[19:20], v[19:20], v[21:22], v[19:20]
	s_delay_alu instid0(VALU_DEP_1) | instskip(NEXT) | instid1(VALU_DEP_1)
	v_fma_f64 v[21:22], -v[9:10], v[19:20], 1.0
	v_fma_f64 v[19:20], v[19:20], v[21:22], v[19:20]
	s_delay_alu instid0(VALU_DEP_1) | instskip(NEXT) | instid1(VALU_DEP_1)
	v_mul_f64_e32 v[21:22], v[23:24], v[19:20]
	v_fma_f64 v[9:10], -v[9:10], v[21:22], v[23:24]
	s_wait_alu 0xfffd
	s_delay_alu instid0(VALU_DEP_1) | instskip(SKIP_1) | instid1(VALU_DEP_2)
	v_div_fmas_f64 v[9:10], v[9:10], v[19:20], v[21:22]
	v_mul_f64_e32 v[19:20], v[11:12], v[11:12]
	v_div_fixup_f64 v[3:4], v[9:10], v[7:8], v[15:16]
	s_delay_alu instid0(VALU_DEP_2) | instskip(SKIP_1) | instid1(VALU_DEP_3)
	v_mul_f64_e32 v[9:10], v[13:14], v[19:20]
	v_dual_mov_b32 v14, v8 :: v_dual_mov_b32 v13, v7
	v_fma_f64 v[5:6], v[11:12], v[3:4], v[5:6]
	s_delay_alu instid0(VALU_DEP_3)
	v_fma_f64 v[1:2], v[9:10], v[3:4], v[1:2]
.LBB13_44:
	s_wait_alu 0xfffe
	s_or_b32 exec_lo, exec_lo, s4
	v_dual_mov_b32 v16, v14 :: v_dual_mov_b32 v15, v13
	s_delay_alu instid0(VALU_DEP_2) | instskip(NEXT) | instid1(VALU_DEP_4)
	v_dual_mov_b32 v4, v2 :: v_dual_mov_b32 v3, v1
	v_dual_mov_b32 v12, v6 :: v_dual_mov_b32 v11, v5
.LBB13_45:
	s_wait_alu 0xfffe
	s_or_b32 exec_lo, exec_lo, s3
	s_wait_dscnt 0x5
	ds_bpermute_b32 v13, v18, v11
	s_wait_dscnt 0x5
	ds_bpermute_b32 v14, v18, v12
	;; [unrolled: 2-line block ×6, first 2 shown]
	s_mov_b32 s3, exec_lo
	v_cmpx_neq_f64_e32 0, v[15:16]
	s_cbranch_execz .LBB13_49
; %bb.46:
	s_mov_b32 s4, exec_lo
	s_wait_dscnt 0x0
	v_cmpx_neq_f64_e32 0, v[7:8]
	s_cbranch_execz .LBB13_48
; %bb.47:
	v_add_f64_e32 v[1:2], v[15:16], v[7:8]
	v_add_f64_e64 v[13:14], v[13:14], -v[11:12]
	v_add_f64_e32 v[3:4], v[3:4], v[9:10]
	s_delay_alu instid0(VALU_DEP_3) | instskip(SKIP_1) | instid1(VALU_DEP_2)
	v_div_scale_f64 v[5:6], null, v[1:2], v[1:2], v[7:8]
	v_div_scale_f64 v[22:23], vcc_lo, v[7:8], v[1:2], v[7:8]
	v_rcp_f64_e32 v[18:19], v[5:6]
	s_delay_alu instid0(TRANS32_DEP_1) | instskip(NEXT) | instid1(VALU_DEP_1)
	v_fma_f64 v[20:21], -v[5:6], v[18:19], 1.0
	v_fma_f64 v[18:19], v[18:19], v[20:21], v[18:19]
	s_delay_alu instid0(VALU_DEP_1) | instskip(NEXT) | instid1(VALU_DEP_1)
	v_fma_f64 v[20:21], -v[5:6], v[18:19], 1.0
	v_fma_f64 v[18:19], v[18:19], v[20:21], v[18:19]
	s_delay_alu instid0(VALU_DEP_1) | instskip(NEXT) | instid1(VALU_DEP_1)
	v_mul_f64_e32 v[20:21], v[22:23], v[18:19]
	v_fma_f64 v[5:6], -v[5:6], v[20:21], v[22:23]
	s_wait_alu 0xfffd
	s_delay_alu instid0(VALU_DEP_1) | instskip(SKIP_1) | instid1(VALU_DEP_2)
	v_div_fmas_f64 v[5:6], v[5:6], v[18:19], v[20:21]
	v_mul_f64_e32 v[18:19], v[13:14], v[13:14]
	v_div_fixup_f64 v[5:6], v[5:6], v[1:2], v[7:8]
	s_delay_alu instid0(VALU_DEP_2) | instskip(SKIP_1) | instid1(VALU_DEP_3)
	v_mul_f64_e32 v[7:8], v[15:16], v[18:19]
	v_dual_mov_b32 v16, v2 :: v_dual_mov_b32 v15, v1
	v_fma_f64 v[11:12], v[13:14], v[5:6], v[11:12]
	s_delay_alu instid0(VALU_DEP_3)
	v_fma_f64 v[3:4], v[7:8], v[5:6], v[3:4]
.LBB13_48:
	s_wait_alu 0xfffe
	s_or_b32 exec_lo, exec_lo, s4
	v_dual_mov_b32 v7, v15 :: v_dual_mov_b32 v8, v16
	s_delay_alu instid0(VALU_DEP_2) | instskip(NEXT) | instid1(VALU_DEP_4)
	v_dual_mov_b32 v10, v4 :: v_dual_mov_b32 v9, v3
	v_dual_mov_b32 v14, v12 :: v_dual_mov_b32 v13, v11
.LBB13_49:
	s_wait_alu 0xfffe
	s_or_b32 exec_lo, exec_lo, s3
	s_wait_dscnt 0x5
	ds_bpermute_b32 v3, v17, v13
	s_wait_dscnt 0x5
	ds_bpermute_b32 v4, v17, v14
	;; [unrolled: 2-line block ×6, first 2 shown]
	s_mov_b32 s3, exec_lo
	v_cmpx_neq_f64_e32 0, v[7:8]
	s_cbranch_execz .LBB13_53
; %bb.50:
	s_mov_b32 s4, exec_lo
	s_wait_dscnt 0x0
	v_cmpx_neq_f64_e32 0, v[5:6]
	s_cbranch_execz .LBB13_52
; %bb.51:
	v_add_f64_e32 v[11:12], v[7:8], v[5:6]
	v_add_f64_e64 v[3:4], v[3:4], -v[13:14]
	v_add_f64_e32 v[1:2], v[9:10], v[1:2]
	s_delay_alu instid0(VALU_DEP_3) | instskip(SKIP_1) | instid1(VALU_DEP_2)
	v_div_scale_f64 v[15:16], null, v[11:12], v[11:12], v[5:6]
	v_div_scale_f64 v[21:22], vcc_lo, v[5:6], v[11:12], v[5:6]
	v_rcp_f64_e32 v[17:18], v[15:16]
	s_delay_alu instid0(TRANS32_DEP_1) | instskip(NEXT) | instid1(VALU_DEP_1)
	v_fma_f64 v[19:20], -v[15:16], v[17:18], 1.0
	v_fma_f64 v[17:18], v[17:18], v[19:20], v[17:18]
	s_delay_alu instid0(VALU_DEP_1) | instskip(NEXT) | instid1(VALU_DEP_1)
	v_fma_f64 v[19:20], -v[15:16], v[17:18], 1.0
	v_fma_f64 v[17:18], v[17:18], v[19:20], v[17:18]
	s_delay_alu instid0(VALU_DEP_1) | instskip(NEXT) | instid1(VALU_DEP_1)
	v_mul_f64_e32 v[19:20], v[21:22], v[17:18]
	v_fma_f64 v[15:16], -v[15:16], v[19:20], v[21:22]
	s_wait_alu 0xfffd
	s_delay_alu instid0(VALU_DEP_1) | instskip(SKIP_1) | instid1(VALU_DEP_2)
	v_div_fmas_f64 v[15:16], v[15:16], v[17:18], v[19:20]
	v_mul_f64_e32 v[17:18], v[3:4], v[3:4]
	v_div_fixup_f64 v[5:6], v[15:16], v[11:12], v[5:6]
	s_delay_alu instid0(VALU_DEP_2) | instskip(NEXT) | instid1(VALU_DEP_2)
	v_mul_f64_e32 v[7:8], v[7:8], v[17:18]
	v_fma_f64 v[13:14], v[3:4], v[5:6], v[13:14]
	s_delay_alu instid0(VALU_DEP_2)
	v_fma_f64 v[9:10], v[7:8], v[5:6], v[1:2]
	v_dual_mov_b32 v7, v11 :: v_dual_mov_b32 v8, v12
.LBB13_52:
	s_wait_alu 0xfffe
	s_or_b32 exec_lo, exec_lo, s4
	s_delay_alu instid0(VALU_DEP_1) | instskip(NEXT) | instid1(VALU_DEP_3)
	v_dual_mov_b32 v5, v7 :: v_dual_mov_b32 v6, v8
	v_dual_mov_b32 v1, v9 :: v_dual_mov_b32 v2, v10
	;; [unrolled: 1-line block ×3, first 2 shown]
.LBB13_53:
	s_wait_alu 0xfffe
	s_or_b32 exec_lo, exec_lo, s3
.LBB13_54:
	s_wait_alu 0xfffe
	s_or_b32 exec_lo, exec_lo, s2
	s_delay_alu instid0(SALU_CYCLE_1)
	s_mov_b32 s2, exec_lo
	v_cmpx_eq_u32_e32 0, v0
	s_cbranch_execz .LBB13_56
; %bb.55:
	s_wait_dscnt 0x0
	v_max_num_f64_e32 v[5:6], v[5:6], v[5:6]
	s_load_b64 s[0:1], s[0:1], 0x20
	s_lshl_b64 s[2:3], s[8:9], 3
	s_wait_kmcnt 0x0
	s_wait_alu 0xfffe
	s_add_nc_u64 s[0:1], s[0:1], s[2:3]
	s_delay_alu instid0(VALU_DEP_1) | instskip(NEXT) | instid1(VALU_DEP_1)
	v_max_num_f64_e32 v[5:6], 0, v[5:6]
	v_div_scale_f64 v[7:8], null, v[5:6], v[5:6], v[1:2]
	v_div_scale_f64 v[13:14], vcc_lo, v[1:2], v[5:6], v[1:2]
	s_delay_alu instid0(VALU_DEP_2) | instskip(NEXT) | instid1(TRANS32_DEP_1)
	v_rcp_f64_e32 v[9:10], v[7:8]
	v_fma_f64 v[11:12], -v[7:8], v[9:10], 1.0
	s_delay_alu instid0(VALU_DEP_1) | instskip(NEXT) | instid1(VALU_DEP_1)
	v_fma_f64 v[9:10], v[9:10], v[11:12], v[9:10]
	v_fma_f64 v[11:12], -v[7:8], v[9:10], 1.0
	s_delay_alu instid0(VALU_DEP_1) | instskip(NEXT) | instid1(VALU_DEP_1)
	v_fma_f64 v[9:10], v[9:10], v[11:12], v[9:10]
	v_mul_f64_e32 v[11:12], v[13:14], v[9:10]
	s_delay_alu instid0(VALU_DEP_1) | instskip(SKIP_1) | instid1(VALU_DEP_1)
	v_fma_f64 v[7:8], -v[7:8], v[11:12], v[13:14]
	s_wait_alu 0xfffd
	v_div_fmas_f64 v[7:8], v[7:8], v[9:10], v[11:12]
	s_delay_alu instid0(VALU_DEP_1) | instskip(NEXT) | instid1(VALU_DEP_1)
	v_div_fixup_f64 v[0:1], v[7:8], v[5:6], v[1:2]
	v_fma_f64 v[0:1], v[3:4], v[3:4], v[0:1]
	s_delay_alu instid0(VALU_DEP_1) | instskip(NEXT) | instid1(VALU_DEP_1)
	v_add_f64_e32 v[0:1], s[6:7], v[0:1]
	v_rsq_f64_e32 v[2:3], v[0:1]
	s_delay_alu instid0(TRANS32_DEP_1) | instskip(SKIP_1) | instid1(VALU_DEP_2)
	v_mul_f64_e64 v[0:1], v[2:3], -v[0:1]
	v_cmp_class_f64_e64 vcc_lo, v[2:3], 0x180
	v_fma_f64 v[0:1], v[0:1], v[2:3], 1.0
	s_delay_alu instid0(VALU_DEP_1) | instskip(SKIP_1) | instid1(VALU_DEP_1)
	v_mul_f64_e32 v[4:5], v[2:3], v[0:1]
	v_fma_f64 v[0:1], 0x3fd80000, v[0:1], 0.5
	v_fma_f64 v[0:1], v[4:5], v[0:1], v[2:3]
	s_wait_alu 0xfffd
	s_delay_alu instid0(VALU_DEP_1)
	v_dual_cndmask_b32 v1, v3, v1 :: v_dual_cndmask_b32 v0, v2, v0
	v_mov_b32_e32 v2, 0
	global_store_b64 v2, v[0:1], s[0:1]
.LBB13_56:
	s_endpgm
	.section	.rodata,"a",@progbits
	.p2align	6, 0x0
	.amdhsa_kernel _ZN2at6native12_GLOBAL__N_124RowwiseMomentsCUDAKernelIddLb1EEEvlT0_PKT_PS3_S7_
		.amdhsa_group_segment_fixed_size 1024
		.amdhsa_private_segment_fixed_size 0
		.amdhsa_kernarg_size 296
		.amdhsa_user_sgpr_count 2
		.amdhsa_user_sgpr_dispatch_ptr 0
		.amdhsa_user_sgpr_queue_ptr 0
		.amdhsa_user_sgpr_kernarg_segment_ptr 1
		.amdhsa_user_sgpr_dispatch_id 0
		.amdhsa_user_sgpr_private_segment_size 0
		.amdhsa_wavefront_size32 1
		.amdhsa_uses_dynamic_stack 0
		.amdhsa_enable_private_segment 0
		.amdhsa_system_sgpr_workgroup_id_x 1
		.amdhsa_system_sgpr_workgroup_id_y 0
		.amdhsa_system_sgpr_workgroup_id_z 0
		.amdhsa_system_sgpr_workgroup_info 0
		.amdhsa_system_vgpr_workitem_id 0
		.amdhsa_next_free_vgpr 30
		.amdhsa_next_free_sgpr 15
		.amdhsa_reserve_vcc 1
		.amdhsa_float_round_mode_32 0
		.amdhsa_float_round_mode_16_64 0
		.amdhsa_float_denorm_mode_32 3
		.amdhsa_float_denorm_mode_16_64 3
		.amdhsa_fp16_overflow 0
		.amdhsa_workgroup_processor_mode 1
		.amdhsa_memory_ordered 1
		.amdhsa_forward_progress 1
		.amdhsa_inst_pref_size 34
		.amdhsa_round_robin_scheduling 0
		.amdhsa_exception_fp_ieee_invalid_op 0
		.amdhsa_exception_fp_denorm_src 0
		.amdhsa_exception_fp_ieee_div_zero 0
		.amdhsa_exception_fp_ieee_overflow 0
		.amdhsa_exception_fp_ieee_underflow 0
		.amdhsa_exception_fp_ieee_inexact 0
		.amdhsa_exception_int_div_zero 0
	.end_amdhsa_kernel
	.section	.text._ZN2at6native12_GLOBAL__N_124RowwiseMomentsCUDAKernelIddLb1EEEvlT0_PKT_PS3_S7_,"axG",@progbits,_ZN2at6native12_GLOBAL__N_124RowwiseMomentsCUDAKernelIddLb1EEEvlT0_PKT_PS3_S7_,comdat
.Lfunc_end13:
	.size	_ZN2at6native12_GLOBAL__N_124RowwiseMomentsCUDAKernelIddLb1EEEvlT0_PKT_PS3_S7_, .Lfunc_end13-_ZN2at6native12_GLOBAL__N_124RowwiseMomentsCUDAKernelIddLb1EEEvlT0_PKT_PS3_S7_
                                        ; -- End function
	.set _ZN2at6native12_GLOBAL__N_124RowwiseMomentsCUDAKernelIddLb1EEEvlT0_PKT_PS3_S7_.num_vgpr, 30
	.set _ZN2at6native12_GLOBAL__N_124RowwiseMomentsCUDAKernelIddLb1EEEvlT0_PKT_PS3_S7_.num_agpr, 0
	.set _ZN2at6native12_GLOBAL__N_124RowwiseMomentsCUDAKernelIddLb1EEEvlT0_PKT_PS3_S7_.numbered_sgpr, 15
	.set _ZN2at6native12_GLOBAL__N_124RowwiseMomentsCUDAKernelIddLb1EEEvlT0_PKT_PS3_S7_.num_named_barrier, 0
	.set _ZN2at6native12_GLOBAL__N_124RowwiseMomentsCUDAKernelIddLb1EEEvlT0_PKT_PS3_S7_.private_seg_size, 0
	.set _ZN2at6native12_GLOBAL__N_124RowwiseMomentsCUDAKernelIddLb1EEEvlT0_PKT_PS3_S7_.uses_vcc, 1
	.set _ZN2at6native12_GLOBAL__N_124RowwiseMomentsCUDAKernelIddLb1EEEvlT0_PKT_PS3_S7_.uses_flat_scratch, 0
	.set _ZN2at6native12_GLOBAL__N_124RowwiseMomentsCUDAKernelIddLb1EEEvlT0_PKT_PS3_S7_.has_dyn_sized_stack, 0
	.set _ZN2at6native12_GLOBAL__N_124RowwiseMomentsCUDAKernelIddLb1EEEvlT0_PKT_PS3_S7_.has_recursion, 0
	.set _ZN2at6native12_GLOBAL__N_124RowwiseMomentsCUDAKernelIddLb1EEEvlT0_PKT_PS3_S7_.has_indirect_call, 0
	.section	.AMDGPU.csdata,"",@progbits
; Kernel info:
; codeLenInByte = 4272
; TotalNumSgprs: 17
; NumVgprs: 30
; ScratchSize: 0
; MemoryBound: 0
; FloatMode: 240
; IeeeMode: 1
; LDSByteSize: 1024 bytes/workgroup (compile time only)
; SGPRBlocks: 0
; VGPRBlocks: 3
; NumSGPRsForWavesPerEU: 17
; NumVGPRsForWavesPerEU: 30
; Occupancy: 16
; WaveLimiterHint : 0
; COMPUTE_PGM_RSRC2:SCRATCH_EN: 0
; COMPUTE_PGM_RSRC2:USER_SGPR: 2
; COMPUTE_PGM_RSRC2:TRAP_HANDLER: 0
; COMPUTE_PGM_RSRC2:TGID_X_EN: 1
; COMPUTE_PGM_RSRC2:TGID_Y_EN: 0
; COMPUTE_PGM_RSRC2:TGID_Z_EN: 0
; COMPUTE_PGM_RSRC2:TIDIG_COMP_CNT: 0
	.section	.text._ZN2at6native12_GLOBAL__N_126LayerNormForwardCUDAKernelIddLb1EEEvlPKT_PKT0_S8_S5_S5_PS3_,"axG",@progbits,_ZN2at6native12_GLOBAL__N_126LayerNormForwardCUDAKernelIddLb1EEEvlPKT_PKT0_S8_S5_S5_PS3_,comdat
	.globl	_ZN2at6native12_GLOBAL__N_126LayerNormForwardCUDAKernelIddLb1EEEvlPKT_PKT0_S8_S5_S5_PS3_ ; -- Begin function _ZN2at6native12_GLOBAL__N_126LayerNormForwardCUDAKernelIddLb1EEEvlPKT_PKT0_S8_S5_S5_PS3_
	.p2align	8
	.type	_ZN2at6native12_GLOBAL__N_126LayerNormForwardCUDAKernelIddLb1EEEvlPKT_PKT0_S8_S5_S5_PS3_,@function
_ZN2at6native12_GLOBAL__N_126LayerNormForwardCUDAKernelIddLb1EEEvlPKT_PKT0_S8_S5_S5_PS3_: ; @_ZN2at6native12_GLOBAL__N_126LayerNormForwardCUDAKernelIddLb1EEEvlPKT_PKT0_S8_S5_S5_PS3_
; %bb.0:
	s_load_b128 s[4:7], s[0:1], 0x0
	v_mov_b32_e32 v1, 0
	s_mov_b32 s2, exec_lo
	s_wait_kmcnt 0x0
	s_delay_alu instid0(VALU_DEP_1)
	v_cmpx_gt_i64_e64 s[4:5], v[0:1]
	s_cbranch_execz .LBB14_6
; %bb.1:
	s_clause 0x2
	s_load_b128 s[8:11], s[0:1], 0x18
	s_load_b32 s18, s[0:1], 0x44
	s_load_b64 s[12:13], s[0:1], 0x30
	s_mov_b32 s2, ttmp9
	s_mov_b32 s3, 0
	v_dual_mov_b32 v7, v1 :: v_dual_lshlrev_b32 v6, 3, v0
	s_mul_u64 s[14:15], s[4:5], s[2:3]
	v_dual_mov_b32 v3, v1 :: v_dual_mov_b32 v2, v0
	s_wait_kmcnt 0x0
	s_cmp_lg_u64 s[10:11], 0
	s_cselect_b32 s1, -1, 0
	s_lshl_b64 s[16:17], s[2:3], 3
	s_and_b32 s2, s18, 0xffff
	s_lshl_b64 s[18:19], s[14:15], 3
	s_add_nc_u64 s[8:9], s[8:9], s[16:17]
	s_add_nc_u64 s[6:7], s[6:7], s[18:19]
	s_lshl_b32 s14, s2, 3
	s_add_nc_u64 s[12:13], s[12:13], s[18:19]
	s_branch .LBB14_4
.LBB14_2:                               ;   in Loop: Header=BB14_4 Depth=1
	v_add_co_u32 v4, vcc_lo, s10, v6
	s_wait_alu 0xfffd
	v_add_co_ci_u32_e64 v5, null, s11, v7, vcc_lo
	global_load_b64 v[4:5], v[4:5], off
.LBB14_3:                               ;   in Loop: Header=BB14_4 Depth=1
	v_add_co_u32 v8, vcc_lo, s6, v6
	s_wait_alu 0xfffd
	v_add_co_ci_u32_e64 v9, null, s7, v7, vcc_lo
	v_add_co_u32 v2, vcc_lo, v2, s2
	s_wait_alu 0xfffd
	v_add_co_ci_u32_e64 v3, null, 0, v3, vcc_lo
	global_load_b64 v[8:9], v[8:9], off
	global_load_b64 v[10:11], v1, s[8:9]
	s_wait_loadcnt 0x0
	v_mul_f64_e32 v[8:9], v[8:9], v[10:11]
	s_delay_alu instid0(VALU_DEP_1)
	v_mul_f64_e32 v[4:5], v[4:5], v[8:9]
	v_add_co_u32 v8, vcc_lo, s12, v6
	s_wait_alu 0xfffd
	v_add_co_ci_u32_e64 v9, null, s13, v7, vcc_lo
	v_cmp_le_i64_e32 vcc_lo, s[4:5], v[2:3]
	v_add_co_u32 v6, s0, v6, s14
	s_wait_alu 0xf1ff
	v_add_co_ci_u32_e64 v7, null, 0, v7, s0
	s_or_b32 s3, vcc_lo, s3
	global_store_b64 v[8:9], v[4:5], off
	s_wait_alu 0xfffe
	s_and_not1_b32 exec_lo, exec_lo, s3
	s_cbranch_execz .LBB14_6
.LBB14_4:                               ; =>This Inner Loop Header: Depth=1
	s_and_not1_b32 vcc_lo, exec_lo, s1
	s_wait_alu 0xfffe
	s_cbranch_vccz .LBB14_2
; %bb.5:                                ;   in Loop: Header=BB14_4 Depth=1
	v_mov_b32_e32 v4, 0
	v_mov_b32_e32 v5, 0x3ff00000
	s_branch .LBB14_3
.LBB14_6:
	s_endpgm
	.section	.rodata,"a",@progbits
	.p2align	6, 0x0
	.amdhsa_kernel _ZN2at6native12_GLOBAL__N_126LayerNormForwardCUDAKernelIddLb1EEEvlPKT_PKT0_S8_S5_S5_PS3_
		.amdhsa_group_segment_fixed_size 0
		.amdhsa_private_segment_fixed_size 0
		.amdhsa_kernarg_size 312
		.amdhsa_user_sgpr_count 2
		.amdhsa_user_sgpr_dispatch_ptr 0
		.amdhsa_user_sgpr_queue_ptr 0
		.amdhsa_user_sgpr_kernarg_segment_ptr 1
		.amdhsa_user_sgpr_dispatch_id 0
		.amdhsa_user_sgpr_private_segment_size 0
		.amdhsa_wavefront_size32 1
		.amdhsa_uses_dynamic_stack 0
		.amdhsa_enable_private_segment 0
		.amdhsa_system_sgpr_workgroup_id_x 1
		.amdhsa_system_sgpr_workgroup_id_y 0
		.amdhsa_system_sgpr_workgroup_id_z 0
		.amdhsa_system_sgpr_workgroup_info 0
		.amdhsa_system_vgpr_workitem_id 0
		.amdhsa_next_free_vgpr 12
		.amdhsa_next_free_sgpr 20
		.amdhsa_reserve_vcc 1
		.amdhsa_float_round_mode_32 0
		.amdhsa_float_round_mode_16_64 0
		.amdhsa_float_denorm_mode_32 3
		.amdhsa_float_denorm_mode_16_64 3
		.amdhsa_fp16_overflow 0
		.amdhsa_workgroup_processor_mode 1
		.amdhsa_memory_ordered 1
		.amdhsa_forward_progress 1
		.amdhsa_inst_pref_size 3
		.amdhsa_round_robin_scheduling 0
		.amdhsa_exception_fp_ieee_invalid_op 0
		.amdhsa_exception_fp_denorm_src 0
		.amdhsa_exception_fp_ieee_div_zero 0
		.amdhsa_exception_fp_ieee_overflow 0
		.amdhsa_exception_fp_ieee_underflow 0
		.amdhsa_exception_fp_ieee_inexact 0
		.amdhsa_exception_int_div_zero 0
	.end_amdhsa_kernel
	.section	.text._ZN2at6native12_GLOBAL__N_126LayerNormForwardCUDAKernelIddLb1EEEvlPKT_PKT0_S8_S5_S5_PS3_,"axG",@progbits,_ZN2at6native12_GLOBAL__N_126LayerNormForwardCUDAKernelIddLb1EEEvlPKT_PKT0_S8_S5_S5_PS3_,comdat
.Lfunc_end14:
	.size	_ZN2at6native12_GLOBAL__N_126LayerNormForwardCUDAKernelIddLb1EEEvlPKT_PKT0_S8_S5_S5_PS3_, .Lfunc_end14-_ZN2at6native12_GLOBAL__N_126LayerNormForwardCUDAKernelIddLb1EEEvlPKT_PKT0_S8_S5_S5_PS3_
                                        ; -- End function
	.set _ZN2at6native12_GLOBAL__N_126LayerNormForwardCUDAKernelIddLb1EEEvlPKT_PKT0_S8_S5_S5_PS3_.num_vgpr, 12
	.set _ZN2at6native12_GLOBAL__N_126LayerNormForwardCUDAKernelIddLb1EEEvlPKT_PKT0_S8_S5_S5_PS3_.num_agpr, 0
	.set _ZN2at6native12_GLOBAL__N_126LayerNormForwardCUDAKernelIddLb1EEEvlPKT_PKT0_S8_S5_S5_PS3_.numbered_sgpr, 20
	.set _ZN2at6native12_GLOBAL__N_126LayerNormForwardCUDAKernelIddLb1EEEvlPKT_PKT0_S8_S5_S5_PS3_.num_named_barrier, 0
	.set _ZN2at6native12_GLOBAL__N_126LayerNormForwardCUDAKernelIddLb1EEEvlPKT_PKT0_S8_S5_S5_PS3_.private_seg_size, 0
	.set _ZN2at6native12_GLOBAL__N_126LayerNormForwardCUDAKernelIddLb1EEEvlPKT_PKT0_S8_S5_S5_PS3_.uses_vcc, 1
	.set _ZN2at6native12_GLOBAL__N_126LayerNormForwardCUDAKernelIddLb1EEEvlPKT_PKT0_S8_S5_S5_PS3_.uses_flat_scratch, 0
	.set _ZN2at6native12_GLOBAL__N_126LayerNormForwardCUDAKernelIddLb1EEEvlPKT_PKT0_S8_S5_S5_PS3_.has_dyn_sized_stack, 0
	.set _ZN2at6native12_GLOBAL__N_126LayerNormForwardCUDAKernelIddLb1EEEvlPKT_PKT0_S8_S5_S5_PS3_.has_recursion, 0
	.set _ZN2at6native12_GLOBAL__N_126LayerNormForwardCUDAKernelIddLb1EEEvlPKT_PKT0_S8_S5_S5_PS3_.has_indirect_call, 0
	.section	.AMDGPU.csdata,"",@progbits
; Kernel info:
; codeLenInByte = 356
; TotalNumSgprs: 22
; NumVgprs: 12
; ScratchSize: 0
; MemoryBound: 0
; FloatMode: 240
; IeeeMode: 1
; LDSByteSize: 0 bytes/workgroup (compile time only)
; SGPRBlocks: 0
; VGPRBlocks: 1
; NumSGPRsForWavesPerEU: 22
; NumVGPRsForWavesPerEU: 12
; Occupancy: 16
; WaveLimiterHint : 0
; COMPUTE_PGM_RSRC2:SCRATCH_EN: 0
; COMPUTE_PGM_RSRC2:USER_SGPR: 2
; COMPUTE_PGM_RSRC2:TRAP_HANDLER: 0
; COMPUTE_PGM_RSRC2:TGID_X_EN: 1
; COMPUTE_PGM_RSRC2:TGID_Y_EN: 0
; COMPUTE_PGM_RSRC2:TGID_Z_EN: 0
; COMPUTE_PGM_RSRC2:TIDIG_COMP_CNT: 0
	.section	.text._ZN2at6native12_GLOBAL__N_128vectorized_layer_norm_kernelIffLb1EEEviT0_PKT_S6_S6_PS3_S7_PS4_,"axG",@progbits,_ZN2at6native12_GLOBAL__N_128vectorized_layer_norm_kernelIffLb1EEEviT0_PKT_S6_S6_PS3_S7_PS4_,comdat
	.globl	_ZN2at6native12_GLOBAL__N_128vectorized_layer_norm_kernelIffLb1EEEviT0_PKT_S6_S6_PS3_S7_PS4_ ; -- Begin function _ZN2at6native12_GLOBAL__N_128vectorized_layer_norm_kernelIffLb1EEEviT0_PKT_S6_S6_PS3_S7_PS4_
	.p2align	8
	.type	_ZN2at6native12_GLOBAL__N_128vectorized_layer_norm_kernelIffLb1EEEviT0_PKT_S6_S6_PS3_S7_PS4_,@function
_ZN2at6native12_GLOBAL__N_128vectorized_layer_norm_kernelIffLb1EEEviT0_PKT_S6_S6_PS3_S7_PS4_: ; @_ZN2at6native12_GLOBAL__N_128vectorized_layer_norm_kernelIffLb1EEEviT0_PKT_S6_S6_PS3_S7_PS4_
; %bb.0:
	s_clause 0x1
	s_load_b32 s3, s[0:1], 0x44
	s_load_b128 s[8:11], s[0:1], 0x0
	v_bfe_u32 v2, v0, 10, 10
	v_dual_mov_b32 v4, 0 :: v_dual_and_b32 v3, 0x3ff, v0
	s_mov_b32 s12, ttmp9
	s_mov_b32 s13, 0
	s_wait_kmcnt 0x0
	s_and_b32 s7, s3, 0xffff
	s_ashr_i32 s5, s8, 31
	v_mul_u32_u24_e32 v0, s7, v2
	s_lshr_b32 s2, s5, 30
	v_mad_u32_u24 v10, v2, s7, v3
	s_add_co_i32 s2, s8, s2
	s_mov_b32 s4, s8
	s_ashr_i32 s18, s2, 2
	v_add_lshl_u32 v11, v0, v3, 4
	v_cmp_gt_i32_e64 s2, s18, v10
	s_lshr_b32 s6, s3, 16
	s_mul_u64 s[16:17], s[4:5], s[12:13]
	s_wait_alu 0xfffe
	s_mul_i32 s14, s6, s7
	s_and_saveexec_b32 s7, s2
	s_cbranch_execz .LBB15_4
; %bb.1:
	s_lshl_b64 s[4:5], s[16:17], 2
	v_dual_mov_b32 v4, 0 :: v_dual_mov_b32 v5, v10
	s_add_nc_u64 s[4:5], s[10:11], s[4:5]
	s_ashr_i32 s15, s14, 31
	v_add_co_u32 v0, s3, s4, v11
	s_delay_alu instid0(VALU_DEP_1) | instskip(SKIP_2) | instid1(VALU_DEP_1)
	v_add_co_ci_u32_e64 v1, null, s5, 0, s3
	s_lshl_b64 s[4:5], s[14:15], 4
	v_add_co_u32 v0, vcc_lo, v0, 8
	v_add_co_ci_u32_e64 v1, null, 0, v1, vcc_lo
	s_mov_b32 s15, s13
.LBB15_2:                               ; =>This Inner Loop Header: Depth=1
	global_load_b128 v[6:9], v[0:1], off offset:-8
	s_wait_alu 0xfffe
	v_add_co_u32 v0, vcc_lo, v0, s4
	s_wait_alu 0xfffd
	v_add_co_ci_u32_e64 v1, null, s5, v1, vcc_lo
	v_add_nc_u32_e32 v5, s14, v5
	s_delay_alu instid0(VALU_DEP_1) | instskip(SKIP_3) | instid1(VALU_DEP_1)
	v_cmp_le_i32_e64 s3, s18, v5
	s_or_b32 s15, s3, s15
	s_wait_loadcnt 0x0
	v_fmac_f32_e32 v4, v6, v6
	v_fmac_f32_e32 v4, v7, v7
	s_delay_alu instid0(VALU_DEP_1) | instskip(NEXT) | instid1(VALU_DEP_1)
	v_fmac_f32_e32 v4, v8, v8
	v_fmac_f32_e32 v4, v9, v9
	s_wait_alu 0xfffe
	s_and_not1_b32 exec_lo, exec_lo, s15
	s_cbranch_execnz .LBB15_2
; %bb.3:
	s_or_b32 exec_lo, exec_lo, s15
.LBB15_4:
	s_wait_alu 0xfffe
	s_or_b32 exec_lo, exec_lo, s7
	v_mbcnt_lo_u32_b32 v0, -1, 0
	s_cmp_lt_u32 s6, 2
	s_mov_b32 s3, -1
                                        ; implicit-def: $vgpr9
	s_delay_alu instid0(VALU_DEP_1) | instskip(SKIP_1) | instid1(VALU_DEP_2)
	v_lshlrev_b32_e32 v1, 2, v0
	v_cmp_gt_u32_e32 vcc_lo, 24, v0
	v_or_b32_e32 v1, 64, v1
	s_wait_alu 0xfffd
	v_cndmask_b32_e64 v5, 0, 8, vcc_lo
	v_cmp_gt_u32_e32 vcc_lo, 28, v0
	ds_bpermute_b32 v1, v1, v4
	v_add_lshl_u32 v5, v5, v0, 2
	s_wait_dscnt 0x0
	v_add_f32_e32 v1, v4, v1
	ds_bpermute_b32 v4, v5, v1
	s_wait_alu 0xfffd
	v_cndmask_b32_e64 v5, 0, 4, vcc_lo
	v_cmp_gt_u32_e32 vcc_lo, 30, v0
	s_delay_alu instid0(VALU_DEP_2)
	v_add_lshl_u32 v5, v5, v0, 2
	s_wait_dscnt 0x0
	v_add_f32_e32 v1, v1, v4
	ds_bpermute_b32 v4, v5, v1
	s_wait_alu 0xfffd
	v_cndmask_b32_e64 v5, 0, 2, vcc_lo
	v_cmp_ne_u32_e32 vcc_lo, 31, v0
	s_delay_alu instid0(VALU_DEP_2) | instskip(SKIP_2) | instid1(VALU_DEP_1)
	v_add_lshl_u32 v5, v5, v0, 2
	s_wait_alu 0xfffd
	v_add_co_ci_u32_e64 v0, null, 0, v0, vcc_lo
	v_lshlrev_b32_e32 v0, 2, v0
	s_wait_dscnt 0x0
	v_add_f32_e32 v1, v1, v4
	ds_bpermute_b32 v4, v5, v1
	s_wait_dscnt 0x0
	v_add_f32_e32 v1, v1, v4
	ds_bpermute_b32 v0, v0, v1
	s_wait_dscnt 0x0
	v_add_f32_e32 v0, v1, v0
	s_cbranch_scc0 .LBB15_6
; %bb.5:
	v_mov_b32_e32 v1, 0
	s_cvt_f32_i32 s3, s8
	ds_bpermute_b32 v1, v1, v0
	s_wait_dscnt 0x0
	s_wait_alu 0xfffe
	v_div_scale_f32 v4, null, s3, s3, v1
	s_delay_alu instid0(VALU_DEP_1) | instskip(NEXT) | instid1(TRANS32_DEP_1)
	v_rcp_f32_e32 v5, v4
	v_fma_f32 v6, -v4, v5, 1.0
	s_delay_alu instid0(VALU_DEP_1) | instskip(SKIP_1) | instid1(VALU_DEP_1)
	v_fmac_f32_e32 v5, v6, v5
	v_div_scale_f32 v6, vcc_lo, v1, s3, v1
	v_mul_f32_e32 v7, v6, v5
	s_delay_alu instid0(VALU_DEP_1) | instskip(NEXT) | instid1(VALU_DEP_1)
	v_fma_f32 v8, -v4, v7, v6
	v_fmac_f32_e32 v7, v8, v5
	s_delay_alu instid0(VALU_DEP_1) | instskip(SKIP_1) | instid1(VALU_DEP_1)
	v_fma_f32 v4, -v4, v7, v6
	s_wait_alu 0xfffd
	v_div_fmas_f32 v4, v4, v5, v7
	s_delay_alu instid0(VALU_DEP_1)
	v_div_fixup_f32 v9, v4, s3, v1
	s_mov_b32 s3, 0
.LBB15_6:
	v_mov_b32_e32 v8, 0
	s_wait_alu 0xfffe
	s_and_not1_b32 vcc_lo, exec_lo, s3
	s_wait_alu 0xfffe
	s_cbranch_vccnz .LBB15_17
; %bb.7:
	v_dual_mov_b32 v4, 0 :: v_dual_lshlrev_b32 v1, 3, v2
	s_lshl_b32 s3, s6, 2
	v_cmp_eq_u32_e32 vcc_lo, 0, v3
	s_wait_alu 0xfffe
	s_add_co_i32 s5, s3, 0
	v_add_nc_u32_e32 v1, 0, v1
.LBB15_8:                               ; =>This Inner Loop Header: Depth=1
	s_wait_alu 0xfffe
	s_lshr_b32 s7, s6, 1
	s_and_b32 s4, s6, 0xfffe
	s_wait_alu 0xfffe
	v_cmp_le_u32_e64 s3, s7, v2
	v_cmp_gt_u32_e64 s4, s4, v2
	s_and_b32 s3, vcc_lo, s3
	s_wait_alu 0xfffe
	s_and_b32 s4, s3, s4
	s_wait_alu 0xfffe
	s_and_saveexec_b32 s3, s4
	s_cbranch_execz .LBB15_10
; %bb.9:                                ;   in Loop: Header=BB15_8 Depth=1
	v_subrev_nc_u32_e32 v5, s7, v2
	s_delay_alu instid0(VALU_DEP_1)
	v_lshl_add_u32 v6, v5, 3, 0
	v_lshl_add_u32 v5, v5, 2, s5
	ds_store_2addr_b32 v6, v4, v0 offset1:1
	ds_store_b32 v5, v4
.LBB15_10:                              ;   in Loop: Header=BB15_8 Depth=1
	s_wait_alu 0xfffe
	s_or_b32 exec_lo, exec_lo, s3
	v_cmp_gt_u32_e64 s3, s7, v2
	s_wait_dscnt 0x0
	s_barrier_signal -1
	s_barrier_wait -1
	global_inv scope:SCOPE_SE
	s_and_b32 s4, vcc_lo, s3
	s_wait_alu 0xfffe
	s_and_saveexec_b32 s3, s4
	s_cbranch_execz .LBB15_12
; %bb.11:                               ;   in Loop: Header=BB15_8 Depth=1
	ds_load_b32 v5, v1 offset:4
	s_wait_dscnt 0x0
	v_add_f32_e32 v0, v0, v5
.LBB15_12:                              ;   in Loop: Header=BB15_8 Depth=1
	s_wait_alu 0xfffe
	s_or_b32 exec_lo, exec_lo, s3
	s_cmp_lt_u32 s6, 4
	s_wait_loadcnt 0x0
	s_barrier_signal -1
	s_barrier_wait -1
	global_inv scope:SCOPE_SE
	s_cbranch_scc1 .LBB15_14
; %bb.13:                               ;   in Loop: Header=BB15_8 Depth=1
	s_mov_b32 s6, s7
	s_branch .LBB15_8
.LBB15_14:
	v_or_b32_e32 v1, v3, v2
	s_mov_b32 s3, exec_lo
	s_delay_alu instid0(VALU_DEP_1)
	v_cmpx_eq_u32_e32 0, v1
	s_cbranch_execz .LBB15_16
; %bb.15:
	s_cvt_f32_i32 s4, s8
	s_wait_alu 0xfffe
	s_delay_alu instid0(SALU_CYCLE_2) | instskip(SKIP_1) | instid1(VALU_DEP_2)
	v_div_scale_f32 v1, null, s4, s4, v0
	v_div_scale_f32 v4, vcc_lo, v0, s4, v0
	v_rcp_f32_e32 v2, v1
	s_delay_alu instid0(TRANS32_DEP_1) | instskip(NEXT) | instid1(VALU_DEP_1)
	v_fma_f32 v3, -v1, v2, 1.0
	v_fmac_f32_e32 v2, v3, v2
	s_delay_alu instid0(VALU_DEP_1) | instskip(NEXT) | instid1(VALU_DEP_1)
	v_mul_f32_e32 v3, v4, v2
	v_fma_f32 v5, -v1, v3, v4
	s_delay_alu instid0(VALU_DEP_1) | instskip(NEXT) | instid1(VALU_DEP_1)
	v_fmac_f32_e32 v3, v5, v2
	v_fma_f32 v1, -v1, v3, v4
	s_wait_alu 0xfffd
	s_delay_alu instid0(VALU_DEP_1) | instskip(NEXT) | instid1(VALU_DEP_1)
	v_div_fmas_f32 v1, v1, v2, v3
	v_div_fixup_f32 v0, v1, s4, v0
	v_mov_b32_e32 v1, 0
	ds_store_2addr_b32 v1, v1, v0 offset1:1
.LBB15_16:
	s_wait_alu 0xfffe
	s_or_b32 exec_lo, exec_lo, s3
	v_mov_b32_e32 v0, 0
	s_wait_loadcnt_dscnt 0x0
	s_barrier_signal -1
	s_barrier_wait -1
	global_inv scope:SCOPE_SE
	ds_load_2addr_b32 v[8:9], v0 offset1:1
.LBB15_17:
	s_wait_dscnt 0x0
	v_add_f32_e32 v0, s9, v9
	s_load_b128 s[4:7], s[0:1], 0x28
	s_delay_alu instid0(VALU_DEP_1) | instskip(SKIP_2) | instid1(VALU_DEP_2)
	v_mul_f32_e32 v1, 0x4b800000, v0
	v_cmp_gt_f32_e32 vcc_lo, 0x800000, v0
	s_wait_alu 0xfffd
	v_cndmask_b32_e32 v0, v0, v1, vcc_lo
	s_delay_alu instid0(VALU_DEP_1) | instskip(NEXT) | instid1(TRANS32_DEP_1)
	v_rsq_f32_e32 v0, v0
	v_mul_f32_e32 v1, 0x45800000, v0
	s_delay_alu instid0(VALU_DEP_1)
	v_cndmask_b32_e32 v9, v0, v1, vcc_lo
	s_and_saveexec_b32 s19, s2
	s_cbranch_execz .LBB15_32
; %bb.18:
	s_load_b128 s[0:3], s[0:1], 0x10
	v_mov_b32_e32 v12, v10
	s_wait_kmcnt 0x0
	s_cmp_eq_u64 s[0:1], 0
	s_cselect_b32 s20, -1, 0
	s_cmp_eq_u64 s[2:3], 0
	s_cselect_b32 s21, -1, 0
	s_lshl_b64 s[8:9], s[16:17], 2
	v_cndmask_b32_e64 v13, 0, 1, s21
	s_ashr_i32 s15, s14, 31
	s_wait_alu 0xfffe
	s_add_nc_u64 s[6:7], s[6:7], s[8:9]
	s_add_nc_u64 s[8:9], s[10:11], s[8:9]
	s_or_b32 s16, s20, s21
	s_lshl_b64 s[10:11], s[14:15], 4
	s_mov_b32 s15, 0
	s_branch .LBB15_20
.LBB15_19:                              ;   in Loop: Header=BB15_20 Depth=1
	v_add_nc_u32_e32 v12, s14, v12
	s_wait_loadcnt 0x0
	v_add_co_u32 v0, s17, s6, v11
	s_wait_alu 0xf1ff
	v_add_co_ci_u32_e64 v1, null, s7, 0, s17
	v_cmp_le_i32_e32 vcc_lo, s18, v12
	s_add_nc_u64 s[6:7], s[6:7], s[10:11]
	s_add_nc_u64 s[8:9], s[8:9], s[10:11]
	;; [unrolled: 1-line block ×4, first 2 shown]
	s_or_b32 s15, vcc_lo, s15
	global_store_b128 v[0:1], v[4:7], off
	s_wait_alu 0xfffe
	s_and_not1_b32 exec_lo, exec_lo, s15
	s_cbranch_execz .LBB15_32
.LBB15_20:                              ; =>This Inner Loop Header: Depth=1
	s_wait_alu 0xfffe
	v_add_co_u32 v0, s17, s8, v11
	s_wait_alu 0xf1ff
	v_add_co_ci_u32_e64 v1, null, s9, 0, s17
	s_and_b32 vcc_lo, exec_lo, s16
	s_mov_b32 s17, -1
                                        ; implicit-def: $vgpr4
	global_load_b128 v[0:3], v[0:1], off
	s_wait_alu 0xfffe
	s_cbranch_vccz .LBB15_30
; %bb.21:                               ;   in Loop: Header=BB15_20 Depth=1
	s_and_b32 vcc_lo, exec_lo, s20
                                        ; implicit-def: $vgpr4
	s_wait_alu 0xfffe
	s_cbranch_vccz .LBB15_27
; %bb.22:                               ;   in Loop: Header=BB15_20 Depth=1
	v_cmp_ne_u32_e32 vcc_lo, 1, v13
                                        ; implicit-def: $vgpr4
	s_cbranch_vccnz .LBB15_24
; %bb.23:                               ;   in Loop: Header=BB15_20 Depth=1
	s_wait_loadcnt 0x0
	v_mul_f32_e32 v4, v9, v0
	v_mul_f32_e32 v5, v9, v1
	;; [unrolled: 1-line block ×4, first 2 shown]
	s_mov_b32 s17, 0
.LBB15_24:                              ;   in Loop: Header=BB15_20 Depth=1
	s_wait_alu 0xfffe
	s_and_not1_b32 vcc_lo, exec_lo, s17
	s_wait_alu 0xfffe
	s_cbranch_vccnz .LBB15_26
; %bb.25:                               ;   in Loop: Header=BB15_20 Depth=1
	v_add_co_u32 v4, s17, s2, v11
	s_wait_alu 0xf1ff
	v_add_co_ci_u32_e64 v5, null, s3, 0, s17
	s_wait_loadcnt 0x0
	v_sub_f32_e32 v15, v1, v8
	v_sub_f32_e32 v16, v2, v8
	;; [unrolled: 1-line block ×3, first 2 shown]
	global_load_b128 v[4:7], v[4:5], off
	s_wait_loadcnt 0x0
	v_dual_sub_f32 v14, v0, v8 :: v_dual_fmac_f32 v7, v9, v17
	s_delay_alu instid0(VALU_DEP_1)
	v_fma_f32 v4, v9, v14, v4
	v_fma_f32 v5, v9, v15, v5
	v_fma_f32 v6, v9, v16, v6
.LBB15_26:                              ;   in Loop: Header=BB15_20 Depth=1
	s_mov_b32 s17, 0
.LBB15_27:                              ;   in Loop: Header=BB15_20 Depth=1
	s_wait_alu 0xfffe
	s_and_not1_b32 vcc_lo, exec_lo, s17
	s_wait_alu 0xfffe
	s_cbranch_vccnz .LBB15_29
; %bb.28:                               ;   in Loop: Header=BB15_20 Depth=1
	v_add_co_u32 v4, s17, s0, v11
	s_wait_alu 0xf1ff
	v_add_co_ci_u32_e64 v5, null, s1, 0, s17
	s_wait_loadcnt 0x0
	v_mul_f32_e32 v16, v9, v2
	global_load_b128 v[4:7], v[4:5], off
	v_mul_f32_e32 v15, v9, v1
	v_mul_f32_e32 v14, v9, v0
	s_wait_loadcnt 0x0
	v_dual_mul_f32 v17, v9, v3 :: v_dual_mul_f32 v6, v16, v6
	s_delay_alu instid0(VALU_DEP_2) | instskip(NEXT) | instid1(VALU_DEP_2)
	v_dual_mul_f32 v5, v15, v5 :: v_dual_mul_f32 v4, v14, v4
	v_mul_f32_e32 v7, v17, v7
.LBB15_29:                              ;   in Loop: Header=BB15_20 Depth=1
	s_mov_b32 s17, 0
.LBB15_30:                              ;   in Loop: Header=BB15_20 Depth=1
	s_wait_alu 0xfffe
	s_and_not1_b32 vcc_lo, exec_lo, s17
	s_wait_alu 0xfffe
	s_cbranch_vccnz .LBB15_19
; %bb.31:                               ;   in Loop: Header=BB15_20 Depth=1
	v_add_co_u32 v4, s17, s0, v11
	s_wait_alu 0xf1ff
	v_add_co_ci_u32_e64 v5, null, s1, 0, s17
	s_wait_loadcnt 0x0
	v_mul_f32_e32 v2, v9, v2
	global_load_b128 v[4:7], v[4:5], off
	s_wait_loadcnt 0x0
	v_dual_mul_f32 v3, v9, v3 :: v_dual_mul_f32 v6, v2, v6
	s_delay_alu instid0(VALU_DEP_1) | instskip(NEXT) | instid1(VALU_DEP_1)
	v_dual_mul_f32 v0, v9, v0 :: v_dual_mul_f32 v7, v3, v7
	v_dual_mul_f32 v1, v9, v1 :: v_dual_mul_f32 v4, v0, v4
	s_delay_alu instid0(VALU_DEP_1)
	v_mul_f32_e32 v5, v1, v5
	s_branch .LBB15_19
.LBB15_32:
	s_wait_alu 0xfffe
	s_or_b32 exec_lo, exec_lo, s19
	s_delay_alu instid0(SALU_CYCLE_1)
	s_mov_b32 s0, exec_lo
	v_cmpx_eq_u32_e32 0, v10
	s_cbranch_execz .LBB15_34
; %bb.33:
	v_mov_b32_e32 v0, 0
	s_lshl_b64 s[0:1], s[12:13], 2
	s_wait_kmcnt 0x0
	s_wait_alu 0xfffe
	s_add_nc_u64 s[0:1], s[4:5], s[0:1]
	global_store_b32 v0, v9, s[0:1]
.LBB15_34:
	s_endpgm
	.section	.rodata,"a",@progbits
	.p2align	6, 0x0
	.amdhsa_kernel _ZN2at6native12_GLOBAL__N_128vectorized_layer_norm_kernelIffLb1EEEviT0_PKT_S6_S6_PS3_S7_PS4_
		.amdhsa_group_segment_fixed_size 0
		.amdhsa_private_segment_fixed_size 0
		.amdhsa_kernarg_size 312
		.amdhsa_user_sgpr_count 2
		.amdhsa_user_sgpr_dispatch_ptr 0
		.amdhsa_user_sgpr_queue_ptr 0
		.amdhsa_user_sgpr_kernarg_segment_ptr 1
		.amdhsa_user_sgpr_dispatch_id 0
		.amdhsa_user_sgpr_private_segment_size 0
		.amdhsa_wavefront_size32 1
		.amdhsa_uses_dynamic_stack 0
		.amdhsa_enable_private_segment 0
		.amdhsa_system_sgpr_workgroup_id_x 1
		.amdhsa_system_sgpr_workgroup_id_y 0
		.amdhsa_system_sgpr_workgroup_id_z 0
		.amdhsa_system_sgpr_workgroup_info 0
		.amdhsa_system_vgpr_workitem_id 1
		.amdhsa_next_free_vgpr 18
		.amdhsa_next_free_sgpr 22
		.amdhsa_reserve_vcc 1
		.amdhsa_float_round_mode_32 0
		.amdhsa_float_round_mode_16_64 0
		.amdhsa_float_denorm_mode_32 3
		.amdhsa_float_denorm_mode_16_64 3
		.amdhsa_fp16_overflow 0
		.amdhsa_workgroup_processor_mode 1
		.amdhsa_memory_ordered 1
		.amdhsa_forward_progress 1
		.amdhsa_inst_pref_size 14
		.amdhsa_round_robin_scheduling 0
		.amdhsa_exception_fp_ieee_invalid_op 0
		.amdhsa_exception_fp_denorm_src 0
		.amdhsa_exception_fp_ieee_div_zero 0
		.amdhsa_exception_fp_ieee_overflow 0
		.amdhsa_exception_fp_ieee_underflow 0
		.amdhsa_exception_fp_ieee_inexact 0
		.amdhsa_exception_int_div_zero 0
	.end_amdhsa_kernel
	.section	.text._ZN2at6native12_GLOBAL__N_128vectorized_layer_norm_kernelIffLb1EEEviT0_PKT_S6_S6_PS3_S7_PS4_,"axG",@progbits,_ZN2at6native12_GLOBAL__N_128vectorized_layer_norm_kernelIffLb1EEEviT0_PKT_S6_S6_PS3_S7_PS4_,comdat
.Lfunc_end15:
	.size	_ZN2at6native12_GLOBAL__N_128vectorized_layer_norm_kernelIffLb1EEEviT0_PKT_S6_S6_PS3_S7_PS4_, .Lfunc_end15-_ZN2at6native12_GLOBAL__N_128vectorized_layer_norm_kernelIffLb1EEEviT0_PKT_S6_S6_PS3_S7_PS4_
                                        ; -- End function
	.set _ZN2at6native12_GLOBAL__N_128vectorized_layer_norm_kernelIffLb1EEEviT0_PKT_S6_S6_PS3_S7_PS4_.num_vgpr, 18
	.set _ZN2at6native12_GLOBAL__N_128vectorized_layer_norm_kernelIffLb1EEEviT0_PKT_S6_S6_PS3_S7_PS4_.num_agpr, 0
	.set _ZN2at6native12_GLOBAL__N_128vectorized_layer_norm_kernelIffLb1EEEviT0_PKT_S6_S6_PS3_S7_PS4_.numbered_sgpr, 22
	.set _ZN2at6native12_GLOBAL__N_128vectorized_layer_norm_kernelIffLb1EEEviT0_PKT_S6_S6_PS3_S7_PS4_.num_named_barrier, 0
	.set _ZN2at6native12_GLOBAL__N_128vectorized_layer_norm_kernelIffLb1EEEviT0_PKT_S6_S6_PS3_S7_PS4_.private_seg_size, 0
	.set _ZN2at6native12_GLOBAL__N_128vectorized_layer_norm_kernelIffLb1EEEviT0_PKT_S6_S6_PS3_S7_PS4_.uses_vcc, 1
	.set _ZN2at6native12_GLOBAL__N_128vectorized_layer_norm_kernelIffLb1EEEviT0_PKT_S6_S6_PS3_S7_PS4_.uses_flat_scratch, 0
	.set _ZN2at6native12_GLOBAL__N_128vectorized_layer_norm_kernelIffLb1EEEviT0_PKT_S6_S6_PS3_S7_PS4_.has_dyn_sized_stack, 0
	.set _ZN2at6native12_GLOBAL__N_128vectorized_layer_norm_kernelIffLb1EEEviT0_PKT_S6_S6_PS3_S7_PS4_.has_recursion, 0
	.set _ZN2at6native12_GLOBAL__N_128vectorized_layer_norm_kernelIffLb1EEEviT0_PKT_S6_S6_PS3_S7_PS4_.has_indirect_call, 0
	.section	.AMDGPU.csdata,"",@progbits
; Kernel info:
; codeLenInByte = 1772
; TotalNumSgprs: 24
; NumVgprs: 18
; ScratchSize: 0
; MemoryBound: 0
; FloatMode: 240
; IeeeMode: 1
; LDSByteSize: 0 bytes/workgroup (compile time only)
; SGPRBlocks: 0
; VGPRBlocks: 2
; NumSGPRsForWavesPerEU: 24
; NumVGPRsForWavesPerEU: 18
; Occupancy: 16
; WaveLimiterHint : 0
; COMPUTE_PGM_RSRC2:SCRATCH_EN: 0
; COMPUTE_PGM_RSRC2:USER_SGPR: 2
; COMPUTE_PGM_RSRC2:TRAP_HANDLER: 0
; COMPUTE_PGM_RSRC2:TGID_X_EN: 1
; COMPUTE_PGM_RSRC2:TGID_Y_EN: 0
; COMPUTE_PGM_RSRC2:TGID_Z_EN: 0
; COMPUTE_PGM_RSRC2:TIDIG_COMP_CNT: 1
	.section	.text._ZN2at6native12_GLOBAL__N_124RowwiseMomentsCUDAKernelIffLb1EEEvlT0_PKT_PS3_S7_,"axG",@progbits,_ZN2at6native12_GLOBAL__N_124RowwiseMomentsCUDAKernelIffLb1EEEvlT0_PKT_PS3_S7_,comdat
	.globl	_ZN2at6native12_GLOBAL__N_124RowwiseMomentsCUDAKernelIffLb1EEEvlT0_PKT_PS3_S7_ ; -- Begin function _ZN2at6native12_GLOBAL__N_124RowwiseMomentsCUDAKernelIffLb1EEEvlT0_PKT_PS3_S7_
	.p2align	8
	.type	_ZN2at6native12_GLOBAL__N_124RowwiseMomentsCUDAKernelIffLb1EEEvlT0_PKT_PS3_S7_,@function
_ZN2at6native12_GLOBAL__N_124RowwiseMomentsCUDAKernelIffLb1EEEvlT0_PKT_PS3_S7_: ; @_ZN2at6native12_GLOBAL__N_124RowwiseMomentsCUDAKernelIffLb1EEEvlT0_PKT_PS3_S7_
; %bb.0:
	s_load_b64 s[6:7], s[0:1], 0x0
	v_dual_mov_b32 v1, 0 :: v_dual_mov_b32 v2, 0
	v_mov_b32_e32 v3, 0
	s_mov_b32 s4, ttmp9
	s_mov_b32 s5, 0
	s_delay_alu instid0(VALU_DEP_2)
	v_dual_mov_b32 v8, v1 :: v_dual_mov_b32 v9, v1
	s_mov_b32 s3, exec_lo
	s_wait_kmcnt 0x0
	v_cmpx_gt_i64_e64 s[6:7], v[0:1]
	s_cbranch_execz .LBB16_4
; %bb.1:
	s_clause 0x1
	s_load_b32 s2, s[0:1], 0x34
	s_load_b64 s[8:9], s[0:1], 0x10
	s_mul_u64 s[10:11], s[6:7], s[4:5]
	v_dual_mov_b32 v5, v1 :: v_dual_lshlrev_b32 v2, 2, v0
	s_lshl_b64 s[12:13], s[10:11], 2
	v_dual_mov_b32 v8, 0 :: v_dual_mov_b32 v9, 0
	v_mov_b32_e32 v4, v0
	s_wait_kmcnt 0x0
	s_and_b32 s10, s2, 0xffff
	s_add_nc_u64 s[8:9], s[8:9], s[12:13]
	s_lshl_b32 s11, s10, 2
	v_add_co_u32 v6, s2, s8, v2
	s_delay_alu instid0(VALU_DEP_1)
	v_add_co_ci_u32_e64 v7, null, s9, 0, s2
	s_mov_b64 s[8:9], 0
	s_mov_b32 s12, s5
.LBB16_2:                               ; =>This Inner Loop Header: Depth=1
	global_load_b32 v2, v[6:7], off
	s_wait_alu 0xfffe
	s_add_nc_u64 s[8:9], s[8:9], 1
	s_wait_alu 0xfffe
	s_clz_i32_u32 s2, s9
	s_wait_alu 0xfffe
	s_min_u32 s2, s2, 32
	s_wait_alu 0xfffe
	s_lshl_b64 s[14:15], s[8:9], s2
	s_sub_co_i32 s2, 32, s2
	s_min_u32 s13, s14, 1
	s_wait_alu 0xfffe
	s_or_b32 s13, s15, s13
	s_wait_alu 0xfffe
	s_cvt_f32_u32 s13, s13
	s_wait_alu 0xfffe
	s_delay_alu instid0(SALU_CYCLE_2) | instskip(SKIP_2) | instid1(VALU_DEP_1)
	v_ldexp_f32 v1, s13, s2
	s_wait_loadcnt 0x0
	v_sub_f32_e32 v10, v2, v9
	v_div_scale_f32 v3, null, v1, v1, v10
	s_delay_alu instid0(VALU_DEP_1) | instskip(NEXT) | instid1(TRANS32_DEP_1)
	v_rcp_f32_e32 v11, v3
	v_fma_f32 v12, -v3, v11, 1.0
	s_delay_alu instid0(VALU_DEP_1) | instskip(SKIP_1) | instid1(VALU_DEP_1)
	v_fmac_f32_e32 v11, v12, v11
	v_div_scale_f32 v13, vcc_lo, v10, v1, v10
	v_mul_f32_e32 v12, v13, v11
	s_delay_alu instid0(VALU_DEP_1) | instskip(NEXT) | instid1(VALU_DEP_1)
	v_fma_f32 v14, -v3, v12, v13
	v_fmac_f32_e32 v12, v14, v11
	s_delay_alu instid0(VALU_DEP_1) | instskip(SKIP_1) | instid1(VALU_DEP_1)
	v_fma_f32 v3, -v3, v12, v13
	s_wait_alu 0xfffd
	v_div_fmas_f32 v3, v3, v11, v12
	v_add_co_u32 v4, vcc_lo, v4, s10
	s_wait_alu 0xfffd
	v_add_co_ci_u32_e64 v5, null, 0, v5, vcc_lo
	s_delay_alu instid0(VALU_DEP_3) | instskip(SKIP_1) | instid1(VALU_DEP_3)
	v_div_fixup_f32 v3, v3, v1, v10
	v_add_co_u32 v6, vcc_lo, v6, s11
	v_cmp_le_i64_e64 s2, s[6:7], v[4:5]
	s_wait_alu 0xfffd
	v_add_co_ci_u32_e64 v7, null, 0, v7, vcc_lo
	v_add_f32_e32 v9, v9, v3
	s_delay_alu instid0(VALU_DEP_3) | instskip(NEXT) | instid1(VALU_DEP_1)
	s_or_b32 s12, s2, s12
	v_dual_sub_f32 v11, v2, v9 :: v_dual_mov_b32 v2, s8
	s_delay_alu instid0(VALU_DEP_1)
	v_dual_mov_b32 v3, s9 :: v_dual_fmac_f32 v8, v10, v11
	s_wait_alu 0xfffe
	s_and_not1_b32 exec_lo, exec_lo, s12
	s_cbranch_execnz .LBB16_2
; %bb.3:
	s_or_b32 exec_lo, exec_lo, s12
.LBB16_4:
	s_delay_alu instid0(SALU_CYCLE_1) | instskip(SKIP_2) | instid1(VALU_DEP_1)
	s_or_b32 exec_lo, exec_lo, s3
	v_mbcnt_lo_u32_b32 v11, -1, 0
	s_mov_b32 s2, exec_lo
	v_lshl_or_b32 v7, v11, 2, 64
	ds_bpermute_b32 v12, v7, v9
	ds_bpermute_b32 v6, v7, v8
	;; [unrolled: 1-line block ×5, first 2 shown]
	v_cmpx_neq_f32_e32 0, v1
	s_cbranch_execz .LBB16_8
; %bb.5:
	s_mov_b32 s3, exec_lo
	s_wait_dscnt 0x0
	v_cmpx_neq_f32_e32 0, v14
	s_cbranch_execz .LBB16_7
; %bb.6:
	v_add_f32_e32 v4, v1, v14
	v_add_f32_e32 v8, v8, v6
	s_delay_alu instid0(VALU_DEP_2) | instskip(SKIP_1) | instid1(VALU_DEP_2)
	v_div_scale_f32 v2, null, v4, v4, v14
	v_div_scale_f32 v10, vcc_lo, v14, v4, v14
	v_rcp_f32_e32 v3, v2
	s_delay_alu instid0(TRANS32_DEP_1) | instskip(NEXT) | instid1(VALU_DEP_1)
	v_fma_f32 v5, -v2, v3, 1.0
	v_fmac_f32_e32 v3, v5, v3
	s_delay_alu instid0(VALU_DEP_1) | instskip(NEXT) | instid1(VALU_DEP_1)
	v_mul_f32_e32 v5, v10, v3
	v_fma_f32 v13, -v2, v5, v10
	s_delay_alu instid0(VALU_DEP_1) | instskip(NEXT) | instid1(VALU_DEP_1)
	v_fmac_f32_e32 v5, v13, v3
	v_fma_f32 v2, -v2, v5, v10
	v_sub_f32_e32 v10, v12, v9
	s_wait_alu 0xfffd
	s_delay_alu instid0(VALU_DEP_2) | instskip(NEXT) | instid1(VALU_DEP_1)
	v_div_fmas_f32 v2, v2, v3, v5
	v_div_fixup_f32 v5, v2, v4, v14
	s_delay_alu instid0(VALU_DEP_3) | instskip(NEXT) | instid1(VALU_DEP_2)
	v_mul_f32_e32 v3, v10, v10
	v_fmac_f32_e32 v9, v10, v5
	s_delay_alu instid0(VALU_DEP_2) | instskip(NEXT) | instid1(VALU_DEP_1)
	v_dual_mul_f32 v1, v1, v3 :: v_dual_mov_b32 v2, -1
	v_dual_mov_b32 v3, -1 :: v_dual_fmac_f32 v8, v1, v5
	v_mov_b32_e32 v1, v4
.LBB16_7:
	s_wait_alu 0xfffe
	s_or_b32 exec_lo, exec_lo, s3
	s_delay_alu instid0(VALU_DEP_1)
	v_dual_mov_b32 v14, v1 :: v_dual_mov_b32 v5, v3
	v_mov_b32_e32 v4, v2
	v_mov_b32_e32 v6, v8
	;; [unrolled: 1-line block ×3, first 2 shown]
.LBB16_8:
	s_wait_alu 0xfffe
	s_or_b32 exec_lo, exec_lo, s2
	v_cmp_gt_u32_e32 vcc_lo, 24, v11
	s_mov_b32 s2, exec_lo
	s_wait_alu 0xfffd
	v_cndmask_b32_e64 v1, 0, 8, vcc_lo
	s_delay_alu instid0(VALU_DEP_1)
	v_add_lshl_u32 v8, v1, v11, 2
	s_wait_dscnt 0x4
	ds_bpermute_b32 v13, v8, v12
	s_wait_dscnt 0x4
	ds_bpermute_b32 v10, v8, v6
	;; [unrolled: 2-line block ×5, first 2 shown]
	v_cmpx_neq_f32_e32 0, v14
	s_cbranch_execz .LBB16_12
; %bb.9:
	s_mov_b32 s3, exec_lo
	s_wait_dscnt 0x0
	v_cmpx_neq_f32_e32 0, v15
	s_cbranch_execz .LBB16_11
; %bb.10:
	v_add_f32_e32 v1, v14, v15
	v_add_f32_e32 v6, v6, v10
	s_delay_alu instid0(VALU_DEP_2) | instskip(SKIP_1) | instid1(VALU_DEP_2)
	v_div_scale_f32 v2, null, v1, v1, v15
	v_div_scale_f32 v5, vcc_lo, v15, v1, v15
	v_rcp_f32_e32 v3, v2
	s_delay_alu instid0(TRANS32_DEP_1) | instskip(NEXT) | instid1(VALU_DEP_1)
	v_fma_f32 v4, -v2, v3, 1.0
	v_fmac_f32_e32 v3, v4, v3
	s_delay_alu instid0(VALU_DEP_1) | instskip(NEXT) | instid1(VALU_DEP_1)
	v_mul_f32_e32 v4, v5, v3
	v_fma_f32 v9, -v2, v4, v5
	s_delay_alu instid0(VALU_DEP_1) | instskip(NEXT) | instid1(VALU_DEP_1)
	v_fmac_f32_e32 v4, v9, v3
	v_fma_f32 v2, -v2, v4, v5
	s_wait_alu 0xfffd
	s_delay_alu instid0(VALU_DEP_1) | instskip(SKIP_2) | instid1(VALU_DEP_3)
	v_div_fmas_f32 v2, v2, v3, v4
	v_mov_b32_e32 v4, -1
	v_mov_b32_e32 v5, -1
	v_div_fixup_f32 v2, v2, v1, v15
	v_sub_f32_e32 v9, v13, v12
	s_delay_alu instid0(VALU_DEP_1) | instskip(NEXT) | instid1(VALU_DEP_1)
	v_mul_f32_e32 v3, v9, v9
	v_dual_mul_f32 v3, v14, v3 :: v_dual_mov_b32 v14, v1
	s_delay_alu instid0(VALU_DEP_1)
	v_fmac_f32_e32 v6, v3, v2
	v_fmac_f32_e32 v12, v9, v2
.LBB16_11:
	s_wait_alu 0xfffe
	s_or_b32 exec_lo, exec_lo, s3
	s_delay_alu instid0(VALU_DEP_2)
	v_dual_mov_b32 v1, v4 :: v_dual_mov_b32 v10, v6
	v_dual_mov_b32 v15, v14 :: v_dual_mov_b32 v2, v5
	v_mov_b32_e32 v13, v12
.LBB16_12:
	s_wait_alu 0xfffe
	s_or_b32 exec_lo, exec_lo, s2
	v_cmp_gt_u32_e32 vcc_lo, 28, v11
	s_mov_b32 s2, exec_lo
	s_wait_alu 0xfffd
	v_cndmask_b32_e64 v3, 0, 4, vcc_lo
	s_delay_alu instid0(VALU_DEP_1)
	v_add_lshl_u32 v9, v3, v11, 2
	s_wait_dscnt 0x4
	ds_bpermute_b32 v14, v9, v13
	s_wait_dscnt 0x4
	ds_bpermute_b32 v12, v9, v10
	;; [unrolled: 2-line block ×5, first 2 shown]
	v_cmpx_neq_f32_e32 0, v15
	s_cbranch_execz .LBB16_16
; %bb.13:
	s_mov_b32 s3, exec_lo
	s_wait_dscnt 0x0
	v_cmpx_neq_f32_e32 0, v16
	s_cbranch_execz .LBB16_15
; %bb.14:
	v_add_f32_e32 v3, v15, v16
	v_add_f32_e32 v10, v10, v12
	s_delay_alu instid0(VALU_DEP_2) | instskip(NEXT) | instid1(VALU_DEP_1)
	v_div_scale_f32 v1, null, v3, v3, v16
	v_rcp_f32_e32 v2, v1
	s_delay_alu instid0(TRANS32_DEP_1) | instskip(NEXT) | instid1(VALU_DEP_1)
	v_fma_f32 v4, -v1, v2, 1.0
	v_fmac_f32_e32 v2, v4, v2
	v_div_scale_f32 v5, vcc_lo, v16, v3, v16
	s_delay_alu instid0(VALU_DEP_1) | instskip(NEXT) | instid1(VALU_DEP_1)
	v_mul_f32_e32 v4, v5, v2
	v_fma_f32 v6, -v1, v4, v5
	s_delay_alu instid0(VALU_DEP_1) | instskip(NEXT) | instid1(VALU_DEP_1)
	v_fmac_f32_e32 v4, v6, v2
	v_fma_f32 v1, -v1, v4, v5
	v_sub_f32_e32 v5, v14, v13
	s_wait_alu 0xfffd
	s_delay_alu instid0(VALU_DEP_2) | instskip(NEXT) | instid1(VALU_DEP_2)
	v_div_fmas_f32 v1, v1, v2, v4
	v_mul_f32_e32 v2, v5, v5
	s_delay_alu instid0(VALU_DEP_2) | instskip(NEXT) | instid1(VALU_DEP_2)
	v_div_fixup_f32 v4, v1, v3, v16
	v_dual_mul_f32 v6, v15, v2 :: v_dual_mov_b32 v1, -1
	v_dual_mov_b32 v2, -1 :: v_dual_mov_b32 v15, v3
	s_delay_alu instid0(VALU_DEP_3) | instskip(NEXT) | instid1(VALU_DEP_3)
	v_fmac_f32_e32 v13, v5, v4
	v_fmac_f32_e32 v10, v6, v4
.LBB16_15:
	s_wait_alu 0xfffe
	s_or_b32 exec_lo, exec_lo, s3
	v_mov_b32_e32 v4, v2
	v_dual_mov_b32 v16, v15 :: v_dual_mov_b32 v3, v1
	v_mov_b32_e32 v12, v10
	v_mov_b32_e32 v14, v13
.LBB16_16:
	s_wait_alu 0xfffe
	s_or_b32 exec_lo, exec_lo, s2
	v_cmp_gt_u32_e32 vcc_lo, 30, v11
	s_mov_b32 s2, exec_lo
	s_wait_alu 0xfffd
	v_cndmask_b32_e64 v1, 0, 2, vcc_lo
	s_delay_alu instid0(VALU_DEP_1)
	v_add_lshl_u32 v10, v1, v11, 2
	s_wait_dscnt 0x4
	ds_bpermute_b32 v15, v10, v14
	s_wait_dscnt 0x4
	ds_bpermute_b32 v13, v10, v12
	s_wait_dscnt 0x4
	ds_bpermute_b32 v5, v10, v3
	s_wait_dscnt 0x4
	ds_bpermute_b32 v6, v10, v4
	s_wait_dscnt 0x4
	ds_bpermute_b32 v17, v10, v16
	v_cmpx_neq_f32_e32 0, v16
	s_cbranch_execz .LBB16_20
; %bb.17:
	s_mov_b32 s3, exec_lo
	s_wait_dscnt 0x0
	v_cmpx_neq_f32_e32 0, v17
	s_cbranch_execz .LBB16_19
; %bb.18:
	v_add_f32_e32 v1, v16, v17
	v_add_f32_e32 v12, v12, v13
	s_delay_alu instid0(VALU_DEP_2) | instskip(SKIP_1) | instid1(VALU_DEP_2)
	v_div_scale_f32 v2, null, v1, v1, v17
	v_div_scale_f32 v5, vcc_lo, v17, v1, v17
	v_rcp_f32_e32 v3, v2
	s_delay_alu instid0(TRANS32_DEP_1) | instskip(NEXT) | instid1(VALU_DEP_1)
	v_fma_f32 v4, -v2, v3, 1.0
	v_fmac_f32_e32 v3, v4, v3
	s_delay_alu instid0(VALU_DEP_1) | instskip(NEXT) | instid1(VALU_DEP_1)
	v_mul_f32_e32 v4, v5, v3
	v_fma_f32 v6, -v2, v4, v5
	s_delay_alu instid0(VALU_DEP_1) | instskip(NEXT) | instid1(VALU_DEP_1)
	v_fmac_f32_e32 v4, v6, v3
	v_fma_f32 v2, -v2, v4, v5
	v_sub_f32_e32 v5, v15, v14
	s_wait_alu 0xfffd
	s_delay_alu instid0(VALU_DEP_2) | instskip(NEXT) | instid1(VALU_DEP_1)
	v_div_fmas_f32 v2, v2, v3, v4
	v_div_fixup_f32 v2, v2, v1, v17
	s_delay_alu instid0(VALU_DEP_3) | instskip(NEXT) | instid1(VALU_DEP_2)
	v_mul_f32_e32 v3, v5, v5
	v_fmac_f32_e32 v14, v5, v2
	s_delay_alu instid0(VALU_DEP_2) | instskip(SKIP_2) | instid1(VALU_DEP_3)
	v_dual_mul_f32 v6, v16, v3 :: v_dual_mov_b32 v3, -1
	v_mov_b32_e32 v4, -1
	v_mov_b32_e32 v16, v1
	v_fmac_f32_e32 v12, v6, v2
.LBB16_19:
	s_wait_alu 0xfffe
	s_or_b32 exec_lo, exec_lo, s3
	s_delay_alu instid0(VALU_DEP_2)
	v_dual_mov_b32 v17, v16 :: v_dual_mov_b32 v6, v4
	v_mov_b32_e32 v5, v3
	v_mov_b32_e32 v13, v12
	;; [unrolled: 1-line block ×3, first 2 shown]
.LBB16_20:
	s_wait_alu 0xfffe
	s_or_b32 exec_lo, exec_lo, s2
	v_cmp_ne_u32_e32 vcc_lo, 31, v11
	s_mov_b32 s2, exec_lo
	s_wait_alu 0xfffd
	v_add_co_ci_u32_e64 v1, null, 0, v11, vcc_lo
	s_delay_alu instid0(VALU_DEP_1)
	v_lshlrev_b32_e32 v11, 2, v1
	s_wait_dscnt 0x4
	ds_bpermute_b32 v1, v11, v15
	s_wait_dscnt 0x4
	ds_bpermute_b32 v2, v11, v13
	;; [unrolled: 2-line block ×5, first 2 shown]
	v_cmpx_neq_f32_e32 0, v17
	s_cbranch_execz .LBB16_24
; %bb.21:
	s_mov_b32 s3, exec_lo
	s_wait_dscnt 0x0
	v_cmpx_neq_f32_e32 0, v12
	s_cbranch_execz .LBB16_23
; %bb.22:
	v_add_f32_e32 v3, v17, v12
	v_add_f32_e32 v13, v13, v2
	v_sub_f32_e32 v1, v1, v15
	s_delay_alu instid0(VALU_DEP_3) | instskip(SKIP_1) | instid1(VALU_DEP_2)
	v_div_scale_f32 v4, null, v3, v3, v12
	v_div_scale_f32 v14, vcc_lo, v12, v3, v12
	v_rcp_f32_e32 v5, v4
	s_delay_alu instid0(TRANS32_DEP_1) | instskip(NEXT) | instid1(VALU_DEP_1)
	v_fma_f32 v6, -v4, v5, 1.0
	v_fmac_f32_e32 v5, v6, v5
	s_delay_alu instid0(VALU_DEP_1) | instskip(NEXT) | instid1(VALU_DEP_1)
	v_mul_f32_e32 v6, v14, v5
	v_fma_f32 v16, -v4, v6, v14
	s_delay_alu instid0(VALU_DEP_1) | instskip(NEXT) | instid1(VALU_DEP_1)
	v_fmac_f32_e32 v6, v16, v5
	v_fma_f32 v4, -v4, v6, v14
	s_wait_alu 0xfffd
	s_delay_alu instid0(VALU_DEP_1) | instskip(SKIP_1) | instid1(VALU_DEP_2)
	v_div_fmas_f32 v4, v4, v5, v6
	v_mul_f32_e32 v5, v1, v1
	v_div_fixup_f32 v2, v4, v3, v12
	s_delay_alu instid0(VALU_DEP_2) | instskip(SKIP_1) | instid1(VALU_DEP_3)
	v_dual_mul_f32 v4, v17, v5 :: v_dual_mov_b32 v5, -1
	v_dual_mov_b32 v6, -1 :: v_dual_mov_b32 v17, v3
	v_fmac_f32_e32 v15, v1, v2
	s_delay_alu instid0(VALU_DEP_3)
	v_fmac_f32_e32 v13, v4, v2
.LBB16_23:
	s_wait_alu 0xfffe
	s_or_b32 exec_lo, exec_lo, s3
	v_dual_mov_b32 v12, v17 :: v_dual_mov_b32 v3, v5
	v_dual_mov_b32 v4, v6 :: v_dual_mov_b32 v1, v15
	v_mov_b32_e32 v2, v13
.LBB16_24:
	s_wait_alu 0xfffe
	s_or_b32 exec_lo, exec_lo, s2
	v_and_b32_e32 v5, 31, v0
	s_mov_b32 s2, exec_lo
	s_wait_dscnt 0x0
	s_barrier_signal -1
	s_barrier_wait -1
	global_inv scope:SCOPE_SE
	v_cmpx_eq_u32_e32 0, v5
	s_cbranch_execz .LBB16_26
; %bb.25:
	v_lshrrev_b32_e32 v6, 5, v0
	s_delay_alu instid0(VALU_DEP_1)
	v_mul_u32_u24_e32 v6, 24, v6
	ds_store_2addr_b64 v6, v[1:2], v[3:4] offset1:1
	ds_store_b32 v6, v12 offset:16
.LBB16_26:
	s_wait_alu 0xfffe
	s_or_b32 exec_lo, exec_lo, s2
	s_wait_loadcnt_dscnt 0x0
	s_barrier_signal -1
	s_barrier_wait -1
	global_inv scope:SCOPE_SE
	s_load_b32 s2, s[0:1], 0x34
	v_mul_u32_u24_e32 v4, 24, v5
	v_dual_mov_b32 v1, 0 :: v_dual_mov_b32 v2, 0
	s_wait_kmcnt 0x0
	s_bfe_u32 s2, s2, 0xb0005
	s_wait_alu 0xfffe
	v_cmp_gt_u32_e32 vcc_lo, s2, v0
	s_and_saveexec_b32 s2, vcc_lo
	s_cbranch_execnz .LBB16_55
; %bb.27:
	s_wait_alu 0xfffe
	s_or_b32 exec_lo, exec_lo, s2
	s_and_saveexec_b32 s2, vcc_lo
	s_cbranch_execnz .LBB16_56
.LBB16_28:
	s_wait_alu 0xfffe
	s_or_b32 exec_lo, exec_lo, s2
	v_mov_b32_e32 v3, 0
	s_and_saveexec_b32 s2, vcc_lo
.LBB16_29:
	ds_load_b32 v3, v4 offset:16
.LBB16_30:
	s_wait_alu 0xfffe
	s_or_b32 exec_lo, exec_lo, s2
	s_delay_alu instid0(SALU_CYCLE_1)
	s_mov_b32 s2, exec_lo
	v_cmpx_gt_u32_e32 32, v0
	s_cbranch_execz .LBB16_52
; %bb.31:
	s_wait_dscnt 0x0
	ds_bpermute_b32 v6, v7, v2
	ds_bpermute_b32 v4, v7, v1
	;; [unrolled: 1-line block ×3, first 2 shown]
	s_mov_b32 s3, exec_lo
	v_cmpx_neq_f32_e32 0, v3
	s_cbranch_execz .LBB16_35
; %bb.32:
	s_mov_b32 s6, exec_lo
	s_wait_dscnt 0x0
	v_cmpx_neq_f32_e32 0, v5
	s_cbranch_execz .LBB16_34
; %bb.33:
	v_dual_add_f32 v7, v3, v5 :: v_dual_sub_f32 v6, v6, v2
	v_add_f32_e32 v1, v1, v4
	s_delay_alu instid0(VALU_DEP_2) | instskip(SKIP_1) | instid1(VALU_DEP_2)
	v_div_scale_f32 v12, null, v7, v7, v5
	v_div_scale_f32 v15, vcc_lo, v5, v7, v5
	v_rcp_f32_e32 v13, v12
	s_delay_alu instid0(TRANS32_DEP_1) | instskip(NEXT) | instid1(VALU_DEP_1)
	v_fma_f32 v14, -v12, v13, 1.0
	v_fmac_f32_e32 v13, v14, v13
	s_delay_alu instid0(VALU_DEP_1) | instskip(NEXT) | instid1(VALU_DEP_1)
	v_mul_f32_e32 v14, v15, v13
	v_fma_f32 v16, -v12, v14, v15
	s_delay_alu instid0(VALU_DEP_1) | instskip(NEXT) | instid1(VALU_DEP_1)
	v_fmac_f32_e32 v14, v16, v13
	v_fma_f32 v12, -v12, v14, v15
	s_wait_alu 0xfffd
	s_delay_alu instid0(VALU_DEP_1) | instskip(SKIP_1) | instid1(VALU_DEP_2)
	v_div_fmas_f32 v12, v12, v13, v14
	v_mul_f32_e32 v13, v6, v6
	v_div_fixup_f32 v4, v12, v7, v5
	s_delay_alu instid0(VALU_DEP_1) | instskip(NEXT) | instid1(VALU_DEP_1)
	v_dual_mul_f32 v3, v3, v13 :: v_dual_fmac_f32 v2, v6, v4
	v_fmac_f32_e32 v1, v3, v4
	v_mov_b32_e32 v3, v7
.LBB16_34:
	s_wait_alu 0xfffe
	s_or_b32 exec_lo, exec_lo, s6
	s_delay_alu instid0(VALU_DEP_1)
	v_dual_mov_b32 v5, v3 :: v_dual_mov_b32 v4, v1
	v_mov_b32_e32 v6, v2
.LBB16_35:
	s_wait_alu 0xfffe
	s_or_b32 exec_lo, exec_lo, s3
	s_wait_dscnt 0x2
	ds_bpermute_b32 v7, v8, v6
	s_wait_dscnt 0x2
	ds_bpermute_b32 v1, v8, v4
	;; [unrolled: 2-line block ×3, first 2 shown]
	s_mov_b32 s3, exec_lo
	v_cmpx_neq_f32_e32 0, v5
	s_cbranch_execz .LBB16_39
; %bb.36:
	s_mov_b32 s6, exec_lo
	s_wait_dscnt 0x0
	v_cmpx_neq_f32_e32 0, v3
	s_cbranch_execz .LBB16_38
; %bb.37:
	v_dual_add_f32 v2, v5, v3 :: v_dual_sub_f32 v7, v7, v6
	v_add_f32_e32 v4, v4, v1
	s_delay_alu instid0(VALU_DEP_2) | instskip(SKIP_1) | instid1(VALU_DEP_2)
	v_div_scale_f32 v8, null, v2, v2, v3
	v_div_scale_f32 v14, vcc_lo, v3, v2, v3
	v_rcp_f32_e32 v12, v8
	s_delay_alu instid0(TRANS32_DEP_1) | instskip(NEXT) | instid1(VALU_DEP_1)
	v_fma_f32 v13, -v8, v12, 1.0
	v_fmac_f32_e32 v12, v13, v12
	s_delay_alu instid0(VALU_DEP_1) | instskip(NEXT) | instid1(VALU_DEP_1)
	v_mul_f32_e32 v13, v14, v12
	v_fma_f32 v15, -v8, v13, v14
	s_delay_alu instid0(VALU_DEP_1) | instskip(NEXT) | instid1(VALU_DEP_1)
	v_fmac_f32_e32 v13, v15, v12
	v_fma_f32 v8, -v8, v13, v14
	s_wait_alu 0xfffd
	s_delay_alu instid0(VALU_DEP_1) | instskip(SKIP_1) | instid1(VALU_DEP_2)
	v_div_fmas_f32 v8, v8, v12, v13
	v_mul_f32_e32 v12, v7, v7
	v_div_fixup_f32 v1, v8, v2, v3
	s_delay_alu instid0(VALU_DEP_2) | instskip(NEXT) | instid1(VALU_DEP_2)
	v_mul_f32_e32 v3, v5, v12
	v_dual_mov_b32 v5, v2 :: v_dual_fmac_f32 v6, v7, v1
	s_delay_alu instid0(VALU_DEP_2)
	v_fmac_f32_e32 v4, v3, v1
.LBB16_38:
	s_wait_alu 0xfffe
	s_or_b32 exec_lo, exec_lo, s6
	s_delay_alu instid0(VALU_DEP_2) | instskip(NEXT) | instid1(VALU_DEP_2)
	v_mov_b32_e32 v3, v5
	v_mov_b32_e32 v1, v4
	;; [unrolled: 1-line block ×3, first 2 shown]
.LBB16_39:
	s_wait_alu 0xfffe
	s_or_b32 exec_lo, exec_lo, s3
	s_wait_dscnt 0x2
	ds_bpermute_b32 v8, v9, v7
	s_wait_dscnt 0x2
	ds_bpermute_b32 v2, v9, v1
	;; [unrolled: 2-line block ×3, first 2 shown]
	s_mov_b32 s3, exec_lo
	v_cmpx_neq_f32_e32 0, v3
	s_cbranch_execz .LBB16_43
; %bb.40:
	s_mov_b32 s6, exec_lo
	s_wait_dscnt 0x0
	v_cmpx_neq_f32_e32 0, v6
	s_cbranch_execz .LBB16_42
; %bb.41:
	v_add_f32_e32 v4, v3, v6
	v_dual_sub_f32 v8, v8, v7 :: v_dual_add_f32 v1, v1, v2
	s_delay_alu instid0(VALU_DEP_2) | instskip(NEXT) | instid1(VALU_DEP_1)
	v_div_scale_f32 v5, null, v4, v4, v6
	v_rcp_f32_e32 v9, v5
	s_delay_alu instid0(TRANS32_DEP_1) | instskip(NEXT) | instid1(VALU_DEP_1)
	v_fma_f32 v12, -v5, v9, 1.0
	v_fmac_f32_e32 v9, v12, v9
	v_div_scale_f32 v13, vcc_lo, v6, v4, v6
	s_delay_alu instid0(VALU_DEP_1) | instskip(NEXT) | instid1(VALU_DEP_1)
	v_mul_f32_e32 v12, v13, v9
	v_fma_f32 v14, -v5, v12, v13
	s_delay_alu instid0(VALU_DEP_1) | instskip(NEXT) | instid1(VALU_DEP_1)
	v_fmac_f32_e32 v12, v14, v9
	v_fma_f32 v5, -v5, v12, v13
	s_wait_alu 0xfffd
	s_delay_alu instid0(VALU_DEP_1) | instskip(SKIP_1) | instid1(VALU_DEP_2)
	v_div_fmas_f32 v5, v5, v9, v12
	v_mul_f32_e32 v9, v8, v8
	v_div_fixup_f32 v2, v5, v4, v6
	s_delay_alu instid0(VALU_DEP_2) | instskip(NEXT) | instid1(VALU_DEP_2)
	v_mul_f32_e32 v3, v3, v9
	v_fmac_f32_e32 v7, v8, v2
	s_delay_alu instid0(VALU_DEP_2)
	v_fmac_f32_e32 v1, v3, v2
	v_mov_b32_e32 v3, v4
.LBB16_42:
	s_wait_alu 0xfffe
	s_or_b32 exec_lo, exec_lo, s6
	s_delay_alu instid0(VALU_DEP_1)
	v_mov_b32_e32 v6, v3
	v_mov_b32_e32 v2, v1
	;; [unrolled: 1-line block ×3, first 2 shown]
.LBB16_43:
	s_wait_alu 0xfffe
	s_or_b32 exec_lo, exec_lo, s3
	s_wait_dscnt 0x2
	ds_bpermute_b32 v7, v10, v8
	s_wait_dscnt 0x2
	ds_bpermute_b32 v4, v10, v2
	s_wait_dscnt 0x2
	ds_bpermute_b32 v5, v10, v6
	s_mov_b32 s3, exec_lo
	v_cmpx_neq_f32_e32 0, v6
	s_cbranch_execz .LBB16_47
; %bb.44:
	s_mov_b32 s6, exec_lo
	s_wait_dscnt 0x0
	v_cmpx_neq_f32_e32 0, v5
	s_cbranch_execz .LBB16_46
; %bb.45:
	v_sub_f32_e32 v7, v7, v8
	v_add_f32_e32 v1, v6, v5
	v_add_f32_e32 v2, v2, v4
	s_delay_alu instid0(VALU_DEP_2) | instskip(SKIP_1) | instid1(VALU_DEP_2)
	v_div_scale_f32 v3, null, v1, v1, v5
	v_div_scale_f32 v12, vcc_lo, v5, v1, v5
	v_rcp_f32_e32 v9, v3
	s_delay_alu instid0(TRANS32_DEP_1) | instskip(NEXT) | instid1(VALU_DEP_1)
	v_fma_f32 v10, -v3, v9, 1.0
	v_fmac_f32_e32 v9, v10, v9
	s_delay_alu instid0(VALU_DEP_1) | instskip(NEXT) | instid1(VALU_DEP_1)
	v_mul_f32_e32 v10, v12, v9
	v_fma_f32 v13, -v3, v10, v12
	s_delay_alu instid0(VALU_DEP_1) | instskip(NEXT) | instid1(VALU_DEP_1)
	v_fmac_f32_e32 v10, v13, v9
	v_fma_f32 v3, -v3, v10, v12
	s_wait_alu 0xfffd
	s_delay_alu instid0(VALU_DEP_1) | instskip(SKIP_1) | instid1(VALU_DEP_2)
	v_div_fmas_f32 v3, v3, v9, v10
	v_mul_f32_e32 v9, v7, v7
	v_div_fixup_f32 v3, v3, v1, v5
	s_delay_alu instid0(VALU_DEP_2) | instskip(NEXT) | instid1(VALU_DEP_2)
	v_mul_f32_e32 v4, v6, v9
	v_fmac_f32_e32 v8, v7, v3
	s_delay_alu instid0(VALU_DEP_2)
	v_fmac_f32_e32 v2, v4, v3
	v_mov_b32_e32 v6, v1
.LBB16_46:
	s_wait_alu 0xfffe
	s_or_b32 exec_lo, exec_lo, s6
	s_delay_alu instid0(VALU_DEP_1)
	v_dual_mov_b32 v5, v6 :: v_dual_mov_b32 v4, v2
	v_mov_b32_e32 v7, v8
.LBB16_47:
	s_wait_alu 0xfffe
	s_or_b32 exec_lo, exec_lo, s3
	s_wait_dscnt 0x2
	ds_bpermute_b32 v2, v11, v7
	s_wait_dscnt 0x2
	ds_bpermute_b32 v1, v11, v4
	;; [unrolled: 2-line block ×3, first 2 shown]
	s_mov_b32 s3, exec_lo
	v_cmpx_neq_f32_e32 0, v5
	s_cbranch_execz .LBB16_51
; %bb.48:
	s_mov_b32 s6, exec_lo
	s_wait_dscnt 0x0
	v_cmpx_neq_f32_e32 0, v3
	s_cbranch_execz .LBB16_50
; %bb.49:
	v_add_f32_e32 v6, v5, v3
	v_sub_f32_e32 v2, v2, v7
	v_add_f32_e32 v4, v4, v1
	s_delay_alu instid0(VALU_DEP_3) | instskip(NEXT) | instid1(VALU_DEP_1)
	v_div_scale_f32 v8, null, v6, v6, v3
	v_rcp_f32_e32 v9, v8
	s_delay_alu instid0(TRANS32_DEP_1) | instskip(NEXT) | instid1(VALU_DEP_1)
	v_fma_f32 v10, -v8, v9, 1.0
	v_fmac_f32_e32 v9, v10, v9
	v_div_scale_f32 v11, vcc_lo, v3, v6, v3
	s_delay_alu instid0(VALU_DEP_1) | instskip(NEXT) | instid1(VALU_DEP_1)
	v_mul_f32_e32 v10, v11, v9
	v_fma_f32 v12, -v8, v10, v11
	s_delay_alu instid0(VALU_DEP_1) | instskip(NEXT) | instid1(VALU_DEP_1)
	v_fmac_f32_e32 v10, v12, v9
	v_fma_f32 v8, -v8, v10, v11
	s_wait_alu 0xfffd
	s_delay_alu instid0(VALU_DEP_1) | instskip(SKIP_1) | instid1(VALU_DEP_2)
	v_div_fmas_f32 v8, v8, v9, v10
	v_mul_f32_e32 v9, v2, v2
	v_div_fixup_f32 v1, v8, v6, v3
	s_delay_alu instid0(VALU_DEP_2) | instskip(SKIP_1) | instid1(VALU_DEP_3)
	v_mul_f32_e32 v3, v5, v9
	v_mov_b32_e32 v5, v6
	v_fmac_f32_e32 v7, v2, v1
	s_delay_alu instid0(VALU_DEP_3)
	v_fmac_f32_e32 v4, v3, v1
.LBB16_50:
	s_wait_alu 0xfffe
	s_or_b32 exec_lo, exec_lo, s6
	s_delay_alu instid0(VALU_DEP_2) | instskip(NEXT) | instid1(VALU_DEP_2)
	v_dual_mov_b32 v3, v5 :: v_dual_mov_b32 v2, v7
	v_mov_b32_e32 v1, v4
.LBB16_51:
	s_wait_alu 0xfffe
	s_or_b32 exec_lo, exec_lo, s3
.LBB16_52:
	s_wait_alu 0xfffe
	s_or_b32 exec_lo, exec_lo, s2
	s_delay_alu instid0(SALU_CYCLE_1)
	s_mov_b32 s2, exec_lo
	v_cmpx_eq_u32_e32 0, v0
	s_cbranch_execz .LBB16_54
; %bb.53:
	s_wait_dscnt 0x0
	v_max_num_f32_e32 v0, v3, v3
	s_clause 0x1
	s_load_b32 s2, s[0:1], 0x8
	s_load_b64 s[0:1], s[0:1], 0x20
	s_delay_alu instid0(VALU_DEP_1) | instskip(NEXT) | instid1(VALU_DEP_1)
	v_max_num_f32_e32 v0, 0, v0
	v_div_scale_f32 v3, null, v0, v0, v1
	v_div_scale_f32 v6, vcc_lo, v1, v0, v1
	s_delay_alu instid0(VALU_DEP_2) | instskip(NEXT) | instid1(TRANS32_DEP_1)
	v_rcp_f32_e32 v4, v3
	v_fma_f32 v5, -v3, v4, 1.0
	s_delay_alu instid0(VALU_DEP_1) | instskip(NEXT) | instid1(VALU_DEP_1)
	v_fmac_f32_e32 v4, v5, v4
	v_mul_f32_e32 v5, v6, v4
	s_delay_alu instid0(VALU_DEP_1) | instskip(NEXT) | instid1(VALU_DEP_1)
	v_fma_f32 v7, -v3, v5, v6
	v_fmac_f32_e32 v5, v7, v4
	s_delay_alu instid0(VALU_DEP_1) | instskip(SKIP_1) | instid1(VALU_DEP_1)
	v_fma_f32 v3, -v3, v5, v6
	s_wait_alu 0xfffd
	v_div_fmas_f32 v3, v3, v4, v5
	s_delay_alu instid0(VALU_DEP_1) | instskip(NEXT) | instid1(VALU_DEP_1)
	v_div_fixup_f32 v0, v3, v0, v1
	v_fmac_f32_e32 v0, v2, v2
	s_wait_kmcnt 0x0
	s_delay_alu instid0(VALU_DEP_1) | instskip(SKIP_3) | instid1(VALU_DEP_1)
	v_add_f32_e32 v0, s2, v0
	s_lshl_b64 s[2:3], s[4:5], 2
	s_wait_alu 0xfffe
	s_add_nc_u64 s[0:1], s[0:1], s[2:3]
	v_mul_f32_e32 v1, 0x4b800000, v0
	v_cmp_gt_f32_e32 vcc_lo, 0x800000, v0
	s_wait_alu 0xfffd
	s_delay_alu instid0(VALU_DEP_2) | instskip(NEXT) | instid1(VALU_DEP_1)
	v_cndmask_b32_e32 v0, v0, v1, vcc_lo
	v_rsq_f32_e32 v0, v0
	s_delay_alu instid0(TRANS32_DEP_1) | instskip(NEXT) | instid1(VALU_DEP_1)
	v_mul_f32_e32 v1, 0x45800000, v0
	v_dual_cndmask_b32 v0, v0, v1 :: v_dual_mov_b32 v1, 0
	global_store_b32 v1, v0, s[0:1]
.LBB16_54:
	s_endpgm
.LBB16_55:
	ds_load_b32 v2, v4
	s_wait_alu 0xfffe
	s_or_b32 exec_lo, exec_lo, s2
	s_and_saveexec_b32 s2, vcc_lo
	s_cbranch_execz .LBB16_28
.LBB16_56:
	ds_load_b32 v1, v4 offset:4
	s_wait_alu 0xfffe
	s_or_b32 exec_lo, exec_lo, s2
	v_mov_b32_e32 v3, 0
	s_and_saveexec_b32 s2, vcc_lo
	s_cbranch_execnz .LBB16_29
	s_branch .LBB16_30
	.section	.rodata,"a",@progbits
	.p2align	6, 0x0
	.amdhsa_kernel _ZN2at6native12_GLOBAL__N_124RowwiseMomentsCUDAKernelIffLb1EEEvlT0_PKT_PS3_S7_
		.amdhsa_group_segment_fixed_size 768
		.amdhsa_private_segment_fixed_size 0
		.amdhsa_kernarg_size 296
		.amdhsa_user_sgpr_count 2
		.amdhsa_user_sgpr_dispatch_ptr 0
		.amdhsa_user_sgpr_queue_ptr 0
		.amdhsa_user_sgpr_kernarg_segment_ptr 1
		.amdhsa_user_sgpr_dispatch_id 0
		.amdhsa_user_sgpr_private_segment_size 0
		.amdhsa_wavefront_size32 1
		.amdhsa_uses_dynamic_stack 0
		.amdhsa_enable_private_segment 0
		.amdhsa_system_sgpr_workgroup_id_x 1
		.amdhsa_system_sgpr_workgroup_id_y 0
		.amdhsa_system_sgpr_workgroup_id_z 0
		.amdhsa_system_sgpr_workgroup_info 0
		.amdhsa_system_vgpr_workitem_id 0
		.amdhsa_next_free_vgpr 18
		.amdhsa_next_free_sgpr 16
		.amdhsa_reserve_vcc 1
		.amdhsa_float_round_mode_32 0
		.amdhsa_float_round_mode_16_64 0
		.amdhsa_float_denorm_mode_32 3
		.amdhsa_float_denorm_mode_16_64 3
		.amdhsa_fp16_overflow 0
		.amdhsa_workgroup_processor_mode 1
		.amdhsa_memory_ordered 1
		.amdhsa_forward_progress 1
		.amdhsa_inst_pref_size 28
		.amdhsa_round_robin_scheduling 0
		.amdhsa_exception_fp_ieee_invalid_op 0
		.amdhsa_exception_fp_denorm_src 0
		.amdhsa_exception_fp_ieee_div_zero 0
		.amdhsa_exception_fp_ieee_overflow 0
		.amdhsa_exception_fp_ieee_underflow 0
		.amdhsa_exception_fp_ieee_inexact 0
		.amdhsa_exception_int_div_zero 0
	.end_amdhsa_kernel
	.section	.text._ZN2at6native12_GLOBAL__N_124RowwiseMomentsCUDAKernelIffLb1EEEvlT0_PKT_PS3_S7_,"axG",@progbits,_ZN2at6native12_GLOBAL__N_124RowwiseMomentsCUDAKernelIffLb1EEEvlT0_PKT_PS3_S7_,comdat
.Lfunc_end16:
	.size	_ZN2at6native12_GLOBAL__N_124RowwiseMomentsCUDAKernelIffLb1EEEvlT0_PKT_PS3_S7_, .Lfunc_end16-_ZN2at6native12_GLOBAL__N_124RowwiseMomentsCUDAKernelIffLb1EEEvlT0_PKT_PS3_S7_
                                        ; -- End function
	.set _ZN2at6native12_GLOBAL__N_124RowwiseMomentsCUDAKernelIffLb1EEEvlT0_PKT_PS3_S7_.num_vgpr, 18
	.set _ZN2at6native12_GLOBAL__N_124RowwiseMomentsCUDAKernelIffLb1EEEvlT0_PKT_PS3_S7_.num_agpr, 0
	.set _ZN2at6native12_GLOBAL__N_124RowwiseMomentsCUDAKernelIffLb1EEEvlT0_PKT_PS3_S7_.numbered_sgpr, 16
	.set _ZN2at6native12_GLOBAL__N_124RowwiseMomentsCUDAKernelIffLb1EEEvlT0_PKT_PS3_S7_.num_named_barrier, 0
	.set _ZN2at6native12_GLOBAL__N_124RowwiseMomentsCUDAKernelIffLb1EEEvlT0_PKT_PS3_S7_.private_seg_size, 0
	.set _ZN2at6native12_GLOBAL__N_124RowwiseMomentsCUDAKernelIffLb1EEEvlT0_PKT_PS3_S7_.uses_vcc, 1
	.set _ZN2at6native12_GLOBAL__N_124RowwiseMomentsCUDAKernelIffLb1EEEvlT0_PKT_PS3_S7_.uses_flat_scratch, 0
	.set _ZN2at6native12_GLOBAL__N_124RowwiseMomentsCUDAKernelIffLb1EEEvlT0_PKT_PS3_S7_.has_dyn_sized_stack, 0
	.set _ZN2at6native12_GLOBAL__N_124RowwiseMomentsCUDAKernelIffLb1EEEvlT0_PKT_PS3_S7_.has_recursion, 0
	.set _ZN2at6native12_GLOBAL__N_124RowwiseMomentsCUDAKernelIffLb1EEEvlT0_PKT_PS3_S7_.has_indirect_call, 0
	.section	.AMDGPU.csdata,"",@progbits
; Kernel info:
; codeLenInByte = 3572
; TotalNumSgprs: 18
; NumVgprs: 18
; ScratchSize: 0
; MemoryBound: 0
; FloatMode: 240
; IeeeMode: 1
; LDSByteSize: 768 bytes/workgroup (compile time only)
; SGPRBlocks: 0
; VGPRBlocks: 2
; NumSGPRsForWavesPerEU: 18
; NumVGPRsForWavesPerEU: 18
; Occupancy: 16
; WaveLimiterHint : 0
; COMPUTE_PGM_RSRC2:SCRATCH_EN: 0
; COMPUTE_PGM_RSRC2:USER_SGPR: 2
; COMPUTE_PGM_RSRC2:TRAP_HANDLER: 0
; COMPUTE_PGM_RSRC2:TGID_X_EN: 1
; COMPUTE_PGM_RSRC2:TGID_Y_EN: 0
; COMPUTE_PGM_RSRC2:TGID_Z_EN: 0
; COMPUTE_PGM_RSRC2:TIDIG_COMP_CNT: 0
	.section	.text._ZN2at6native12_GLOBAL__N_126LayerNormForwardCUDAKernelIffLb1EEEvlPKT_PKT0_S8_S5_S5_PS3_,"axG",@progbits,_ZN2at6native12_GLOBAL__N_126LayerNormForwardCUDAKernelIffLb1EEEvlPKT_PKT0_S8_S5_S5_PS3_,comdat
	.globl	_ZN2at6native12_GLOBAL__N_126LayerNormForwardCUDAKernelIffLb1EEEvlPKT_PKT0_S8_S5_S5_PS3_ ; -- Begin function _ZN2at6native12_GLOBAL__N_126LayerNormForwardCUDAKernelIffLb1EEEvlPKT_PKT0_S8_S5_S5_PS3_
	.p2align	8
	.type	_ZN2at6native12_GLOBAL__N_126LayerNormForwardCUDAKernelIffLb1EEEvlPKT_PKT0_S8_S5_S5_PS3_,@function
_ZN2at6native12_GLOBAL__N_126LayerNormForwardCUDAKernelIffLb1EEEvlPKT_PKT0_S8_S5_S5_PS3_: ; @_ZN2at6native12_GLOBAL__N_126LayerNormForwardCUDAKernelIffLb1EEEvlPKT_PKT0_S8_S5_S5_PS3_
; %bb.0:
	s_load_b128 s[4:7], s[0:1], 0x0
	v_mov_b32_e32 v1, 0
	s_mov_b32 s2, exec_lo
	s_wait_kmcnt 0x0
	s_delay_alu instid0(VALU_DEP_1)
	v_cmpx_gt_i64_e64 s[4:5], v[0:1]
	s_cbranch_execz .LBB17_6
; %bb.1:
	s_clause 0x2
	s_load_b128 s[8:11], s[0:1], 0x18
	s_load_b32 s18, s[0:1], 0x44
	s_load_b64 s[12:13], s[0:1], 0x30
	s_mov_b32 s2, ttmp9
	s_mov_b32 s3, 0
	v_dual_mov_b32 v5, v1 :: v_dual_lshlrev_b32 v4, 2, v0
	s_mul_u64 s[14:15], s[4:5], s[2:3]
	v_dual_mov_b32 v3, v1 :: v_dual_mov_b32 v2, v0
	s_wait_kmcnt 0x0
	s_cmp_lg_u64 s[10:11], 0
	s_cselect_b32 s1, -1, 0
	s_lshl_b64 s[16:17], s[2:3], 2
	s_and_b32 s2, s18, 0xffff
	s_lshl_b64 s[18:19], s[14:15], 2
	s_add_nc_u64 s[8:9], s[8:9], s[16:17]
	s_add_nc_u64 s[6:7], s[6:7], s[18:19]
	s_lshl_b32 s14, s2, 2
	s_add_nc_u64 s[12:13], s[12:13], s[18:19]
	s_branch .LBB17_4
.LBB17_2:                               ;   in Loop: Header=BB17_4 Depth=1
	v_add_co_u32 v6, vcc_lo, s10, v4
	s_wait_alu 0xfffd
	v_add_co_ci_u32_e64 v7, null, s11, v5, vcc_lo
	global_load_b32 v0, v[6:7], off
.LBB17_3:                               ;   in Loop: Header=BB17_4 Depth=1
	v_add_co_u32 v6, vcc_lo, s6, v4
	s_wait_alu 0xfffd
	v_add_co_ci_u32_e64 v7, null, s7, v5, vcc_lo
	v_add_co_u32 v2, vcc_lo, v2, s2
	global_load_b32 v8, v1, s[8:9]
	global_load_b32 v6, v[6:7], off
	s_wait_alu 0xfffd
	v_add_co_ci_u32_e64 v3, null, 0, v3, vcc_lo
	s_wait_loadcnt 0x0
	v_mul_f32_e32 v8, v6, v8
	v_add_co_u32 v6, vcc_lo, s12, v4
	s_wait_alu 0xfffd
	v_add_co_ci_u32_e64 v7, null, s13, v5, vcc_lo
	v_cmp_le_i64_e32 vcc_lo, s[4:5], v[2:3]
	v_add_co_u32 v4, s0, v4, s14
	v_mul_f32_e32 v0, v0, v8
	s_wait_alu 0xf1ff
	v_add_co_ci_u32_e64 v5, null, 0, v5, s0
	s_or_b32 s3, vcc_lo, s3
	global_store_b32 v[6:7], v0, off
	s_wait_alu 0xfffe
	s_and_not1_b32 exec_lo, exec_lo, s3
	s_cbranch_execz .LBB17_6
.LBB17_4:                               ; =>This Inner Loop Header: Depth=1
	s_and_not1_b32 vcc_lo, exec_lo, s1
	s_wait_alu 0xfffe
	s_cbranch_vccz .LBB17_2
; %bb.5:                                ;   in Loop: Header=BB17_4 Depth=1
	v_mov_b32_e32 v0, 1.0
	s_branch .LBB17_3
.LBB17_6:
	s_endpgm
	.section	.rodata,"a",@progbits
	.p2align	6, 0x0
	.amdhsa_kernel _ZN2at6native12_GLOBAL__N_126LayerNormForwardCUDAKernelIffLb1EEEvlPKT_PKT0_S8_S5_S5_PS3_
		.amdhsa_group_segment_fixed_size 0
		.amdhsa_private_segment_fixed_size 0
		.amdhsa_kernarg_size 312
		.amdhsa_user_sgpr_count 2
		.amdhsa_user_sgpr_dispatch_ptr 0
		.amdhsa_user_sgpr_queue_ptr 0
		.amdhsa_user_sgpr_kernarg_segment_ptr 1
		.amdhsa_user_sgpr_dispatch_id 0
		.amdhsa_user_sgpr_private_segment_size 0
		.amdhsa_wavefront_size32 1
		.amdhsa_uses_dynamic_stack 0
		.amdhsa_enable_private_segment 0
		.amdhsa_system_sgpr_workgroup_id_x 1
		.amdhsa_system_sgpr_workgroup_id_y 0
		.amdhsa_system_sgpr_workgroup_id_z 0
		.amdhsa_system_sgpr_workgroup_info 0
		.amdhsa_system_vgpr_workitem_id 0
		.amdhsa_next_free_vgpr 9
		.amdhsa_next_free_sgpr 20
		.amdhsa_reserve_vcc 1
		.amdhsa_float_round_mode_32 0
		.amdhsa_float_round_mode_16_64 0
		.amdhsa_float_denorm_mode_32 3
		.amdhsa_float_denorm_mode_16_64 3
		.amdhsa_fp16_overflow 0
		.amdhsa_workgroup_processor_mode 1
		.amdhsa_memory_ordered 1
		.amdhsa_forward_progress 1
		.amdhsa_inst_pref_size 3
		.amdhsa_round_robin_scheduling 0
		.amdhsa_exception_fp_ieee_invalid_op 0
		.amdhsa_exception_fp_denorm_src 0
		.amdhsa_exception_fp_ieee_div_zero 0
		.amdhsa_exception_fp_ieee_overflow 0
		.amdhsa_exception_fp_ieee_underflow 0
		.amdhsa_exception_fp_ieee_inexact 0
		.amdhsa_exception_int_div_zero 0
	.end_amdhsa_kernel
	.section	.text._ZN2at6native12_GLOBAL__N_126LayerNormForwardCUDAKernelIffLb1EEEvlPKT_PKT0_S8_S5_S5_PS3_,"axG",@progbits,_ZN2at6native12_GLOBAL__N_126LayerNormForwardCUDAKernelIffLb1EEEvlPKT_PKT0_S8_S5_S5_PS3_,comdat
.Lfunc_end17:
	.size	_ZN2at6native12_GLOBAL__N_126LayerNormForwardCUDAKernelIffLb1EEEvlPKT_PKT0_S8_S5_S5_PS3_, .Lfunc_end17-_ZN2at6native12_GLOBAL__N_126LayerNormForwardCUDAKernelIffLb1EEEvlPKT_PKT0_S8_S5_S5_PS3_
                                        ; -- End function
	.set _ZN2at6native12_GLOBAL__N_126LayerNormForwardCUDAKernelIffLb1EEEvlPKT_PKT0_S8_S5_S5_PS3_.num_vgpr, 9
	.set _ZN2at6native12_GLOBAL__N_126LayerNormForwardCUDAKernelIffLb1EEEvlPKT_PKT0_S8_S5_S5_PS3_.num_agpr, 0
	.set _ZN2at6native12_GLOBAL__N_126LayerNormForwardCUDAKernelIffLb1EEEvlPKT_PKT0_S8_S5_S5_PS3_.numbered_sgpr, 20
	.set _ZN2at6native12_GLOBAL__N_126LayerNormForwardCUDAKernelIffLb1EEEvlPKT_PKT0_S8_S5_S5_PS3_.num_named_barrier, 0
	.set _ZN2at6native12_GLOBAL__N_126LayerNormForwardCUDAKernelIffLb1EEEvlPKT_PKT0_S8_S5_S5_PS3_.private_seg_size, 0
	.set _ZN2at6native12_GLOBAL__N_126LayerNormForwardCUDAKernelIffLb1EEEvlPKT_PKT0_S8_S5_S5_PS3_.uses_vcc, 1
	.set _ZN2at6native12_GLOBAL__N_126LayerNormForwardCUDAKernelIffLb1EEEvlPKT_PKT0_S8_S5_S5_PS3_.uses_flat_scratch, 0
	.set _ZN2at6native12_GLOBAL__N_126LayerNormForwardCUDAKernelIffLb1EEEvlPKT_PKT0_S8_S5_S5_PS3_.has_dyn_sized_stack, 0
	.set _ZN2at6native12_GLOBAL__N_126LayerNormForwardCUDAKernelIffLb1EEEvlPKT_PKT0_S8_S5_S5_PS3_.has_recursion, 0
	.set _ZN2at6native12_GLOBAL__N_126LayerNormForwardCUDAKernelIffLb1EEEvlPKT_PKT0_S8_S5_S5_PS3_.has_indirect_call, 0
	.section	.AMDGPU.csdata,"",@progbits
; Kernel info:
; codeLenInByte = 344
; TotalNumSgprs: 22
; NumVgprs: 9
; ScratchSize: 0
; MemoryBound: 0
; FloatMode: 240
; IeeeMode: 1
; LDSByteSize: 0 bytes/workgroup (compile time only)
; SGPRBlocks: 0
; VGPRBlocks: 1
; NumSGPRsForWavesPerEU: 22
; NumVGPRsForWavesPerEU: 9
; Occupancy: 16
; WaveLimiterHint : 0
; COMPUTE_PGM_RSRC2:SCRATCH_EN: 0
; COMPUTE_PGM_RSRC2:USER_SGPR: 2
; COMPUTE_PGM_RSRC2:TRAP_HANDLER: 0
; COMPUTE_PGM_RSRC2:TGID_X_EN: 1
; COMPUTE_PGM_RSRC2:TGID_Y_EN: 0
; COMPUTE_PGM_RSRC2:TGID_Z_EN: 0
; COMPUTE_PGM_RSRC2:TIDIG_COMP_CNT: 0
	.section	.text._ZN2at6native12_GLOBAL__N_128vectorized_layer_norm_kernelIN3c104HalfEfLb1EEEviT0_PKT_S8_S8_PS5_S9_PS6_,"axG",@progbits,_ZN2at6native12_GLOBAL__N_128vectorized_layer_norm_kernelIN3c104HalfEfLb1EEEviT0_PKT_S8_S8_PS5_S9_PS6_,comdat
	.globl	_ZN2at6native12_GLOBAL__N_128vectorized_layer_norm_kernelIN3c104HalfEfLb1EEEviT0_PKT_S8_S8_PS5_S9_PS6_ ; -- Begin function _ZN2at6native12_GLOBAL__N_128vectorized_layer_norm_kernelIN3c104HalfEfLb1EEEviT0_PKT_S8_S8_PS5_S9_PS6_
	.p2align	8
	.type	_ZN2at6native12_GLOBAL__N_128vectorized_layer_norm_kernelIN3c104HalfEfLb1EEEviT0_PKT_S8_S8_PS5_S9_PS6_,@function
_ZN2at6native12_GLOBAL__N_128vectorized_layer_norm_kernelIN3c104HalfEfLb1EEEviT0_PKT_S8_S8_PS5_S9_PS6_: ; @_ZN2at6native12_GLOBAL__N_128vectorized_layer_norm_kernelIN3c104HalfEfLb1EEEviT0_PKT_S8_S8_PS5_S9_PS6_
; %bb.0:
	s_clause 0x1
	s_load_b32 s3, s[0:1], 0x44
	s_load_b128 s[8:11], s[0:1], 0x0
	v_bfe_u32 v2, v0, 10, 10
	v_dual_mov_b32 v4, 0 :: v_dual_and_b32 v3, 0x3ff, v0
	s_mov_b32 s12, ttmp9
	s_mov_b32 s13, 0
	s_wait_kmcnt 0x0
	s_and_b32 s7, s3, 0xffff
	s_ashr_i32 s5, s8, 31
	v_mul_u32_u24_e32 v0, s7, v2
	s_lshr_b32 s2, s5, 30
	v_mad_u32_u24 v7, v2, s7, v3
	s_add_co_i32 s2, s8, s2
	s_mov_b32 s4, s8
	s_ashr_i32 s18, s2, 2
	v_add_lshl_u32 v8, v0, v3, 3
	v_cmp_gt_i32_e64 s2, s18, v7
	s_lshr_b32 s6, s3, 16
	s_mul_u64 s[16:17], s[4:5], s[12:13]
	s_wait_alu 0xfffe
	s_mul_i32 s14, s6, s7
	s_and_saveexec_b32 s7, s2
	s_cbranch_execz .LBB18_4
; %bb.1:
	s_lshl_b64 s[4:5], s[16:17], 1
	v_dual_mov_b32 v4, 0 :: v_dual_mov_b32 v5, v7
	s_add_nc_u64 s[4:5], s[10:11], s[4:5]
	s_ashr_i32 s15, s14, 31
	v_add_co_u32 v0, s3, s4, v8
	s_delay_alu instid0(VALU_DEP_1) | instskip(SKIP_2) | instid1(VALU_DEP_1)
	v_add_co_ci_u32_e64 v1, null, s5, 0, s3
	s_lshl_b64 s[4:5], s[14:15], 3
	v_add_co_u32 v0, vcc_lo, v0, 4
	v_add_co_ci_u32_e64 v1, null, 0, v1, vcc_lo
	s_mov_b32 s15, s13
.LBB18_2:                               ; =>This Inner Loop Header: Depth=1
	global_load_b64 v[9:10], v[0:1], off offset:-4
	v_add_nc_u32_e32 v5, s14, v5
	s_wait_alu 0xfffe
	v_add_co_u32 v0, vcc_lo, v0, s4
	s_wait_alu 0xfffd
	v_add_co_ci_u32_e64 v1, null, s5, v1, vcc_lo
	v_cmp_le_i32_e64 s3, s18, v5
	s_or_b32 s15, s3, s15
	s_wait_loadcnt 0x0
	v_fma_mix_f32 v4, v9, v9, v4 op_sel_hi:[1,1,0]
	s_delay_alu instid0(VALU_DEP_1) | instskip(NEXT) | instid1(VALU_DEP_1)
	v_fma_mix_f32 v4, v9, v9, v4 op_sel:[1,1,0] op_sel_hi:[1,1,0]
	v_fma_mix_f32 v4, v10, v10, v4 op_sel_hi:[1,1,0]
	s_delay_alu instid0(VALU_DEP_1)
	v_fma_mix_f32 v4, v10, v10, v4 op_sel:[1,1,0] op_sel_hi:[1,1,0]
	s_wait_alu 0xfffe
	s_and_not1_b32 exec_lo, exec_lo, s15
	s_cbranch_execnz .LBB18_2
; %bb.3:
	s_or_b32 exec_lo, exec_lo, s15
.LBB18_4:
	s_wait_alu 0xfffe
	s_or_b32 exec_lo, exec_lo, s7
	v_mbcnt_lo_u32_b32 v0, -1, 0
	s_cmp_lt_u32 s6, 2
	s_mov_b32 s3, -1
	s_delay_alu instid0(VALU_DEP_1) | instskip(SKIP_1) | instid1(VALU_DEP_2)
	v_lshlrev_b32_e32 v1, 2, v0
	v_cmp_gt_u32_e32 vcc_lo, 24, v0
	v_or_b32_e32 v1, 64, v1
	s_wait_alu 0xfffd
	v_cndmask_b32_e64 v5, 0, 8, vcc_lo
	v_cmp_gt_u32_e32 vcc_lo, 28, v0
	ds_bpermute_b32 v1, v1, v4
	v_add_lshl_u32 v5, v5, v0, 2
	s_wait_dscnt 0x0
	v_add_f32_e32 v1, v4, v1
	ds_bpermute_b32 v4, v5, v1
	s_wait_alu 0xfffd
	v_cndmask_b32_e64 v5, 0, 4, vcc_lo
	v_cmp_gt_u32_e32 vcc_lo, 30, v0
	s_delay_alu instid0(VALU_DEP_2)
	v_add_lshl_u32 v5, v5, v0, 2
	s_wait_dscnt 0x0
	v_add_f32_e32 v1, v1, v4
	ds_bpermute_b32 v4, v5, v1
	s_wait_alu 0xfffd
	v_cndmask_b32_e64 v5, 0, 2, vcc_lo
	v_cmp_ne_u32_e32 vcc_lo, 31, v0
	s_delay_alu instid0(VALU_DEP_2) | instskip(SKIP_2) | instid1(VALU_DEP_1)
	v_add_lshl_u32 v5, v5, v0, 2
	s_wait_alu 0xfffd
	v_add_co_ci_u32_e64 v0, null, 0, v0, vcc_lo
	v_lshlrev_b32_e32 v0, 2, v0
	s_wait_dscnt 0x0
	v_add_f32_e32 v1, v1, v4
	ds_bpermute_b32 v4, v5, v1
	s_wait_dscnt 0x0
	v_add_f32_e32 v1, v1, v4
	ds_bpermute_b32 v0, v0, v1
	s_wait_dscnt 0x0
	v_add_f32_e32 v4, v1, v0
                                        ; implicit-def: $vgpr1
	s_cbranch_scc0 .LBB18_6
; %bb.5:
	v_mov_b32_e32 v0, 0
	s_cvt_f32_i32 s3, s8
	ds_bpermute_b32 v0, v0, v4
	s_wait_dscnt 0x0
	s_wait_alu 0xfffe
	v_div_scale_f32 v1, null, s3, s3, v0
	s_delay_alu instid0(VALU_DEP_1) | instskip(NEXT) | instid1(TRANS32_DEP_1)
	v_rcp_f32_e32 v5, v1
	v_fma_f32 v6, -v1, v5, 1.0
	s_delay_alu instid0(VALU_DEP_1) | instskip(SKIP_1) | instid1(VALU_DEP_1)
	v_fmac_f32_e32 v5, v6, v5
	v_div_scale_f32 v6, vcc_lo, v0, s3, v0
	v_mul_f32_e32 v9, v6, v5
	s_delay_alu instid0(VALU_DEP_1) | instskip(NEXT) | instid1(VALU_DEP_1)
	v_fma_f32 v10, -v1, v9, v6
	v_fmac_f32_e32 v9, v10, v5
	s_delay_alu instid0(VALU_DEP_1) | instskip(SKIP_1) | instid1(VALU_DEP_1)
	v_fma_f32 v1, -v1, v9, v6
	s_wait_alu 0xfffd
	v_div_fmas_f32 v1, v1, v5, v9
	s_delay_alu instid0(VALU_DEP_1)
	v_div_fixup_f32 v1, v1, s3, v0
	s_mov_b32 s3, 0
.LBB18_6:
	v_mov_b32_e32 v0, 0
	s_wait_alu 0xfffe
	s_and_not1_b32 vcc_lo, exec_lo, s3
	s_wait_alu 0xfffe
	s_cbranch_vccnz .LBB18_17
; %bb.7:
	v_dual_mov_b32 v1, 0 :: v_dual_lshlrev_b32 v0, 3, v2
	s_lshl_b32 s3, s6, 2
	v_cmp_eq_u32_e32 vcc_lo, 0, v3
	s_wait_alu 0xfffe
	s_add_co_i32 s5, s3, 0
	v_add_nc_u32_e32 v0, 0, v0
.LBB18_8:                               ; =>This Inner Loop Header: Depth=1
	s_wait_alu 0xfffe
	s_lshr_b32 s7, s6, 1
	s_and_b32 s4, s6, 0xfffe
	s_wait_alu 0xfffe
	v_cmp_le_u32_e64 s3, s7, v2
	v_cmp_gt_u32_e64 s4, s4, v2
	s_and_b32 s3, vcc_lo, s3
	s_wait_alu 0xfffe
	s_and_b32 s4, s3, s4
	s_wait_alu 0xfffe
	s_and_saveexec_b32 s3, s4
	s_cbranch_execz .LBB18_10
; %bb.9:                                ;   in Loop: Header=BB18_8 Depth=1
	v_subrev_nc_u32_e32 v5, s7, v2
	s_delay_alu instid0(VALU_DEP_1)
	v_lshl_add_u32 v6, v5, 3, 0
	v_lshl_add_u32 v5, v5, 2, s5
	ds_store_2addr_b32 v6, v1, v4 offset1:1
	ds_store_b32 v5, v1
.LBB18_10:                              ;   in Loop: Header=BB18_8 Depth=1
	s_wait_alu 0xfffe
	s_or_b32 exec_lo, exec_lo, s3
	v_cmp_gt_u32_e64 s3, s7, v2
	s_wait_dscnt 0x0
	s_barrier_signal -1
	s_barrier_wait -1
	global_inv scope:SCOPE_SE
	s_and_b32 s4, vcc_lo, s3
	s_wait_alu 0xfffe
	s_and_saveexec_b32 s3, s4
	s_cbranch_execz .LBB18_12
; %bb.11:                               ;   in Loop: Header=BB18_8 Depth=1
	ds_load_b32 v5, v0 offset:4
	s_wait_dscnt 0x0
	v_add_f32_e32 v4, v4, v5
.LBB18_12:                              ;   in Loop: Header=BB18_8 Depth=1
	s_wait_alu 0xfffe
	s_or_b32 exec_lo, exec_lo, s3
	s_cmp_lt_u32 s6, 4
	s_wait_loadcnt 0x0
	s_barrier_signal -1
	s_barrier_wait -1
	global_inv scope:SCOPE_SE
	s_cbranch_scc1 .LBB18_14
; %bb.13:                               ;   in Loop: Header=BB18_8 Depth=1
	s_mov_b32 s6, s7
	s_branch .LBB18_8
.LBB18_14:
	v_or_b32_e32 v0, v3, v2
	s_mov_b32 s3, exec_lo
	s_delay_alu instid0(VALU_DEP_1)
	v_cmpx_eq_u32_e32 0, v0
	s_cbranch_execz .LBB18_16
; %bb.15:
	s_cvt_f32_i32 s4, s8
	s_wait_alu 0xfffe
	s_delay_alu instid0(SALU_CYCLE_2) | instskip(SKIP_1) | instid1(VALU_DEP_2)
	v_div_scale_f32 v0, null, s4, s4, v4
	v_div_scale_f32 v3, vcc_lo, v4, s4, v4
	v_rcp_f32_e32 v1, v0
	s_delay_alu instid0(TRANS32_DEP_1) | instskip(NEXT) | instid1(VALU_DEP_1)
	v_fma_f32 v2, -v0, v1, 1.0
	v_fmac_f32_e32 v1, v2, v1
	s_delay_alu instid0(VALU_DEP_1) | instskip(NEXT) | instid1(VALU_DEP_1)
	v_mul_f32_e32 v2, v3, v1
	v_fma_f32 v5, -v0, v2, v3
	s_delay_alu instid0(VALU_DEP_1) | instskip(NEXT) | instid1(VALU_DEP_1)
	v_fmac_f32_e32 v2, v5, v1
	v_fma_f32 v0, -v0, v2, v3
	s_wait_alu 0xfffd
	s_delay_alu instid0(VALU_DEP_1) | instskip(SKIP_1) | instid1(VALU_DEP_2)
	v_div_fmas_f32 v0, v0, v1, v2
	v_mov_b32_e32 v1, 0
	v_div_fixup_f32 v0, v0, s4, v4
	ds_store_2addr_b32 v1, v1, v0 offset1:1
.LBB18_16:
	s_wait_alu 0xfffe
	s_or_b32 exec_lo, exec_lo, s3
	v_mov_b32_e32 v0, 0
	s_wait_loadcnt_dscnt 0x0
	s_barrier_signal -1
	s_barrier_wait -1
	global_inv scope:SCOPE_SE
	ds_load_2addr_b32 v[0:1], v0 offset1:1
.LBB18_17:
	s_wait_dscnt 0x0
	v_add_f32_e32 v1, s9, v1
	s_load_b128 s[4:7], s[0:1], 0x28
	s_delay_alu instid0(VALU_DEP_1) | instskip(SKIP_2) | instid1(VALU_DEP_2)
	v_mul_f32_e32 v2, 0x4b800000, v1
	v_cmp_gt_f32_e32 vcc_lo, 0x800000, v1
	s_wait_alu 0xfffd
	v_cndmask_b32_e32 v1, v1, v2, vcc_lo
	s_delay_alu instid0(VALU_DEP_1) | instskip(NEXT) | instid1(TRANS32_DEP_1)
	v_rsq_f32_e32 v1, v1
	v_mul_f32_e32 v2, 0x45800000, v1
	s_delay_alu instid0(VALU_DEP_1)
	v_cndmask_b32_e32 v9, v1, v2, vcc_lo
	s_and_saveexec_b32 s19, s2
	s_cbranch_execz .LBB18_32
; %bb.18:
	s_load_b128 s[0:3], s[0:1], 0x10
	s_delay_alu instid0(VALU_DEP_1)
	v_dual_mov_b32 v10, v9 :: v_dual_mov_b32 v11, 0
	v_mov_b32_e32 v12, v7
	s_wait_kmcnt 0x0
	s_cmp_eq_u64 s[0:1], 0
	s_add_nc_u64 s[8:9], s[0:1], 4
	s_cselect_b32 s20, -1, 0
	s_cmp_eq_u64 s[2:3], 0
	s_cselect_b32 s0, -1, 0
	s_lshl_b64 s[16:17], s[16:17], 1
	v_cndmask_b32_e64 v13, 0, 1, s0
	s_ashr_i32 s15, s14, 31
	s_add_nc_u64 s[6:7], s[6:7], s[16:17]
	s_add_nc_u64 s[16:17], s[10:11], s[16:17]
	s_or_b32 s1, s20, s0
	s_wait_alu 0xfffe
	s_lshl_b64 s[10:11], s[14:15], 3
	s_add_nc_u64 s[16:17], s[16:17], 4
	s_mov_b32 s15, 0
	s_branch .LBB18_20
.LBB18_19:                              ;   in Loop: Header=BB18_20 Depth=1
	v_add_nc_u32_e32 v12, s14, v12
	s_delay_alu instid0(VALU_DEP_3)
	v_cvt_f16_f32_e32 v6, v6
	v_cvt_f16_f32_e32 v5, v5
	;; [unrolled: 1-line block ×4, first 2 shown]
	s_wait_loadcnt 0x0
	v_add_co_u32 v1, vcc_lo, s6, v8
	s_wait_alu 0xfffd
	v_add_co_ci_u32_e64 v2, null, s7, v11, vcc_lo
	v_cmp_le_i32_e32 vcc_lo, s18, v12
	v_add_co_u32 v8, s0, v8, s10
	v_pack_b32_f16 v4, v3, v4
	v_pack_b32_f16 v3, v5, v6
	s_wait_alu 0xf1ff
	v_add_co_ci_u32_e64 v11, null, s11, v11, s0
	s_or_b32 s15, vcc_lo, s15
	global_store_b64 v[1:2], v[3:4], off
	s_wait_alu 0xfffe
	s_and_not1_b32 exec_lo, exec_lo, s15
	s_cbranch_execz .LBB18_32
.LBB18_20:                              ; =>This Inner Loop Header: Depth=1
	v_add_co_u32 v1, vcc_lo, s16, v8
	s_wait_alu 0xfffd
	v_add_co_ci_u32_e64 v2, null, s17, v11, vcc_lo
	s_and_b32 vcc_lo, exec_lo, s1
	s_mov_b32 s0, -1
                                        ; implicit-def: $vgpr3_vgpr4
                                        ; implicit-def: $vgpr5_vgpr6
	global_load_b64 v[1:2], v[1:2], off offset:-4
	s_wait_alu 0xfffe
	s_cbranch_vccz .LBB18_30
; %bb.21:                               ;   in Loop: Header=BB18_20 Depth=1
	s_and_b32 vcc_lo, exec_lo, s20
                                        ; implicit-def: $vgpr3_vgpr4
                                        ; implicit-def: $vgpr5_vgpr6
	s_wait_alu 0xfffe
	s_cbranch_vccz .LBB18_27
; %bb.22:                               ;   in Loop: Header=BB18_20 Depth=1
	v_cmp_ne_u32_e32 vcc_lo, 1, v13
                                        ; implicit-def: $vgpr3_vgpr4
                                        ; implicit-def: $vgpr5_vgpr6
	s_cbranch_vccnz .LBB18_24
; %bb.23:                               ;   in Loop: Header=BB18_20 Depth=1
	s_wait_loadcnt 0x0
	v_lshrrev_b32_e32 v3, 16, v1
	v_lshrrev_b32_e32 v4, 16, v2
	v_cvt_f32_f16_e32 v5, v1
	v_cvt_f32_f16_e32 v6, v2
	s_mov_b32 s0, 0
	v_cvt_f32_f16_e32 v14, v3
	v_cvt_f32_f16_e32 v4, v4
	v_mul_f32_e32 v5, v9, v5
	v_mul_f32_e32 v3, v9, v6
	s_delay_alu instid0(VALU_DEP_4) | instskip(NEXT) | instid1(VALU_DEP_4)
	v_mul_f32_e32 v6, v10, v14
	v_mul_f32_e32 v4, v10, v4
.LBB18_24:                              ;   in Loop: Header=BB18_20 Depth=1
	s_wait_alu 0xfffe
	s_and_not1_b32 vcc_lo, exec_lo, s0
	s_wait_alu 0xfffe
	s_cbranch_vccnz .LBB18_26
; %bb.25:                               ;   in Loop: Header=BB18_20 Depth=1
	v_add_co_u32 v3, vcc_lo, s2, v8
	s_wait_alu 0xfffd
	v_add_co_ci_u32_e64 v4, null, s3, v11, vcc_lo
	s_wait_loadcnt 0x0
	v_lshrrev_b32_e32 v5, 16, v1
	v_lshrrev_b32_e32 v6, 16, v2
	v_cvt_f32_f16_e32 v14, v1
	global_load_b64 v[3:4], v[3:4], off
	v_cvt_f32_f16_e32 v15, v2
	v_cvt_f32_f16_e32 v5, v5
	v_cvt_f32_f16_e32 v6, v6
	v_sub_f32_e32 v14, v14, v0
	s_delay_alu instid0(VALU_DEP_4) | instskip(NEXT) | instid1(VALU_DEP_4)
	v_sub_f32_e32 v15, v15, v0
	v_sub_f32_e32 v16, v5, v0
	s_delay_alu instid0(VALU_DEP_4) | instskip(SKIP_2) | instid1(VALU_DEP_3)
	v_sub_f32_e32 v17, v6, v0
	s_wait_loadcnt 0x0
	v_fma_mix_f32 v5, v9, v14, v3 op_sel_hi:[0,0,1]
	v_fma_mix_f32 v6, v10, v16, v3 op_sel:[0,0,1] op_sel_hi:[0,0,1]
	v_fma_mix_f32 v3, v9, v15, v4 op_sel_hi:[0,0,1]
	v_fma_mix_f32 v4, v10, v17, v4 op_sel:[0,0,1] op_sel_hi:[0,0,1]
.LBB18_26:                              ;   in Loop: Header=BB18_20 Depth=1
	s_mov_b32 s0, 0
.LBB18_27:                              ;   in Loop: Header=BB18_20 Depth=1
	s_wait_alu 0xfffe
	s_and_not1_b32 vcc_lo, exec_lo, s0
	s_wait_alu 0xfffe
	s_cbranch_vccnz .LBB18_29
; %bb.28:                               ;   in Loop: Header=BB18_20 Depth=1
	v_add_co_u32 v3, vcc_lo, s8, v8
	s_wait_alu 0xfffd
	v_add_co_ci_u32_e64 v4, null, s9, v11, vcc_lo
	s_wait_loadcnt 0x0
	v_lshrrev_b32_e32 v5, 16, v1
	v_lshrrev_b32_e32 v14, 16, v2
	v_cvt_f32_f16_e32 v15, v2
	global_load_b64 v[3:4], v[3:4], off offset:-4
	v_cvt_f32_f16_e32 v6, v1
	v_cvt_f32_f16_e32 v5, v5
	;; [unrolled: 1-line block ×3, first 2 shown]
	s_delay_alu instid0(VALU_DEP_2) | instskip(NEXT) | instid1(VALU_DEP_2)
	v_dual_mul_f32 v15, v9, v15 :: v_dual_mul_f32 v16, v10, v5
	v_mul_f32_e32 v14, v10, v14
	s_wait_loadcnt 0x0
	v_lshrrev_b32_e32 v5, 16, v3
	v_lshrrev_b32_e32 v17, 16, v4
	v_cvt_f32_f16_e32 v3, v3
	v_cvt_f32_f16_e32 v4, v4
	v_mul_f32_e32 v6, v9, v6
	v_cvt_f32_f16_e32 v18, v5
	v_cvt_f32_f16_e32 v17, v17
	s_delay_alu instid0(VALU_DEP_2) | instskip(NEXT) | instid1(VALU_DEP_2)
	v_dual_mul_f32 v5, v6, v3 :: v_dual_mul_f32 v6, v16, v18
	v_dual_mul_f32 v3, v15, v4 :: v_dual_mul_f32 v4, v14, v17
.LBB18_29:                              ;   in Loop: Header=BB18_20 Depth=1
	s_mov_b32 s0, 0
.LBB18_30:                              ;   in Loop: Header=BB18_20 Depth=1
	s_wait_alu 0xfffe
	s_and_not1_b32 vcc_lo, exec_lo, s0
	s_wait_alu 0xfffe
	s_cbranch_vccnz .LBB18_19
; %bb.31:                               ;   in Loop: Header=BB18_20 Depth=1
	v_add_co_u32 v3, vcc_lo, s8, v8
	s_wait_alu 0xfffd
	v_add_co_ci_u32_e64 v4, null, s9, v11, vcc_lo
	s_wait_loadcnt 0x0
	v_lshrrev_b32_e32 v5, 16, v1
	v_lshrrev_b32_e32 v6, 16, v2
	v_cvt_f32_f16_e32 v1, v1
	global_load_b64 v[3:4], v[3:4], off offset:-4
	v_cvt_f32_f16_e32 v2, v2
	v_cvt_f32_f16_e32 v5, v5
	;; [unrolled: 1-line block ×3, first 2 shown]
	v_mul_f32_e32 v1, v9, v1
	s_delay_alu instid0(VALU_DEP_4) | instskip(NEXT) | instid1(VALU_DEP_3)
	v_mul_f32_e32 v2, v9, v2
	v_mul_f32_e32 v16, v10, v6
	;; [unrolled: 1-line block ×3, first 2 shown]
	s_wait_loadcnt 0x0
	v_lshrrev_b32_e32 v5, 16, v3
	v_lshrrev_b32_e32 v15, 16, v4
	v_cvt_f32_f16_e32 v3, v3
	v_cvt_f32_f16_e32 v4, v4
	s_delay_alu instid0(VALU_DEP_4) | instskip(NEXT) | instid1(VALU_DEP_4)
	v_cvt_f32_f16_e32 v6, v5
	v_cvt_f32_f16_e32 v15, v15
	s_delay_alu instid0(VALU_DEP_4) | instskip(NEXT) | instid1(VALU_DEP_4)
	v_mul_f32_e32 v5, v1, v3
	v_mul_f32_e32 v3, v2, v4
	s_delay_alu instid0(VALU_DEP_4) | instskip(NEXT) | instid1(VALU_DEP_4)
	v_mul_f32_e32 v6, v14, v6
	v_mul_f32_e32 v4, v16, v15
	s_branch .LBB18_19
.LBB18_32:
	s_wait_alu 0xfffe
	s_or_b32 exec_lo, exec_lo, s19
	s_delay_alu instid0(SALU_CYCLE_1)
	s_mov_b32 s0, exec_lo
	v_cmpx_eq_u32_e32 0, v7
	s_cbranch_execz .LBB18_34
; %bb.33:
	v_mov_b32_e32 v0, 0
	s_lshl_b64 s[0:1], s[12:13], 2
	s_wait_kmcnt 0x0
	s_wait_alu 0xfffe
	s_add_nc_u64 s[0:1], s[4:5], s[0:1]
	global_store_b32 v0, v9, s[0:1]
.LBB18_34:
	s_endpgm
	.section	.rodata,"a",@progbits
	.p2align	6, 0x0
	.amdhsa_kernel _ZN2at6native12_GLOBAL__N_128vectorized_layer_norm_kernelIN3c104HalfEfLb1EEEviT0_PKT_S8_S8_PS5_S9_PS6_
		.amdhsa_group_segment_fixed_size 0
		.amdhsa_private_segment_fixed_size 0
		.amdhsa_kernarg_size 312
		.amdhsa_user_sgpr_count 2
		.amdhsa_user_sgpr_dispatch_ptr 0
		.amdhsa_user_sgpr_queue_ptr 0
		.amdhsa_user_sgpr_kernarg_segment_ptr 1
		.amdhsa_user_sgpr_dispatch_id 0
		.amdhsa_user_sgpr_private_segment_size 0
		.amdhsa_wavefront_size32 1
		.amdhsa_uses_dynamic_stack 0
		.amdhsa_enable_private_segment 0
		.amdhsa_system_sgpr_workgroup_id_x 1
		.amdhsa_system_sgpr_workgroup_id_y 0
		.amdhsa_system_sgpr_workgroup_id_z 0
		.amdhsa_system_sgpr_workgroup_info 0
		.amdhsa_system_vgpr_workitem_id 1
		.amdhsa_next_free_vgpr 19
		.amdhsa_next_free_sgpr 21
		.amdhsa_reserve_vcc 1
		.amdhsa_float_round_mode_32 0
		.amdhsa_float_round_mode_16_64 0
		.amdhsa_float_denorm_mode_32 3
		.amdhsa_float_denorm_mode_16_64 3
		.amdhsa_fp16_overflow 0
		.amdhsa_workgroup_processor_mode 1
		.amdhsa_memory_ordered 1
		.amdhsa_forward_progress 1
		.amdhsa_inst_pref_size 16
		.amdhsa_round_robin_scheduling 0
		.amdhsa_exception_fp_ieee_invalid_op 0
		.amdhsa_exception_fp_denorm_src 0
		.amdhsa_exception_fp_ieee_div_zero 0
		.amdhsa_exception_fp_ieee_overflow 0
		.amdhsa_exception_fp_ieee_underflow 0
		.amdhsa_exception_fp_ieee_inexact 0
		.amdhsa_exception_int_div_zero 0
	.end_amdhsa_kernel
	.section	.text._ZN2at6native12_GLOBAL__N_128vectorized_layer_norm_kernelIN3c104HalfEfLb1EEEviT0_PKT_S8_S8_PS5_S9_PS6_,"axG",@progbits,_ZN2at6native12_GLOBAL__N_128vectorized_layer_norm_kernelIN3c104HalfEfLb1EEEviT0_PKT_S8_S8_PS5_S9_PS6_,comdat
.Lfunc_end18:
	.size	_ZN2at6native12_GLOBAL__N_128vectorized_layer_norm_kernelIN3c104HalfEfLb1EEEviT0_PKT_S8_S8_PS5_S9_PS6_, .Lfunc_end18-_ZN2at6native12_GLOBAL__N_128vectorized_layer_norm_kernelIN3c104HalfEfLb1EEEviT0_PKT_S8_S8_PS5_S9_PS6_
                                        ; -- End function
	.set _ZN2at6native12_GLOBAL__N_128vectorized_layer_norm_kernelIN3c104HalfEfLb1EEEviT0_PKT_S8_S8_PS5_S9_PS6_.num_vgpr, 19
	.set _ZN2at6native12_GLOBAL__N_128vectorized_layer_norm_kernelIN3c104HalfEfLb1EEEviT0_PKT_S8_S8_PS5_S9_PS6_.num_agpr, 0
	.set _ZN2at6native12_GLOBAL__N_128vectorized_layer_norm_kernelIN3c104HalfEfLb1EEEviT0_PKT_S8_S8_PS5_S9_PS6_.numbered_sgpr, 21
	.set _ZN2at6native12_GLOBAL__N_128vectorized_layer_norm_kernelIN3c104HalfEfLb1EEEviT0_PKT_S8_S8_PS5_S9_PS6_.num_named_barrier, 0
	.set _ZN2at6native12_GLOBAL__N_128vectorized_layer_norm_kernelIN3c104HalfEfLb1EEEviT0_PKT_S8_S8_PS5_S9_PS6_.private_seg_size, 0
	.set _ZN2at6native12_GLOBAL__N_128vectorized_layer_norm_kernelIN3c104HalfEfLb1EEEviT0_PKT_S8_S8_PS5_S9_PS6_.uses_vcc, 1
	.set _ZN2at6native12_GLOBAL__N_128vectorized_layer_norm_kernelIN3c104HalfEfLb1EEEviT0_PKT_S8_S8_PS5_S9_PS6_.uses_flat_scratch, 0
	.set _ZN2at6native12_GLOBAL__N_128vectorized_layer_norm_kernelIN3c104HalfEfLb1EEEviT0_PKT_S8_S8_PS5_S9_PS6_.has_dyn_sized_stack, 0
	.set _ZN2at6native12_GLOBAL__N_128vectorized_layer_norm_kernelIN3c104HalfEfLb1EEEviT0_PKT_S8_S8_PS5_S9_PS6_.has_recursion, 0
	.set _ZN2at6native12_GLOBAL__N_128vectorized_layer_norm_kernelIN3c104HalfEfLb1EEEviT0_PKT_S8_S8_PS5_S9_PS6_.has_indirect_call, 0
	.section	.AMDGPU.csdata,"",@progbits
; Kernel info:
; codeLenInByte = 2012
; TotalNumSgprs: 23
; NumVgprs: 19
; ScratchSize: 0
; MemoryBound: 0
; FloatMode: 240
; IeeeMode: 1
; LDSByteSize: 0 bytes/workgroup (compile time only)
; SGPRBlocks: 0
; VGPRBlocks: 2
; NumSGPRsForWavesPerEU: 23
; NumVGPRsForWavesPerEU: 19
; Occupancy: 16
; WaveLimiterHint : 0
; COMPUTE_PGM_RSRC2:SCRATCH_EN: 0
; COMPUTE_PGM_RSRC2:USER_SGPR: 2
; COMPUTE_PGM_RSRC2:TRAP_HANDLER: 0
; COMPUTE_PGM_RSRC2:TGID_X_EN: 1
; COMPUTE_PGM_RSRC2:TGID_Y_EN: 0
; COMPUTE_PGM_RSRC2:TGID_Z_EN: 0
; COMPUTE_PGM_RSRC2:TIDIG_COMP_CNT: 1
	.section	.text._ZN2at6native12_GLOBAL__N_124RowwiseMomentsCUDAKernelIN3c104HalfEfLb1EEEvlT0_PKT_PS5_S9_,"axG",@progbits,_ZN2at6native12_GLOBAL__N_124RowwiseMomentsCUDAKernelIN3c104HalfEfLb1EEEvlT0_PKT_PS5_S9_,comdat
	.globl	_ZN2at6native12_GLOBAL__N_124RowwiseMomentsCUDAKernelIN3c104HalfEfLb1EEEvlT0_PKT_PS5_S9_ ; -- Begin function _ZN2at6native12_GLOBAL__N_124RowwiseMomentsCUDAKernelIN3c104HalfEfLb1EEEvlT0_PKT_PS5_S9_
	.p2align	8
	.type	_ZN2at6native12_GLOBAL__N_124RowwiseMomentsCUDAKernelIN3c104HalfEfLb1EEEvlT0_PKT_PS5_S9_,@function
_ZN2at6native12_GLOBAL__N_124RowwiseMomentsCUDAKernelIN3c104HalfEfLb1EEEvlT0_PKT_PS5_S9_: ; @_ZN2at6native12_GLOBAL__N_124RowwiseMomentsCUDAKernelIN3c104HalfEfLb1EEEvlT0_PKT_PS5_S9_
; %bb.0:
	s_load_b64 s[6:7], s[0:1], 0x0
	v_dual_mov_b32 v1, 0 :: v_dual_mov_b32 v2, 0
	v_mov_b32_e32 v3, 0
	s_mov_b32 s4, ttmp9
	s_mov_b32 s5, 0
	s_delay_alu instid0(VALU_DEP_2)
	v_dual_mov_b32 v8, v1 :: v_dual_mov_b32 v9, v1
	s_mov_b32 s3, exec_lo
	s_wait_kmcnt 0x0
	v_cmpx_gt_i64_e64 s[6:7], v[0:1]
	s_cbranch_execz .LBB19_4
; %bb.1:
	s_clause 0x1
	s_load_b32 s2, s[0:1], 0x34
	s_load_b64 s[8:9], s[0:1], 0x10
	s_mul_u64 s[10:11], s[6:7], s[4:5]
	v_dual_mov_b32 v5, v1 :: v_dual_lshlrev_b32 v2, 1, v0
	s_lshl_b64 s[12:13], s[10:11], 1
	v_dual_mov_b32 v8, 0 :: v_dual_mov_b32 v9, 0
	v_mov_b32_e32 v4, v0
	s_wait_kmcnt 0x0
	s_and_b32 s10, s2, 0xffff
	s_add_nc_u64 s[8:9], s[8:9], s[12:13]
	s_lshl_b32 s11, s10, 1
	v_add_co_u32 v6, s2, s8, v2
	s_delay_alu instid0(VALU_DEP_1)
	v_add_co_ci_u32_e64 v7, null, s9, 0, s2
	s_mov_b64 s[8:9], 0
	s_mov_b32 s12, s5
.LBB19_2:                               ; =>This Inner Loop Header: Depth=1
	global_load_u16 v1, v[6:7], off
	s_wait_alu 0xfffe
	s_add_nc_u64 s[8:9], s[8:9], 1
	s_wait_alu 0xfffe
	s_clz_i32_u32 s2, s9
	s_wait_alu 0xfffe
	s_min_u32 s2, s2, 32
	s_wait_alu 0xfffe
	s_lshl_b64 s[14:15], s[8:9], s2
	s_sub_co_i32 s2, 32, s2
	s_min_u32 s13, s14, 1
	s_wait_alu 0xfffe
	s_or_b32 s13, s15, s13
	s_wait_alu 0xfffe
	s_cvt_f32_u32 s13, s13
	s_wait_loadcnt 0x0
	v_cvt_f32_f16_e32 v2, v1
	s_wait_alu 0xfffe
	v_ldexp_f32 v1, s13, s2
	s_delay_alu instid0(VALU_DEP_2) | instskip(NEXT) | instid1(VALU_DEP_1)
	v_sub_f32_e32 v10, v2, v9
	v_div_scale_f32 v3, null, v1, v1, v10
	s_delay_alu instid0(VALU_DEP_1) | instskip(NEXT) | instid1(TRANS32_DEP_1)
	v_rcp_f32_e32 v11, v3
	v_fma_f32 v12, -v3, v11, 1.0
	s_delay_alu instid0(VALU_DEP_1) | instskip(SKIP_1) | instid1(VALU_DEP_1)
	v_fmac_f32_e32 v11, v12, v11
	v_div_scale_f32 v13, vcc_lo, v10, v1, v10
	v_mul_f32_e32 v12, v13, v11
	s_delay_alu instid0(VALU_DEP_1) | instskip(NEXT) | instid1(VALU_DEP_1)
	v_fma_f32 v14, -v3, v12, v13
	v_fmac_f32_e32 v12, v14, v11
	s_delay_alu instid0(VALU_DEP_1) | instskip(SKIP_1) | instid1(VALU_DEP_1)
	v_fma_f32 v3, -v3, v12, v13
	s_wait_alu 0xfffd
	v_div_fmas_f32 v3, v3, v11, v12
	v_add_co_u32 v4, vcc_lo, v4, s10
	s_wait_alu 0xfffd
	v_add_co_ci_u32_e64 v5, null, 0, v5, vcc_lo
	s_delay_alu instid0(VALU_DEP_3) | instskip(SKIP_1) | instid1(VALU_DEP_3)
	v_div_fixup_f32 v3, v3, v1, v10
	v_add_co_u32 v6, vcc_lo, v6, s11
	v_cmp_le_i64_e64 s2, s[6:7], v[4:5]
	s_wait_alu 0xfffd
	v_add_co_ci_u32_e64 v7, null, 0, v7, vcc_lo
	v_add_f32_e32 v9, v9, v3
	s_delay_alu instid0(VALU_DEP_3) | instskip(NEXT) | instid1(VALU_DEP_1)
	s_or_b32 s12, s2, s12
	v_dual_sub_f32 v11, v2, v9 :: v_dual_mov_b32 v2, s8
	s_delay_alu instid0(VALU_DEP_1)
	v_dual_mov_b32 v3, s9 :: v_dual_fmac_f32 v8, v10, v11
	s_wait_alu 0xfffe
	s_and_not1_b32 exec_lo, exec_lo, s12
	s_cbranch_execnz .LBB19_2
; %bb.3:
	s_or_b32 exec_lo, exec_lo, s12
.LBB19_4:
	s_delay_alu instid0(SALU_CYCLE_1) | instskip(SKIP_2) | instid1(VALU_DEP_1)
	s_or_b32 exec_lo, exec_lo, s3
	v_mbcnt_lo_u32_b32 v11, -1, 0
	s_mov_b32 s2, exec_lo
	v_lshl_or_b32 v7, v11, 2, 64
	ds_bpermute_b32 v12, v7, v9
	ds_bpermute_b32 v6, v7, v8
	;; [unrolled: 1-line block ×5, first 2 shown]
	v_cmpx_neq_f32_e32 0, v1
	s_cbranch_execz .LBB19_8
; %bb.5:
	s_mov_b32 s3, exec_lo
	s_wait_dscnt 0x0
	v_cmpx_neq_f32_e32 0, v14
	s_cbranch_execz .LBB19_7
; %bb.6:
	v_add_f32_e32 v4, v1, v14
	v_add_f32_e32 v8, v8, v6
	s_delay_alu instid0(VALU_DEP_2) | instskip(SKIP_1) | instid1(VALU_DEP_2)
	v_div_scale_f32 v2, null, v4, v4, v14
	v_div_scale_f32 v10, vcc_lo, v14, v4, v14
	v_rcp_f32_e32 v3, v2
	s_delay_alu instid0(TRANS32_DEP_1) | instskip(NEXT) | instid1(VALU_DEP_1)
	v_fma_f32 v5, -v2, v3, 1.0
	v_fmac_f32_e32 v3, v5, v3
	s_delay_alu instid0(VALU_DEP_1) | instskip(NEXT) | instid1(VALU_DEP_1)
	v_mul_f32_e32 v5, v10, v3
	v_fma_f32 v13, -v2, v5, v10
	s_delay_alu instid0(VALU_DEP_1) | instskip(NEXT) | instid1(VALU_DEP_1)
	v_fmac_f32_e32 v5, v13, v3
	v_fma_f32 v2, -v2, v5, v10
	v_sub_f32_e32 v10, v12, v9
	s_wait_alu 0xfffd
	s_delay_alu instid0(VALU_DEP_2) | instskip(NEXT) | instid1(VALU_DEP_1)
	v_div_fmas_f32 v2, v2, v3, v5
	v_div_fixup_f32 v5, v2, v4, v14
	s_delay_alu instid0(VALU_DEP_3) | instskip(NEXT) | instid1(VALU_DEP_2)
	v_mul_f32_e32 v3, v10, v10
	v_fmac_f32_e32 v9, v10, v5
	s_delay_alu instid0(VALU_DEP_2) | instskip(NEXT) | instid1(VALU_DEP_1)
	v_dual_mul_f32 v1, v1, v3 :: v_dual_mov_b32 v2, -1
	v_dual_mov_b32 v3, -1 :: v_dual_fmac_f32 v8, v1, v5
	v_mov_b32_e32 v1, v4
.LBB19_7:
	s_wait_alu 0xfffe
	s_or_b32 exec_lo, exec_lo, s3
	s_delay_alu instid0(VALU_DEP_1)
	v_dual_mov_b32 v14, v1 :: v_dual_mov_b32 v5, v3
	v_mov_b32_e32 v4, v2
	v_mov_b32_e32 v6, v8
	;; [unrolled: 1-line block ×3, first 2 shown]
.LBB19_8:
	s_wait_alu 0xfffe
	s_or_b32 exec_lo, exec_lo, s2
	v_cmp_gt_u32_e32 vcc_lo, 24, v11
	s_mov_b32 s2, exec_lo
	s_wait_alu 0xfffd
	v_cndmask_b32_e64 v1, 0, 8, vcc_lo
	s_delay_alu instid0(VALU_DEP_1)
	v_add_lshl_u32 v8, v1, v11, 2
	s_wait_dscnt 0x4
	ds_bpermute_b32 v13, v8, v12
	s_wait_dscnt 0x4
	ds_bpermute_b32 v10, v8, v6
	;; [unrolled: 2-line block ×5, first 2 shown]
	v_cmpx_neq_f32_e32 0, v14
	s_cbranch_execz .LBB19_12
; %bb.9:
	s_mov_b32 s3, exec_lo
	s_wait_dscnt 0x0
	v_cmpx_neq_f32_e32 0, v15
	s_cbranch_execz .LBB19_11
; %bb.10:
	v_add_f32_e32 v1, v14, v15
	v_add_f32_e32 v6, v6, v10
	s_delay_alu instid0(VALU_DEP_2) | instskip(SKIP_1) | instid1(VALU_DEP_2)
	v_div_scale_f32 v2, null, v1, v1, v15
	v_div_scale_f32 v5, vcc_lo, v15, v1, v15
	v_rcp_f32_e32 v3, v2
	s_delay_alu instid0(TRANS32_DEP_1) | instskip(NEXT) | instid1(VALU_DEP_1)
	v_fma_f32 v4, -v2, v3, 1.0
	v_fmac_f32_e32 v3, v4, v3
	s_delay_alu instid0(VALU_DEP_1) | instskip(NEXT) | instid1(VALU_DEP_1)
	v_mul_f32_e32 v4, v5, v3
	v_fma_f32 v9, -v2, v4, v5
	s_delay_alu instid0(VALU_DEP_1) | instskip(NEXT) | instid1(VALU_DEP_1)
	v_fmac_f32_e32 v4, v9, v3
	v_fma_f32 v2, -v2, v4, v5
	s_wait_alu 0xfffd
	s_delay_alu instid0(VALU_DEP_1) | instskip(SKIP_2) | instid1(VALU_DEP_3)
	v_div_fmas_f32 v2, v2, v3, v4
	v_mov_b32_e32 v4, -1
	v_mov_b32_e32 v5, -1
	v_div_fixup_f32 v2, v2, v1, v15
	v_sub_f32_e32 v9, v13, v12
	s_delay_alu instid0(VALU_DEP_1) | instskip(NEXT) | instid1(VALU_DEP_1)
	v_mul_f32_e32 v3, v9, v9
	v_dual_mul_f32 v3, v14, v3 :: v_dual_mov_b32 v14, v1
	s_delay_alu instid0(VALU_DEP_1)
	v_fmac_f32_e32 v6, v3, v2
	v_fmac_f32_e32 v12, v9, v2
.LBB19_11:
	s_wait_alu 0xfffe
	s_or_b32 exec_lo, exec_lo, s3
	s_delay_alu instid0(VALU_DEP_2)
	v_dual_mov_b32 v1, v4 :: v_dual_mov_b32 v10, v6
	v_dual_mov_b32 v15, v14 :: v_dual_mov_b32 v2, v5
	v_mov_b32_e32 v13, v12
.LBB19_12:
	s_wait_alu 0xfffe
	s_or_b32 exec_lo, exec_lo, s2
	v_cmp_gt_u32_e32 vcc_lo, 28, v11
	s_mov_b32 s2, exec_lo
	s_wait_alu 0xfffd
	v_cndmask_b32_e64 v3, 0, 4, vcc_lo
	s_delay_alu instid0(VALU_DEP_1)
	v_add_lshl_u32 v9, v3, v11, 2
	s_wait_dscnt 0x4
	ds_bpermute_b32 v14, v9, v13
	s_wait_dscnt 0x4
	ds_bpermute_b32 v12, v9, v10
	;; [unrolled: 2-line block ×5, first 2 shown]
	v_cmpx_neq_f32_e32 0, v15
	s_cbranch_execz .LBB19_16
; %bb.13:
	s_mov_b32 s3, exec_lo
	s_wait_dscnt 0x0
	v_cmpx_neq_f32_e32 0, v16
	s_cbranch_execz .LBB19_15
; %bb.14:
	v_add_f32_e32 v3, v15, v16
	v_add_f32_e32 v10, v10, v12
	s_delay_alu instid0(VALU_DEP_2) | instskip(NEXT) | instid1(VALU_DEP_1)
	v_div_scale_f32 v1, null, v3, v3, v16
	v_rcp_f32_e32 v2, v1
	s_delay_alu instid0(TRANS32_DEP_1) | instskip(NEXT) | instid1(VALU_DEP_1)
	v_fma_f32 v4, -v1, v2, 1.0
	v_fmac_f32_e32 v2, v4, v2
	v_div_scale_f32 v5, vcc_lo, v16, v3, v16
	s_delay_alu instid0(VALU_DEP_1) | instskip(NEXT) | instid1(VALU_DEP_1)
	v_mul_f32_e32 v4, v5, v2
	v_fma_f32 v6, -v1, v4, v5
	s_delay_alu instid0(VALU_DEP_1) | instskip(NEXT) | instid1(VALU_DEP_1)
	v_fmac_f32_e32 v4, v6, v2
	v_fma_f32 v1, -v1, v4, v5
	v_sub_f32_e32 v5, v14, v13
	s_wait_alu 0xfffd
	s_delay_alu instid0(VALU_DEP_2) | instskip(NEXT) | instid1(VALU_DEP_2)
	v_div_fmas_f32 v1, v1, v2, v4
	v_mul_f32_e32 v2, v5, v5
	s_delay_alu instid0(VALU_DEP_2) | instskip(NEXT) | instid1(VALU_DEP_2)
	v_div_fixup_f32 v4, v1, v3, v16
	v_dual_mul_f32 v6, v15, v2 :: v_dual_mov_b32 v1, -1
	v_dual_mov_b32 v2, -1 :: v_dual_mov_b32 v15, v3
	s_delay_alu instid0(VALU_DEP_3) | instskip(NEXT) | instid1(VALU_DEP_3)
	v_fmac_f32_e32 v13, v5, v4
	v_fmac_f32_e32 v10, v6, v4
.LBB19_15:
	s_wait_alu 0xfffe
	s_or_b32 exec_lo, exec_lo, s3
	v_mov_b32_e32 v4, v2
	v_dual_mov_b32 v16, v15 :: v_dual_mov_b32 v3, v1
	v_mov_b32_e32 v12, v10
	v_mov_b32_e32 v14, v13
.LBB19_16:
	s_wait_alu 0xfffe
	s_or_b32 exec_lo, exec_lo, s2
	v_cmp_gt_u32_e32 vcc_lo, 30, v11
	s_mov_b32 s2, exec_lo
	s_wait_alu 0xfffd
	v_cndmask_b32_e64 v1, 0, 2, vcc_lo
	s_delay_alu instid0(VALU_DEP_1)
	v_add_lshl_u32 v10, v1, v11, 2
	s_wait_dscnt 0x4
	ds_bpermute_b32 v15, v10, v14
	s_wait_dscnt 0x4
	ds_bpermute_b32 v13, v10, v12
	;; [unrolled: 2-line block ×5, first 2 shown]
	v_cmpx_neq_f32_e32 0, v16
	s_cbranch_execz .LBB19_20
; %bb.17:
	s_mov_b32 s3, exec_lo
	s_wait_dscnt 0x0
	v_cmpx_neq_f32_e32 0, v17
	s_cbranch_execz .LBB19_19
; %bb.18:
	v_add_f32_e32 v1, v16, v17
	v_add_f32_e32 v12, v12, v13
	s_delay_alu instid0(VALU_DEP_2) | instskip(SKIP_1) | instid1(VALU_DEP_2)
	v_div_scale_f32 v2, null, v1, v1, v17
	v_div_scale_f32 v5, vcc_lo, v17, v1, v17
	v_rcp_f32_e32 v3, v2
	s_delay_alu instid0(TRANS32_DEP_1) | instskip(NEXT) | instid1(VALU_DEP_1)
	v_fma_f32 v4, -v2, v3, 1.0
	v_fmac_f32_e32 v3, v4, v3
	s_delay_alu instid0(VALU_DEP_1) | instskip(NEXT) | instid1(VALU_DEP_1)
	v_mul_f32_e32 v4, v5, v3
	v_fma_f32 v6, -v2, v4, v5
	s_delay_alu instid0(VALU_DEP_1) | instskip(NEXT) | instid1(VALU_DEP_1)
	v_fmac_f32_e32 v4, v6, v3
	v_fma_f32 v2, -v2, v4, v5
	v_sub_f32_e32 v5, v15, v14
	s_wait_alu 0xfffd
	s_delay_alu instid0(VALU_DEP_2) | instskip(NEXT) | instid1(VALU_DEP_1)
	v_div_fmas_f32 v2, v2, v3, v4
	v_div_fixup_f32 v2, v2, v1, v17
	s_delay_alu instid0(VALU_DEP_3) | instskip(NEXT) | instid1(VALU_DEP_2)
	v_mul_f32_e32 v3, v5, v5
	v_fmac_f32_e32 v14, v5, v2
	s_delay_alu instid0(VALU_DEP_2) | instskip(SKIP_2) | instid1(VALU_DEP_3)
	v_dual_mul_f32 v6, v16, v3 :: v_dual_mov_b32 v3, -1
	v_mov_b32_e32 v4, -1
	v_mov_b32_e32 v16, v1
	v_fmac_f32_e32 v12, v6, v2
.LBB19_19:
	s_wait_alu 0xfffe
	s_or_b32 exec_lo, exec_lo, s3
	s_delay_alu instid0(VALU_DEP_2)
	v_dual_mov_b32 v17, v16 :: v_dual_mov_b32 v6, v4
	v_mov_b32_e32 v5, v3
	v_mov_b32_e32 v13, v12
	v_mov_b32_e32 v15, v14
.LBB19_20:
	s_wait_alu 0xfffe
	s_or_b32 exec_lo, exec_lo, s2
	v_cmp_ne_u32_e32 vcc_lo, 31, v11
	s_mov_b32 s2, exec_lo
	s_wait_alu 0xfffd
	v_add_co_ci_u32_e64 v1, null, 0, v11, vcc_lo
	s_delay_alu instid0(VALU_DEP_1)
	v_lshlrev_b32_e32 v11, 2, v1
	s_wait_dscnt 0x4
	ds_bpermute_b32 v1, v11, v15
	s_wait_dscnt 0x4
	ds_bpermute_b32 v2, v11, v13
	;; [unrolled: 2-line block ×5, first 2 shown]
	v_cmpx_neq_f32_e32 0, v17
	s_cbranch_execz .LBB19_24
; %bb.21:
	s_mov_b32 s3, exec_lo
	s_wait_dscnt 0x0
	v_cmpx_neq_f32_e32 0, v12
	s_cbranch_execz .LBB19_23
; %bb.22:
	v_add_f32_e32 v3, v17, v12
	v_add_f32_e32 v13, v13, v2
	v_sub_f32_e32 v1, v1, v15
	s_delay_alu instid0(VALU_DEP_3) | instskip(SKIP_1) | instid1(VALU_DEP_2)
	v_div_scale_f32 v4, null, v3, v3, v12
	v_div_scale_f32 v14, vcc_lo, v12, v3, v12
	v_rcp_f32_e32 v5, v4
	s_delay_alu instid0(TRANS32_DEP_1) | instskip(NEXT) | instid1(VALU_DEP_1)
	v_fma_f32 v6, -v4, v5, 1.0
	v_fmac_f32_e32 v5, v6, v5
	s_delay_alu instid0(VALU_DEP_1) | instskip(NEXT) | instid1(VALU_DEP_1)
	v_mul_f32_e32 v6, v14, v5
	v_fma_f32 v16, -v4, v6, v14
	s_delay_alu instid0(VALU_DEP_1) | instskip(NEXT) | instid1(VALU_DEP_1)
	v_fmac_f32_e32 v6, v16, v5
	v_fma_f32 v4, -v4, v6, v14
	s_wait_alu 0xfffd
	s_delay_alu instid0(VALU_DEP_1) | instskip(SKIP_1) | instid1(VALU_DEP_2)
	v_div_fmas_f32 v4, v4, v5, v6
	v_mul_f32_e32 v5, v1, v1
	v_div_fixup_f32 v2, v4, v3, v12
	s_delay_alu instid0(VALU_DEP_2) | instskip(SKIP_1) | instid1(VALU_DEP_3)
	v_dual_mul_f32 v4, v17, v5 :: v_dual_mov_b32 v5, -1
	v_dual_mov_b32 v6, -1 :: v_dual_mov_b32 v17, v3
	v_fmac_f32_e32 v15, v1, v2
	s_delay_alu instid0(VALU_DEP_3)
	v_fmac_f32_e32 v13, v4, v2
.LBB19_23:
	s_wait_alu 0xfffe
	s_or_b32 exec_lo, exec_lo, s3
	v_dual_mov_b32 v12, v17 :: v_dual_mov_b32 v3, v5
	v_dual_mov_b32 v4, v6 :: v_dual_mov_b32 v1, v15
	v_mov_b32_e32 v2, v13
.LBB19_24:
	s_wait_alu 0xfffe
	s_or_b32 exec_lo, exec_lo, s2
	v_and_b32_e32 v5, 31, v0
	s_mov_b32 s2, exec_lo
	s_wait_dscnt 0x0
	s_barrier_signal -1
	s_barrier_wait -1
	global_inv scope:SCOPE_SE
	v_cmpx_eq_u32_e32 0, v5
	s_cbranch_execz .LBB19_26
; %bb.25:
	v_lshrrev_b32_e32 v6, 5, v0
	s_delay_alu instid0(VALU_DEP_1)
	v_mul_u32_u24_e32 v6, 24, v6
	ds_store_2addr_b64 v6, v[1:2], v[3:4] offset1:1
	ds_store_b32 v6, v12 offset:16
.LBB19_26:
	s_wait_alu 0xfffe
	s_or_b32 exec_lo, exec_lo, s2
	s_wait_loadcnt_dscnt 0x0
	s_barrier_signal -1
	s_barrier_wait -1
	global_inv scope:SCOPE_SE
	s_load_b32 s2, s[0:1], 0x34
	v_mul_u32_u24_e32 v4, 24, v5
	v_dual_mov_b32 v1, 0 :: v_dual_mov_b32 v2, 0
	s_wait_kmcnt 0x0
	s_bfe_u32 s2, s2, 0xb0005
	s_wait_alu 0xfffe
	v_cmp_gt_u32_e32 vcc_lo, s2, v0
	s_and_saveexec_b32 s2, vcc_lo
	s_cbranch_execnz .LBB19_55
; %bb.27:
	s_wait_alu 0xfffe
	s_or_b32 exec_lo, exec_lo, s2
	s_and_saveexec_b32 s2, vcc_lo
	s_cbranch_execnz .LBB19_56
.LBB19_28:
	s_wait_alu 0xfffe
	s_or_b32 exec_lo, exec_lo, s2
	v_mov_b32_e32 v3, 0
	s_and_saveexec_b32 s2, vcc_lo
.LBB19_29:
	ds_load_b32 v3, v4 offset:16
.LBB19_30:
	s_wait_alu 0xfffe
	s_or_b32 exec_lo, exec_lo, s2
	s_delay_alu instid0(SALU_CYCLE_1)
	s_mov_b32 s2, exec_lo
	v_cmpx_gt_u32_e32 32, v0
	s_cbranch_execz .LBB19_52
; %bb.31:
	s_wait_dscnt 0x0
	ds_bpermute_b32 v6, v7, v2
	ds_bpermute_b32 v4, v7, v1
	;; [unrolled: 1-line block ×3, first 2 shown]
	s_mov_b32 s3, exec_lo
	v_cmpx_neq_f32_e32 0, v3
	s_cbranch_execz .LBB19_35
; %bb.32:
	s_mov_b32 s6, exec_lo
	s_wait_dscnt 0x0
	v_cmpx_neq_f32_e32 0, v5
	s_cbranch_execz .LBB19_34
; %bb.33:
	v_dual_add_f32 v7, v3, v5 :: v_dual_sub_f32 v6, v6, v2
	v_add_f32_e32 v1, v1, v4
	s_delay_alu instid0(VALU_DEP_2) | instskip(SKIP_1) | instid1(VALU_DEP_2)
	v_div_scale_f32 v12, null, v7, v7, v5
	v_div_scale_f32 v15, vcc_lo, v5, v7, v5
	v_rcp_f32_e32 v13, v12
	s_delay_alu instid0(TRANS32_DEP_1) | instskip(NEXT) | instid1(VALU_DEP_1)
	v_fma_f32 v14, -v12, v13, 1.0
	v_fmac_f32_e32 v13, v14, v13
	s_delay_alu instid0(VALU_DEP_1) | instskip(NEXT) | instid1(VALU_DEP_1)
	v_mul_f32_e32 v14, v15, v13
	v_fma_f32 v16, -v12, v14, v15
	s_delay_alu instid0(VALU_DEP_1) | instskip(NEXT) | instid1(VALU_DEP_1)
	v_fmac_f32_e32 v14, v16, v13
	v_fma_f32 v12, -v12, v14, v15
	s_wait_alu 0xfffd
	s_delay_alu instid0(VALU_DEP_1) | instskip(SKIP_1) | instid1(VALU_DEP_2)
	v_div_fmas_f32 v12, v12, v13, v14
	v_mul_f32_e32 v13, v6, v6
	v_div_fixup_f32 v4, v12, v7, v5
	s_delay_alu instid0(VALU_DEP_1) | instskip(NEXT) | instid1(VALU_DEP_1)
	v_dual_mul_f32 v3, v3, v13 :: v_dual_fmac_f32 v2, v6, v4
	v_fmac_f32_e32 v1, v3, v4
	v_mov_b32_e32 v3, v7
.LBB19_34:
	s_wait_alu 0xfffe
	s_or_b32 exec_lo, exec_lo, s6
	s_delay_alu instid0(VALU_DEP_1)
	v_dual_mov_b32 v5, v3 :: v_dual_mov_b32 v4, v1
	v_mov_b32_e32 v6, v2
.LBB19_35:
	s_wait_alu 0xfffe
	s_or_b32 exec_lo, exec_lo, s3
	s_wait_dscnt 0x2
	ds_bpermute_b32 v7, v8, v6
	s_wait_dscnt 0x2
	ds_bpermute_b32 v1, v8, v4
	;; [unrolled: 2-line block ×3, first 2 shown]
	s_mov_b32 s3, exec_lo
	v_cmpx_neq_f32_e32 0, v5
	s_cbranch_execz .LBB19_39
; %bb.36:
	s_mov_b32 s6, exec_lo
	s_wait_dscnt 0x0
	v_cmpx_neq_f32_e32 0, v3
	s_cbranch_execz .LBB19_38
; %bb.37:
	v_dual_add_f32 v2, v5, v3 :: v_dual_sub_f32 v7, v7, v6
	v_add_f32_e32 v4, v4, v1
	s_delay_alu instid0(VALU_DEP_2) | instskip(SKIP_1) | instid1(VALU_DEP_2)
	v_div_scale_f32 v8, null, v2, v2, v3
	v_div_scale_f32 v14, vcc_lo, v3, v2, v3
	v_rcp_f32_e32 v12, v8
	s_delay_alu instid0(TRANS32_DEP_1) | instskip(NEXT) | instid1(VALU_DEP_1)
	v_fma_f32 v13, -v8, v12, 1.0
	v_fmac_f32_e32 v12, v13, v12
	s_delay_alu instid0(VALU_DEP_1) | instskip(NEXT) | instid1(VALU_DEP_1)
	v_mul_f32_e32 v13, v14, v12
	v_fma_f32 v15, -v8, v13, v14
	s_delay_alu instid0(VALU_DEP_1) | instskip(NEXT) | instid1(VALU_DEP_1)
	v_fmac_f32_e32 v13, v15, v12
	v_fma_f32 v8, -v8, v13, v14
	s_wait_alu 0xfffd
	s_delay_alu instid0(VALU_DEP_1) | instskip(SKIP_1) | instid1(VALU_DEP_2)
	v_div_fmas_f32 v8, v8, v12, v13
	v_mul_f32_e32 v12, v7, v7
	v_div_fixup_f32 v1, v8, v2, v3
	s_delay_alu instid0(VALU_DEP_2) | instskip(NEXT) | instid1(VALU_DEP_2)
	v_mul_f32_e32 v3, v5, v12
	v_dual_mov_b32 v5, v2 :: v_dual_fmac_f32 v6, v7, v1
	s_delay_alu instid0(VALU_DEP_2)
	v_fmac_f32_e32 v4, v3, v1
.LBB19_38:
	s_wait_alu 0xfffe
	s_or_b32 exec_lo, exec_lo, s6
	s_delay_alu instid0(VALU_DEP_2) | instskip(NEXT) | instid1(VALU_DEP_2)
	v_mov_b32_e32 v3, v5
	v_mov_b32_e32 v1, v4
	;; [unrolled: 1-line block ×3, first 2 shown]
.LBB19_39:
	s_wait_alu 0xfffe
	s_or_b32 exec_lo, exec_lo, s3
	s_wait_dscnt 0x2
	ds_bpermute_b32 v8, v9, v7
	s_wait_dscnt 0x2
	ds_bpermute_b32 v2, v9, v1
	;; [unrolled: 2-line block ×3, first 2 shown]
	s_mov_b32 s3, exec_lo
	v_cmpx_neq_f32_e32 0, v3
	s_cbranch_execz .LBB19_43
; %bb.40:
	s_mov_b32 s6, exec_lo
	s_wait_dscnt 0x0
	v_cmpx_neq_f32_e32 0, v6
	s_cbranch_execz .LBB19_42
; %bb.41:
	v_add_f32_e32 v4, v3, v6
	v_dual_sub_f32 v8, v8, v7 :: v_dual_add_f32 v1, v1, v2
	s_delay_alu instid0(VALU_DEP_2) | instskip(NEXT) | instid1(VALU_DEP_1)
	v_div_scale_f32 v5, null, v4, v4, v6
	v_rcp_f32_e32 v9, v5
	s_delay_alu instid0(TRANS32_DEP_1) | instskip(NEXT) | instid1(VALU_DEP_1)
	v_fma_f32 v12, -v5, v9, 1.0
	v_fmac_f32_e32 v9, v12, v9
	v_div_scale_f32 v13, vcc_lo, v6, v4, v6
	s_delay_alu instid0(VALU_DEP_1) | instskip(NEXT) | instid1(VALU_DEP_1)
	v_mul_f32_e32 v12, v13, v9
	v_fma_f32 v14, -v5, v12, v13
	s_delay_alu instid0(VALU_DEP_1) | instskip(NEXT) | instid1(VALU_DEP_1)
	v_fmac_f32_e32 v12, v14, v9
	v_fma_f32 v5, -v5, v12, v13
	s_wait_alu 0xfffd
	s_delay_alu instid0(VALU_DEP_1) | instskip(SKIP_1) | instid1(VALU_DEP_2)
	v_div_fmas_f32 v5, v5, v9, v12
	v_mul_f32_e32 v9, v8, v8
	v_div_fixup_f32 v2, v5, v4, v6
	s_delay_alu instid0(VALU_DEP_2) | instskip(NEXT) | instid1(VALU_DEP_2)
	v_mul_f32_e32 v3, v3, v9
	v_fmac_f32_e32 v7, v8, v2
	s_delay_alu instid0(VALU_DEP_2)
	v_fmac_f32_e32 v1, v3, v2
	v_mov_b32_e32 v3, v4
.LBB19_42:
	s_wait_alu 0xfffe
	s_or_b32 exec_lo, exec_lo, s6
	s_delay_alu instid0(VALU_DEP_1)
	v_mov_b32_e32 v6, v3
	v_mov_b32_e32 v2, v1
	;; [unrolled: 1-line block ×3, first 2 shown]
.LBB19_43:
	s_wait_alu 0xfffe
	s_or_b32 exec_lo, exec_lo, s3
	s_wait_dscnt 0x2
	ds_bpermute_b32 v7, v10, v8
	s_wait_dscnt 0x2
	ds_bpermute_b32 v4, v10, v2
	;; [unrolled: 2-line block ×3, first 2 shown]
	s_mov_b32 s3, exec_lo
	v_cmpx_neq_f32_e32 0, v6
	s_cbranch_execz .LBB19_47
; %bb.44:
	s_mov_b32 s6, exec_lo
	s_wait_dscnt 0x0
	v_cmpx_neq_f32_e32 0, v5
	s_cbranch_execz .LBB19_46
; %bb.45:
	v_sub_f32_e32 v7, v7, v8
	v_add_f32_e32 v1, v6, v5
	v_add_f32_e32 v2, v2, v4
	s_delay_alu instid0(VALU_DEP_2) | instskip(SKIP_1) | instid1(VALU_DEP_2)
	v_div_scale_f32 v3, null, v1, v1, v5
	v_div_scale_f32 v12, vcc_lo, v5, v1, v5
	v_rcp_f32_e32 v9, v3
	s_delay_alu instid0(TRANS32_DEP_1) | instskip(NEXT) | instid1(VALU_DEP_1)
	v_fma_f32 v10, -v3, v9, 1.0
	v_fmac_f32_e32 v9, v10, v9
	s_delay_alu instid0(VALU_DEP_1) | instskip(NEXT) | instid1(VALU_DEP_1)
	v_mul_f32_e32 v10, v12, v9
	v_fma_f32 v13, -v3, v10, v12
	s_delay_alu instid0(VALU_DEP_1) | instskip(NEXT) | instid1(VALU_DEP_1)
	v_fmac_f32_e32 v10, v13, v9
	v_fma_f32 v3, -v3, v10, v12
	s_wait_alu 0xfffd
	s_delay_alu instid0(VALU_DEP_1) | instskip(SKIP_1) | instid1(VALU_DEP_2)
	v_div_fmas_f32 v3, v3, v9, v10
	v_mul_f32_e32 v9, v7, v7
	v_div_fixup_f32 v3, v3, v1, v5
	s_delay_alu instid0(VALU_DEP_2) | instskip(NEXT) | instid1(VALU_DEP_2)
	v_mul_f32_e32 v4, v6, v9
	v_fmac_f32_e32 v8, v7, v3
	s_delay_alu instid0(VALU_DEP_2)
	v_fmac_f32_e32 v2, v4, v3
	v_mov_b32_e32 v6, v1
.LBB19_46:
	s_wait_alu 0xfffe
	s_or_b32 exec_lo, exec_lo, s6
	s_delay_alu instid0(VALU_DEP_1)
	v_dual_mov_b32 v5, v6 :: v_dual_mov_b32 v4, v2
	v_mov_b32_e32 v7, v8
.LBB19_47:
	s_wait_alu 0xfffe
	s_or_b32 exec_lo, exec_lo, s3
	s_wait_dscnt 0x2
	ds_bpermute_b32 v2, v11, v7
	s_wait_dscnt 0x2
	ds_bpermute_b32 v1, v11, v4
	s_wait_dscnt 0x2
	ds_bpermute_b32 v3, v11, v5
	s_mov_b32 s3, exec_lo
	v_cmpx_neq_f32_e32 0, v5
	s_cbranch_execz .LBB19_51
; %bb.48:
	s_mov_b32 s6, exec_lo
	s_wait_dscnt 0x0
	v_cmpx_neq_f32_e32 0, v3
	s_cbranch_execz .LBB19_50
; %bb.49:
	v_add_f32_e32 v6, v5, v3
	v_sub_f32_e32 v2, v2, v7
	v_add_f32_e32 v4, v4, v1
	s_delay_alu instid0(VALU_DEP_3) | instskip(NEXT) | instid1(VALU_DEP_1)
	v_div_scale_f32 v8, null, v6, v6, v3
	v_rcp_f32_e32 v9, v8
	s_delay_alu instid0(TRANS32_DEP_1) | instskip(NEXT) | instid1(VALU_DEP_1)
	v_fma_f32 v10, -v8, v9, 1.0
	v_fmac_f32_e32 v9, v10, v9
	v_div_scale_f32 v11, vcc_lo, v3, v6, v3
	s_delay_alu instid0(VALU_DEP_1) | instskip(NEXT) | instid1(VALU_DEP_1)
	v_mul_f32_e32 v10, v11, v9
	v_fma_f32 v12, -v8, v10, v11
	s_delay_alu instid0(VALU_DEP_1) | instskip(NEXT) | instid1(VALU_DEP_1)
	v_fmac_f32_e32 v10, v12, v9
	v_fma_f32 v8, -v8, v10, v11
	s_wait_alu 0xfffd
	s_delay_alu instid0(VALU_DEP_1) | instskip(SKIP_1) | instid1(VALU_DEP_2)
	v_div_fmas_f32 v8, v8, v9, v10
	v_mul_f32_e32 v9, v2, v2
	v_div_fixup_f32 v1, v8, v6, v3
	s_delay_alu instid0(VALU_DEP_2) | instskip(SKIP_1) | instid1(VALU_DEP_3)
	v_mul_f32_e32 v3, v5, v9
	v_mov_b32_e32 v5, v6
	v_fmac_f32_e32 v7, v2, v1
	s_delay_alu instid0(VALU_DEP_3)
	v_fmac_f32_e32 v4, v3, v1
.LBB19_50:
	s_wait_alu 0xfffe
	s_or_b32 exec_lo, exec_lo, s6
	s_delay_alu instid0(VALU_DEP_2) | instskip(NEXT) | instid1(VALU_DEP_2)
	v_dual_mov_b32 v3, v5 :: v_dual_mov_b32 v2, v7
	v_mov_b32_e32 v1, v4
.LBB19_51:
	s_wait_alu 0xfffe
	s_or_b32 exec_lo, exec_lo, s3
.LBB19_52:
	s_wait_alu 0xfffe
	s_or_b32 exec_lo, exec_lo, s2
	s_delay_alu instid0(SALU_CYCLE_1)
	s_mov_b32 s2, exec_lo
	v_cmpx_eq_u32_e32 0, v0
	s_cbranch_execz .LBB19_54
; %bb.53:
	s_wait_dscnt 0x0
	v_max_num_f32_e32 v0, v3, v3
	s_clause 0x1
	s_load_b32 s2, s[0:1], 0x8
	s_load_b64 s[0:1], s[0:1], 0x20
	s_delay_alu instid0(VALU_DEP_1) | instskip(NEXT) | instid1(VALU_DEP_1)
	v_max_num_f32_e32 v0, 0, v0
	v_div_scale_f32 v3, null, v0, v0, v1
	v_div_scale_f32 v6, vcc_lo, v1, v0, v1
	s_delay_alu instid0(VALU_DEP_2) | instskip(NEXT) | instid1(TRANS32_DEP_1)
	v_rcp_f32_e32 v4, v3
	v_fma_f32 v5, -v3, v4, 1.0
	s_delay_alu instid0(VALU_DEP_1) | instskip(NEXT) | instid1(VALU_DEP_1)
	v_fmac_f32_e32 v4, v5, v4
	v_mul_f32_e32 v5, v6, v4
	s_delay_alu instid0(VALU_DEP_1) | instskip(NEXT) | instid1(VALU_DEP_1)
	v_fma_f32 v7, -v3, v5, v6
	v_fmac_f32_e32 v5, v7, v4
	s_delay_alu instid0(VALU_DEP_1) | instskip(SKIP_1) | instid1(VALU_DEP_1)
	v_fma_f32 v3, -v3, v5, v6
	s_wait_alu 0xfffd
	v_div_fmas_f32 v3, v3, v4, v5
	s_delay_alu instid0(VALU_DEP_1) | instskip(NEXT) | instid1(VALU_DEP_1)
	v_div_fixup_f32 v0, v3, v0, v1
	v_fmac_f32_e32 v0, v2, v2
	s_wait_kmcnt 0x0
	s_delay_alu instid0(VALU_DEP_1) | instskip(SKIP_3) | instid1(VALU_DEP_1)
	v_add_f32_e32 v0, s2, v0
	s_lshl_b64 s[2:3], s[4:5], 2
	s_wait_alu 0xfffe
	s_add_nc_u64 s[0:1], s[0:1], s[2:3]
	v_mul_f32_e32 v1, 0x4b800000, v0
	v_cmp_gt_f32_e32 vcc_lo, 0x800000, v0
	s_wait_alu 0xfffd
	s_delay_alu instid0(VALU_DEP_2) | instskip(NEXT) | instid1(VALU_DEP_1)
	v_cndmask_b32_e32 v0, v0, v1, vcc_lo
	v_rsq_f32_e32 v0, v0
	s_delay_alu instid0(TRANS32_DEP_1) | instskip(NEXT) | instid1(VALU_DEP_1)
	v_mul_f32_e32 v1, 0x45800000, v0
	v_dual_cndmask_b32 v0, v0, v1 :: v_dual_mov_b32 v1, 0
	global_store_b32 v1, v0, s[0:1]
.LBB19_54:
	s_endpgm
.LBB19_55:
	ds_load_b32 v2, v4
	s_wait_alu 0xfffe
	s_or_b32 exec_lo, exec_lo, s2
	s_and_saveexec_b32 s2, vcc_lo
	s_cbranch_execz .LBB19_28
.LBB19_56:
	ds_load_b32 v1, v4 offset:4
	s_wait_alu 0xfffe
	s_or_b32 exec_lo, exec_lo, s2
	v_mov_b32_e32 v3, 0
	s_and_saveexec_b32 s2, vcc_lo
	s_cbranch_execnz .LBB19_29
	s_branch .LBB19_30
	.section	.rodata,"a",@progbits
	.p2align	6, 0x0
	.amdhsa_kernel _ZN2at6native12_GLOBAL__N_124RowwiseMomentsCUDAKernelIN3c104HalfEfLb1EEEvlT0_PKT_PS5_S9_
		.amdhsa_group_segment_fixed_size 768
		.amdhsa_private_segment_fixed_size 0
		.amdhsa_kernarg_size 296
		.amdhsa_user_sgpr_count 2
		.amdhsa_user_sgpr_dispatch_ptr 0
		.amdhsa_user_sgpr_queue_ptr 0
		.amdhsa_user_sgpr_kernarg_segment_ptr 1
		.amdhsa_user_sgpr_dispatch_id 0
		.amdhsa_user_sgpr_private_segment_size 0
		.amdhsa_wavefront_size32 1
		.amdhsa_uses_dynamic_stack 0
		.amdhsa_enable_private_segment 0
		.amdhsa_system_sgpr_workgroup_id_x 1
		.amdhsa_system_sgpr_workgroup_id_y 0
		.amdhsa_system_sgpr_workgroup_id_z 0
		.amdhsa_system_sgpr_workgroup_info 0
		.amdhsa_system_vgpr_workitem_id 0
		.amdhsa_next_free_vgpr 18
		.amdhsa_next_free_sgpr 16
		.amdhsa_reserve_vcc 1
		.amdhsa_float_round_mode_32 0
		.amdhsa_float_round_mode_16_64 0
		.amdhsa_float_denorm_mode_32 3
		.amdhsa_float_denorm_mode_16_64 3
		.amdhsa_fp16_overflow 0
		.amdhsa_workgroup_processor_mode 1
		.amdhsa_memory_ordered 1
		.amdhsa_forward_progress 1
		.amdhsa_inst_pref_size 28
		.amdhsa_round_robin_scheduling 0
		.amdhsa_exception_fp_ieee_invalid_op 0
		.amdhsa_exception_fp_denorm_src 0
		.amdhsa_exception_fp_ieee_div_zero 0
		.amdhsa_exception_fp_ieee_overflow 0
		.amdhsa_exception_fp_ieee_underflow 0
		.amdhsa_exception_fp_ieee_inexact 0
		.amdhsa_exception_int_div_zero 0
	.end_amdhsa_kernel
	.section	.text._ZN2at6native12_GLOBAL__N_124RowwiseMomentsCUDAKernelIN3c104HalfEfLb1EEEvlT0_PKT_PS5_S9_,"axG",@progbits,_ZN2at6native12_GLOBAL__N_124RowwiseMomentsCUDAKernelIN3c104HalfEfLb1EEEvlT0_PKT_PS5_S9_,comdat
.Lfunc_end19:
	.size	_ZN2at6native12_GLOBAL__N_124RowwiseMomentsCUDAKernelIN3c104HalfEfLb1EEEvlT0_PKT_PS5_S9_, .Lfunc_end19-_ZN2at6native12_GLOBAL__N_124RowwiseMomentsCUDAKernelIN3c104HalfEfLb1EEEvlT0_PKT_PS5_S9_
                                        ; -- End function
	.set _ZN2at6native12_GLOBAL__N_124RowwiseMomentsCUDAKernelIN3c104HalfEfLb1EEEvlT0_PKT_PS5_S9_.num_vgpr, 18
	.set _ZN2at6native12_GLOBAL__N_124RowwiseMomentsCUDAKernelIN3c104HalfEfLb1EEEvlT0_PKT_PS5_S9_.num_agpr, 0
	.set _ZN2at6native12_GLOBAL__N_124RowwiseMomentsCUDAKernelIN3c104HalfEfLb1EEEvlT0_PKT_PS5_S9_.numbered_sgpr, 16
	.set _ZN2at6native12_GLOBAL__N_124RowwiseMomentsCUDAKernelIN3c104HalfEfLb1EEEvlT0_PKT_PS5_S9_.num_named_barrier, 0
	.set _ZN2at6native12_GLOBAL__N_124RowwiseMomentsCUDAKernelIN3c104HalfEfLb1EEEvlT0_PKT_PS5_S9_.private_seg_size, 0
	.set _ZN2at6native12_GLOBAL__N_124RowwiseMomentsCUDAKernelIN3c104HalfEfLb1EEEvlT0_PKT_PS5_S9_.uses_vcc, 1
	.set _ZN2at6native12_GLOBAL__N_124RowwiseMomentsCUDAKernelIN3c104HalfEfLb1EEEvlT0_PKT_PS5_S9_.uses_flat_scratch, 0
	.set _ZN2at6native12_GLOBAL__N_124RowwiseMomentsCUDAKernelIN3c104HalfEfLb1EEEvlT0_PKT_PS5_S9_.has_dyn_sized_stack, 0
	.set _ZN2at6native12_GLOBAL__N_124RowwiseMomentsCUDAKernelIN3c104HalfEfLb1EEEvlT0_PKT_PS5_S9_.has_recursion, 0
	.set _ZN2at6native12_GLOBAL__N_124RowwiseMomentsCUDAKernelIN3c104HalfEfLb1EEEvlT0_PKT_PS5_S9_.has_indirect_call, 0
	.section	.AMDGPU.csdata,"",@progbits
; Kernel info:
; codeLenInByte = 3576
; TotalNumSgprs: 18
; NumVgprs: 18
; ScratchSize: 0
; MemoryBound: 0
; FloatMode: 240
; IeeeMode: 1
; LDSByteSize: 768 bytes/workgroup (compile time only)
; SGPRBlocks: 0
; VGPRBlocks: 2
; NumSGPRsForWavesPerEU: 18
; NumVGPRsForWavesPerEU: 18
; Occupancy: 16
; WaveLimiterHint : 0
; COMPUTE_PGM_RSRC2:SCRATCH_EN: 0
; COMPUTE_PGM_RSRC2:USER_SGPR: 2
; COMPUTE_PGM_RSRC2:TRAP_HANDLER: 0
; COMPUTE_PGM_RSRC2:TGID_X_EN: 1
; COMPUTE_PGM_RSRC2:TGID_Y_EN: 0
; COMPUTE_PGM_RSRC2:TGID_Z_EN: 0
; COMPUTE_PGM_RSRC2:TIDIG_COMP_CNT: 0
	.section	.text._ZN2at6native12_GLOBAL__N_126LayerNormForwardCUDAKernelIN3c104HalfEfLb1EEEvlPKT_PKT0_SA_S7_S7_PS5_,"axG",@progbits,_ZN2at6native12_GLOBAL__N_126LayerNormForwardCUDAKernelIN3c104HalfEfLb1EEEvlPKT_PKT0_SA_S7_S7_PS5_,comdat
	.globl	_ZN2at6native12_GLOBAL__N_126LayerNormForwardCUDAKernelIN3c104HalfEfLb1EEEvlPKT_PKT0_SA_S7_S7_PS5_ ; -- Begin function _ZN2at6native12_GLOBAL__N_126LayerNormForwardCUDAKernelIN3c104HalfEfLb1EEEvlPKT_PKT0_SA_S7_S7_PS5_
	.p2align	8
	.type	_ZN2at6native12_GLOBAL__N_126LayerNormForwardCUDAKernelIN3c104HalfEfLb1EEEvlPKT_PKT0_SA_S7_S7_PS5_,@function
_ZN2at6native12_GLOBAL__N_126LayerNormForwardCUDAKernelIN3c104HalfEfLb1EEEvlPKT_PKT0_SA_S7_S7_PS5_: ; @_ZN2at6native12_GLOBAL__N_126LayerNormForwardCUDAKernelIN3c104HalfEfLb1EEEvlPKT_PKT0_SA_S7_S7_PS5_
; %bb.0:
	s_load_b128 s[4:7], s[0:1], 0x0
	v_mov_b32_e32 v1, 0
	s_mov_b32 s2, exec_lo
	s_wait_kmcnt 0x0
	s_delay_alu instid0(VALU_DEP_1)
	v_cmpx_gt_i64_e64 s[4:5], v[0:1]
	s_cbranch_execz .LBB20_6
; %bb.1:
	s_clause 0x2
	s_load_b128 s[8:11], s[0:1], 0x18
	s_load_b32 s16, s[0:1], 0x44
	s_load_b64 s[14:15], s[0:1], 0x30
	s_mov_b32 s2, ttmp9
	s_mov_b32 s3, 0
	v_dual_mov_b32 v3, v1 :: v_dual_lshlrev_b32 v2, 1, v0
	s_wait_kmcnt 0x0
	s_cmp_lg_u64 s[10:11], 0
	s_cselect_b32 s1, -1, 0
	s_lshl_b64 s[12:13], s[2:3], 2
	s_delay_alu instid0(SALU_CYCLE_1)
	s_add_nc_u64 s[8:9], s[8:9], s[12:13]
	s_load_b32 s12, s[8:9], 0x0
	s_mul_u64 s[8:9], s[4:5], s[2:3]
	s_and_b32 s2, s16, 0xffff
	s_lshl_b64 s[8:9], s[8:9], 1
	s_lshl_b32 s13, s2, 1
	s_add_nc_u64 s[6:7], s[6:7], s[8:9]
	s_add_nc_u64 s[8:9], s[14:15], s[8:9]
	s_branch .LBB20_4
.LBB20_2:                               ;   in Loop: Header=BB20_4 Depth=1
	v_add_co_u32 v4, vcc_lo, s10, v2
	s_wait_alu 0xfffd
	v_add_co_ci_u32_e64 v5, null, s11, v3, vcc_lo
	global_load_u16 v4, v[4:5], off
	s_wait_loadcnt 0x0
	v_cvt_f32_f16_e32 v4, v4
.LBB20_3:                               ;   in Loop: Header=BB20_4 Depth=1
	v_add_co_u32 v5, vcc_lo, s6, v2
	s_wait_alu 0xfffd
	v_add_co_ci_u32_e64 v6, null, s7, v3, vcc_lo
	v_add_co_u32 v0, vcc_lo, v0, s2
	s_wait_alu 0xfffd
	v_add_co_ci_u32_e64 v1, null, 0, v1, vcc_lo
	global_load_u16 v5, v[5:6], off
	s_wait_loadcnt 0x0
	v_cvt_f32_f16_e32 v5, v5
	s_wait_kmcnt 0x0
	s_delay_alu instid0(VALU_DEP_1)
	v_mul_f32_e32 v7, s12, v5
	v_add_co_u32 v5, vcc_lo, s8, v2
	s_wait_alu 0xfffd
	v_add_co_ci_u32_e64 v6, null, s9, v3, vcc_lo
	v_cmp_le_i64_e32 vcc_lo, s[4:5], v[0:1]
	v_add_co_u32 v2, s0, v2, s13
	v_fma_mixlo_f16 v4, v4, v7, 0
	s_wait_alu 0xf1ff
	v_add_co_ci_u32_e64 v3, null, 0, v3, s0
	s_or_b32 s3, vcc_lo, s3
	global_store_b16 v[5:6], v4, off
	s_wait_alu 0xfffe
	s_and_not1_b32 exec_lo, exec_lo, s3
	s_cbranch_execz .LBB20_6
.LBB20_4:                               ; =>This Inner Loop Header: Depth=1
	s_and_not1_b32 vcc_lo, exec_lo, s1
	s_wait_alu 0xfffe
	s_cbranch_vccz .LBB20_2
; %bb.5:                                ;   in Loop: Header=BB20_4 Depth=1
	v_mov_b32_e32 v4, 1.0
	s_branch .LBB20_3
.LBB20_6:
	s_endpgm
	.section	.rodata,"a",@progbits
	.p2align	6, 0x0
	.amdhsa_kernel _ZN2at6native12_GLOBAL__N_126LayerNormForwardCUDAKernelIN3c104HalfEfLb1EEEvlPKT_PKT0_SA_S7_S7_PS5_
		.amdhsa_group_segment_fixed_size 0
		.amdhsa_private_segment_fixed_size 0
		.amdhsa_kernarg_size 312
		.amdhsa_user_sgpr_count 2
		.amdhsa_user_sgpr_dispatch_ptr 0
		.amdhsa_user_sgpr_queue_ptr 0
		.amdhsa_user_sgpr_kernarg_segment_ptr 1
		.amdhsa_user_sgpr_dispatch_id 0
		.amdhsa_user_sgpr_private_segment_size 0
		.amdhsa_wavefront_size32 1
		.amdhsa_uses_dynamic_stack 0
		.amdhsa_enable_private_segment 0
		.amdhsa_system_sgpr_workgroup_id_x 1
		.amdhsa_system_sgpr_workgroup_id_y 0
		.amdhsa_system_sgpr_workgroup_id_z 0
		.amdhsa_system_sgpr_workgroup_info 0
		.amdhsa_system_vgpr_workitem_id 0
		.amdhsa_next_free_vgpr 8
		.amdhsa_next_free_sgpr 17
		.amdhsa_reserve_vcc 1
		.amdhsa_float_round_mode_32 0
		.amdhsa_float_round_mode_16_64 0
		.amdhsa_float_denorm_mode_32 3
		.amdhsa_float_denorm_mode_16_64 3
		.amdhsa_fp16_overflow 0
		.amdhsa_workgroup_processor_mode 1
		.amdhsa_memory_ordered 1
		.amdhsa_forward_progress 1
		.amdhsa_inst_pref_size 3
		.amdhsa_round_robin_scheduling 0
		.amdhsa_exception_fp_ieee_invalid_op 0
		.amdhsa_exception_fp_denorm_src 0
		.amdhsa_exception_fp_ieee_div_zero 0
		.amdhsa_exception_fp_ieee_overflow 0
		.amdhsa_exception_fp_ieee_underflow 0
		.amdhsa_exception_fp_ieee_inexact 0
		.amdhsa_exception_int_div_zero 0
	.end_amdhsa_kernel
	.section	.text._ZN2at6native12_GLOBAL__N_126LayerNormForwardCUDAKernelIN3c104HalfEfLb1EEEvlPKT_PKT0_SA_S7_S7_PS5_,"axG",@progbits,_ZN2at6native12_GLOBAL__N_126LayerNormForwardCUDAKernelIN3c104HalfEfLb1EEEvlPKT_PKT0_SA_S7_S7_PS5_,comdat
.Lfunc_end20:
	.size	_ZN2at6native12_GLOBAL__N_126LayerNormForwardCUDAKernelIN3c104HalfEfLb1EEEvlPKT_PKT0_SA_S7_S7_PS5_, .Lfunc_end20-_ZN2at6native12_GLOBAL__N_126LayerNormForwardCUDAKernelIN3c104HalfEfLb1EEEvlPKT_PKT0_SA_S7_S7_PS5_
                                        ; -- End function
	.set _ZN2at6native12_GLOBAL__N_126LayerNormForwardCUDAKernelIN3c104HalfEfLb1EEEvlPKT_PKT0_SA_S7_S7_PS5_.num_vgpr, 8
	.set _ZN2at6native12_GLOBAL__N_126LayerNormForwardCUDAKernelIN3c104HalfEfLb1EEEvlPKT_PKT0_SA_S7_S7_PS5_.num_agpr, 0
	.set _ZN2at6native12_GLOBAL__N_126LayerNormForwardCUDAKernelIN3c104HalfEfLb1EEEvlPKT_PKT0_SA_S7_S7_PS5_.numbered_sgpr, 17
	.set _ZN2at6native12_GLOBAL__N_126LayerNormForwardCUDAKernelIN3c104HalfEfLb1EEEvlPKT_PKT0_SA_S7_S7_PS5_.num_named_barrier, 0
	.set _ZN2at6native12_GLOBAL__N_126LayerNormForwardCUDAKernelIN3c104HalfEfLb1EEEvlPKT_PKT0_SA_S7_S7_PS5_.private_seg_size, 0
	.set _ZN2at6native12_GLOBAL__N_126LayerNormForwardCUDAKernelIN3c104HalfEfLb1EEEvlPKT_PKT0_SA_S7_S7_PS5_.uses_vcc, 1
	.set _ZN2at6native12_GLOBAL__N_126LayerNormForwardCUDAKernelIN3c104HalfEfLb1EEEvlPKT_PKT0_SA_S7_S7_PS5_.uses_flat_scratch, 0
	.set _ZN2at6native12_GLOBAL__N_126LayerNormForwardCUDAKernelIN3c104HalfEfLb1EEEvlPKT_PKT0_SA_S7_S7_PS5_.has_dyn_sized_stack, 0
	.set _ZN2at6native12_GLOBAL__N_126LayerNormForwardCUDAKernelIN3c104HalfEfLb1EEEvlPKT_PKT0_SA_S7_S7_PS5_.has_recursion, 0
	.set _ZN2at6native12_GLOBAL__N_126LayerNormForwardCUDAKernelIN3c104HalfEfLb1EEEvlPKT_PKT0_SA_S7_S7_PS5_.has_indirect_call, 0
	.section	.AMDGPU.csdata,"",@progbits
; Kernel info:
; codeLenInByte = 360
; TotalNumSgprs: 19
; NumVgprs: 8
; ScratchSize: 0
; MemoryBound: 0
; FloatMode: 240
; IeeeMode: 1
; LDSByteSize: 0 bytes/workgroup (compile time only)
; SGPRBlocks: 0
; VGPRBlocks: 0
; NumSGPRsForWavesPerEU: 19
; NumVGPRsForWavesPerEU: 8
; Occupancy: 16
; WaveLimiterHint : 0
; COMPUTE_PGM_RSRC2:SCRATCH_EN: 0
; COMPUTE_PGM_RSRC2:USER_SGPR: 2
; COMPUTE_PGM_RSRC2:TRAP_HANDLER: 0
; COMPUTE_PGM_RSRC2:TGID_X_EN: 1
; COMPUTE_PGM_RSRC2:TGID_Y_EN: 0
; COMPUTE_PGM_RSRC2:TGID_Z_EN: 0
; COMPUTE_PGM_RSRC2:TIDIG_COMP_CNT: 0
	.section	.text._ZN2at6native12_GLOBAL__N_128vectorized_layer_norm_kernelIN3c108BFloat16EfLb1EEEviT0_PKT_S8_S8_PS5_S9_PS6_,"axG",@progbits,_ZN2at6native12_GLOBAL__N_128vectorized_layer_norm_kernelIN3c108BFloat16EfLb1EEEviT0_PKT_S8_S8_PS5_S9_PS6_,comdat
	.globl	_ZN2at6native12_GLOBAL__N_128vectorized_layer_norm_kernelIN3c108BFloat16EfLb1EEEviT0_PKT_S8_S8_PS5_S9_PS6_ ; -- Begin function _ZN2at6native12_GLOBAL__N_128vectorized_layer_norm_kernelIN3c108BFloat16EfLb1EEEviT0_PKT_S8_S8_PS5_S9_PS6_
	.p2align	8
	.type	_ZN2at6native12_GLOBAL__N_128vectorized_layer_norm_kernelIN3c108BFloat16EfLb1EEEviT0_PKT_S8_S8_PS5_S9_PS6_,@function
_ZN2at6native12_GLOBAL__N_128vectorized_layer_norm_kernelIN3c108BFloat16EfLb1EEEviT0_PKT_S8_S8_PS5_S9_PS6_: ; @_ZN2at6native12_GLOBAL__N_128vectorized_layer_norm_kernelIN3c108BFloat16EfLb1EEEviT0_PKT_S8_S8_PS5_S9_PS6_
; %bb.0:
	s_clause 0x1
	s_load_b32 s3, s[0:1], 0x44
	s_load_b128 s[8:11], s[0:1], 0x0
	v_bfe_u32 v2, v0, 10, 10
	v_dual_mov_b32 v4, 0 :: v_dual_and_b32 v3, 0x3ff, v0
	s_mov_b32 s12, ttmp9
	s_mov_b32 s13, 0
	s_wait_kmcnt 0x0
	s_and_b32 s7, s3, 0xffff
	s_ashr_i32 s5, s8, 31
	v_mul_u32_u24_e32 v0, s7, v2
	s_lshr_b32 s2, s5, 30
	v_mad_u32_u24 v6, v2, s7, v3
	s_add_co_i32 s2, s8, s2
	s_mov_b32 s4, s8
	s_ashr_i32 s18, s2, 2
	v_add_lshl_u32 v7, v0, v3, 3
	v_cmp_gt_i32_e64 s2, s18, v6
	s_lshr_b32 s6, s3, 16
	s_mul_u64 s[16:17], s[4:5], s[12:13]
	s_wait_alu 0xfffe
	s_mul_i32 s14, s6, s7
	s_and_saveexec_b32 s7, s2
	s_cbranch_execz .LBB21_4
; %bb.1:
	s_lshl_b64 s[4:5], s[16:17], 1
	v_dual_mov_b32 v4, 0 :: v_dual_mov_b32 v5, v6
	s_add_nc_u64 s[4:5], s[10:11], s[4:5]
	s_ashr_i32 s15, s14, 31
	v_add_co_u32 v0, s3, s4, v7
	s_delay_alu instid0(VALU_DEP_1)
	v_add_co_ci_u32_e64 v1, null, s5, 0, s3
	s_lshl_b64 s[4:5], s[14:15], 3
	s_mov_b32 s15, s13
.LBB21_2:                               ; =>This Inner Loop Header: Depth=1
	global_load_b64 v[8:9], v[0:1], off
	s_wait_alu 0xfffe
	v_add_co_u32 v0, vcc_lo, v0, s4
	s_wait_alu 0xfffd
	v_add_co_ci_u32_e64 v1, null, s5, v1, vcc_lo
	v_add_nc_u32_e32 v5, s14, v5
	s_delay_alu instid0(VALU_DEP_1)
	v_cmp_le_i32_e64 s3, s18, v5
	s_or_b32 s15, s3, s15
	s_wait_loadcnt 0x0
	v_lshlrev_b32_e32 v10, 16, v8
	v_and_b32_e32 v11, 0xffff0000, v8
	v_alignbit_b32 v8, v9, v8, 16
	s_delay_alu instid0(VALU_DEP_3) | instskip(NEXT) | instid1(VALU_DEP_2)
	v_fmac_f32_e32 v4, v10, v10
	v_and_b32_e32 v8, 0xffff0000, v8
	s_delay_alu instid0(VALU_DEP_2) | instskip(NEXT) | instid1(VALU_DEP_1)
	v_dual_fmac_f32 v4, v11, v11 :: v_dual_and_b32 v9, 0xffff0000, v9
	v_fmac_f32_e32 v4, v8, v8
	s_delay_alu instid0(VALU_DEP_1)
	v_fmac_f32_e32 v4, v9, v9
	s_wait_alu 0xfffe
	s_and_not1_b32 exec_lo, exec_lo, s15
	s_cbranch_execnz .LBB21_2
; %bb.3:
	s_or_b32 exec_lo, exec_lo, s15
.LBB21_4:
	s_wait_alu 0xfffe
	s_or_b32 exec_lo, exec_lo, s7
	v_mbcnt_lo_u32_b32 v0, -1, 0
	s_cmp_lt_u32 s6, 2
	s_mov_b32 s3, -1
	s_delay_alu instid0(VALU_DEP_1) | instskip(SKIP_1) | instid1(VALU_DEP_2)
	v_lshlrev_b32_e32 v1, 2, v0
	v_cmp_gt_u32_e32 vcc_lo, 24, v0
	v_or_b32_e32 v1, 64, v1
	s_wait_alu 0xfffd
	v_cndmask_b32_e64 v5, 0, 8, vcc_lo
	v_cmp_gt_u32_e32 vcc_lo, 28, v0
	ds_bpermute_b32 v1, v1, v4
	v_add_lshl_u32 v5, v5, v0, 2
	s_wait_dscnt 0x0
	v_add_f32_e32 v1, v4, v1
	ds_bpermute_b32 v4, v5, v1
	s_wait_alu 0xfffd
	v_cndmask_b32_e64 v5, 0, 4, vcc_lo
	v_cmp_gt_u32_e32 vcc_lo, 30, v0
	s_delay_alu instid0(VALU_DEP_2)
	v_add_lshl_u32 v5, v5, v0, 2
	s_wait_dscnt 0x0
	v_add_f32_e32 v1, v1, v4
	ds_bpermute_b32 v4, v5, v1
	s_wait_alu 0xfffd
	v_cndmask_b32_e64 v5, 0, 2, vcc_lo
	v_cmp_ne_u32_e32 vcc_lo, 31, v0
	s_delay_alu instid0(VALU_DEP_2) | instskip(SKIP_2) | instid1(VALU_DEP_1)
	v_add_lshl_u32 v5, v5, v0, 2
	s_wait_alu 0xfffd
	v_add_co_ci_u32_e64 v0, null, 0, v0, vcc_lo
	v_lshlrev_b32_e32 v0, 2, v0
	s_wait_dscnt 0x0
	v_add_f32_e32 v1, v1, v4
	ds_bpermute_b32 v4, v5, v1
	s_wait_dscnt 0x0
	v_add_f32_e32 v1, v1, v4
	ds_bpermute_b32 v0, v0, v1
	s_wait_dscnt 0x0
	v_add_f32_e32 v4, v1, v0
                                        ; implicit-def: $vgpr1
	s_cbranch_scc0 .LBB21_6
; %bb.5:
	v_mov_b32_e32 v0, 0
	s_cvt_f32_i32 s3, s8
	ds_bpermute_b32 v0, v0, v4
	s_wait_dscnt 0x0
	s_wait_alu 0xfffe
	v_div_scale_f32 v1, null, s3, s3, v0
	s_delay_alu instid0(VALU_DEP_1) | instskip(NEXT) | instid1(TRANS32_DEP_1)
	v_rcp_f32_e32 v5, v1
	v_fma_f32 v8, -v1, v5, 1.0
	s_delay_alu instid0(VALU_DEP_1) | instskip(SKIP_1) | instid1(VALU_DEP_1)
	v_fmac_f32_e32 v5, v8, v5
	v_div_scale_f32 v8, vcc_lo, v0, s3, v0
	v_mul_f32_e32 v9, v8, v5
	s_delay_alu instid0(VALU_DEP_1) | instskip(NEXT) | instid1(VALU_DEP_1)
	v_fma_f32 v10, -v1, v9, v8
	v_fmac_f32_e32 v9, v10, v5
	s_delay_alu instid0(VALU_DEP_1) | instskip(SKIP_1) | instid1(VALU_DEP_1)
	v_fma_f32 v1, -v1, v9, v8
	s_wait_alu 0xfffd
	v_div_fmas_f32 v1, v1, v5, v9
	s_delay_alu instid0(VALU_DEP_1)
	v_div_fixup_f32 v1, v1, s3, v0
	s_mov_b32 s3, 0
.LBB21_6:
	v_mov_b32_e32 v0, 0
	s_wait_alu 0xfffe
	s_and_not1_b32 vcc_lo, exec_lo, s3
	s_wait_alu 0xfffe
	s_cbranch_vccnz .LBB21_17
; %bb.7:
	v_dual_mov_b32 v1, 0 :: v_dual_lshlrev_b32 v0, 3, v2
	s_lshl_b32 s3, s6, 2
	v_cmp_eq_u32_e32 vcc_lo, 0, v3
	s_wait_alu 0xfffe
	s_add_co_i32 s5, s3, 0
	v_add_nc_u32_e32 v0, 0, v0
.LBB21_8:                               ; =>This Inner Loop Header: Depth=1
	s_wait_alu 0xfffe
	s_lshr_b32 s7, s6, 1
	s_and_b32 s4, s6, 0xfffe
	s_wait_alu 0xfffe
	v_cmp_le_u32_e64 s3, s7, v2
	v_cmp_gt_u32_e64 s4, s4, v2
	s_and_b32 s3, vcc_lo, s3
	s_wait_alu 0xfffe
	s_and_b32 s4, s3, s4
	s_wait_alu 0xfffe
	s_and_saveexec_b32 s3, s4
	s_cbranch_execz .LBB21_10
; %bb.9:                                ;   in Loop: Header=BB21_8 Depth=1
	v_subrev_nc_u32_e32 v5, s7, v2
	s_delay_alu instid0(VALU_DEP_1)
	v_lshl_add_u32 v8, v5, 3, 0
	v_lshl_add_u32 v5, v5, 2, s5
	ds_store_2addr_b32 v8, v1, v4 offset1:1
	ds_store_b32 v5, v1
.LBB21_10:                              ;   in Loop: Header=BB21_8 Depth=1
	s_wait_alu 0xfffe
	s_or_b32 exec_lo, exec_lo, s3
	v_cmp_gt_u32_e64 s3, s7, v2
	s_wait_dscnt 0x0
	s_barrier_signal -1
	s_barrier_wait -1
	global_inv scope:SCOPE_SE
	s_and_b32 s4, vcc_lo, s3
	s_wait_alu 0xfffe
	s_and_saveexec_b32 s3, s4
	s_cbranch_execz .LBB21_12
; %bb.11:                               ;   in Loop: Header=BB21_8 Depth=1
	ds_load_b32 v5, v0 offset:4
	s_wait_dscnt 0x0
	v_add_f32_e32 v4, v4, v5
.LBB21_12:                              ;   in Loop: Header=BB21_8 Depth=1
	s_wait_alu 0xfffe
	s_or_b32 exec_lo, exec_lo, s3
	s_cmp_lt_u32 s6, 4
	s_wait_loadcnt 0x0
	s_barrier_signal -1
	s_barrier_wait -1
	global_inv scope:SCOPE_SE
	s_cbranch_scc1 .LBB21_14
; %bb.13:                               ;   in Loop: Header=BB21_8 Depth=1
	s_mov_b32 s6, s7
	s_branch .LBB21_8
.LBB21_14:
	v_or_b32_e32 v0, v3, v2
	s_mov_b32 s3, exec_lo
	s_delay_alu instid0(VALU_DEP_1)
	v_cmpx_eq_u32_e32 0, v0
	s_cbranch_execz .LBB21_16
; %bb.15:
	s_cvt_f32_i32 s4, s8
	s_wait_alu 0xfffe
	s_delay_alu instid0(SALU_CYCLE_2) | instskip(SKIP_1) | instid1(VALU_DEP_2)
	v_div_scale_f32 v0, null, s4, s4, v4
	v_div_scale_f32 v3, vcc_lo, v4, s4, v4
	v_rcp_f32_e32 v1, v0
	s_delay_alu instid0(TRANS32_DEP_1) | instskip(NEXT) | instid1(VALU_DEP_1)
	v_fma_f32 v2, -v0, v1, 1.0
	v_fmac_f32_e32 v1, v2, v1
	s_delay_alu instid0(VALU_DEP_1) | instskip(NEXT) | instid1(VALU_DEP_1)
	v_mul_f32_e32 v2, v3, v1
	v_fma_f32 v5, -v0, v2, v3
	s_delay_alu instid0(VALU_DEP_1) | instskip(NEXT) | instid1(VALU_DEP_1)
	v_fmac_f32_e32 v2, v5, v1
	v_fma_f32 v0, -v0, v2, v3
	s_wait_alu 0xfffd
	s_delay_alu instid0(VALU_DEP_1) | instskip(SKIP_1) | instid1(VALU_DEP_2)
	v_div_fmas_f32 v0, v0, v1, v2
	v_mov_b32_e32 v1, 0
	v_div_fixup_f32 v0, v0, s4, v4
	ds_store_2addr_b32 v1, v1, v0 offset1:1
.LBB21_16:
	s_wait_alu 0xfffe
	s_or_b32 exec_lo, exec_lo, s3
	v_mov_b32_e32 v0, 0
	s_wait_loadcnt_dscnt 0x0
	s_barrier_signal -1
	s_barrier_wait -1
	global_inv scope:SCOPE_SE
	ds_load_2addr_b32 v[0:1], v0 offset1:1
.LBB21_17:
	s_wait_dscnt 0x0
	v_add_f32_e32 v1, s9, v1
	s_load_b128 s[4:7], s[0:1], 0x28
	s_delay_alu instid0(VALU_DEP_1) | instskip(SKIP_2) | instid1(VALU_DEP_2)
	v_mul_f32_e32 v2, 0x4b800000, v1
	v_cmp_gt_f32_e32 vcc_lo, 0x800000, v1
	s_wait_alu 0xfffd
	v_cndmask_b32_e32 v1, v1, v2, vcc_lo
	s_delay_alu instid0(VALU_DEP_1) | instskip(NEXT) | instid1(TRANS32_DEP_1)
	v_rsq_f32_e32 v1, v1
	v_mul_f32_e32 v2, 0x45800000, v1
	s_delay_alu instid0(VALU_DEP_1)
	v_cndmask_b32_e32 v8, v1, v2, vcc_lo
	s_and_saveexec_b32 s19, s2
	s_cbranch_execz .LBB21_32
; %bb.18:
	s_load_b128 s[0:3], s[0:1], 0x10
	s_delay_alu instid0(VALU_DEP_1)
	v_dual_mov_b32 v9, v8 :: v_dual_mov_b32 v10, 0
	v_mov_b32_e32 v11, v6
	s_wait_kmcnt 0x0
	s_cmp_eq_u64 s[0:1], 0
	s_cselect_b32 s20, -1, 0
	s_cmp_eq_u64 s[2:3], 0
	s_cselect_b32 s21, -1, 0
	s_lshl_b64 s[8:9], s[16:17], 1
	v_cndmask_b32_e64 v12, 0, 1, s21
	s_ashr_i32 s15, s14, 31
	s_wait_alu 0xfffe
	s_add_nc_u64 s[6:7], s[6:7], s[8:9]
	s_add_nc_u64 s[8:9], s[10:11], s[8:9]
	s_or_b32 s16, s20, s21
	s_lshl_b64 s[10:11], s[14:15], 3
	s_mov_b32 s15, 0
	s_branch .LBB21_20
.LBB21_19:                              ;   in Loop: Header=BB21_20 Depth=1
	v_bfe_u32 v1, v14, 16, 1
	v_and_b32_e32 v2, 0xffff, v5
	v_cmp_o_f32_e32 vcc_lo, v14, v14
	v_add_nc_u32_e32 v11, s14, v11
	v_lshl_or_b32 v3, v4, 16, v13
	v_add3_u32 v1, v14, v1, 0x7fff
	v_or_b32_e32 v5, v10, v2
	s_add_nc_u64 s[8:9], s[8:9], s[10:11]
	s_add_nc_u64 s[0:1], s[0:1], s[10:11]
	;; [unrolled: 1-line block ×3, first 2 shown]
	v_and_b32_e32 v1, 0xffff0000, v1
	s_wait_alu 0xfffd
	s_delay_alu instid0(VALU_DEP_1)
	v_cndmask_b32_e32 v14, 0x7fc00000, v1, vcc_lo
	v_add_co_u32 v1, s17, s6, v7
	v_cmp_le_i32_e32 vcc_lo, s18, v11
	s_wait_alu 0xf1ff
	v_add_co_ci_u32_e64 v2, null, s7, 0, s17
	v_or_b32_e32 v4, v5, v14
	s_add_nc_u64 s[6:7], s[6:7], s[10:11]
	s_or_b32 s15, vcc_lo, s15
	global_store_b64 v[1:2], v[3:4], off
	s_wait_alu 0xfffe
	s_and_not1_b32 exec_lo, exec_lo, s15
	s_cbranch_execz .LBB21_32
.LBB21_20:                              ; =>This Inner Loop Header: Depth=1
	s_wait_alu 0xfffe
	v_add_co_u32 v1, s17, s8, v7
	s_wait_alu 0xf1ff
	v_add_co_ci_u32_e64 v2, null, s9, 0, s17
	s_and_b32 vcc_lo, exec_lo, s16
	s_mov_b32 s17, -1
                                        ; implicit-def: $vgpr14
                                        ; implicit-def: $vgpr13
	global_load_b64 v[1:2], v[1:2], off
	s_wait_loadcnt 0x0
	v_lshrrev_b64 v[3:4], 16, v[1:2]
                                        ; implicit-def: $vgpr4_vgpr5
	s_wait_alu 0xfffe
	s_cbranch_vccz .LBB21_30
; %bb.21:                               ;   in Loop: Header=BB21_20 Depth=1
	s_and_b32 vcc_lo, exec_lo, s20
                                        ; implicit-def: $vgpr4_vgpr5
                                        ; implicit-def: $vgpr14
                                        ; implicit-def: $vgpr13
	s_wait_alu 0xfffe
	s_cbranch_vccz .LBB21_27
; %bb.22:                               ;   in Loop: Header=BB21_20 Depth=1
	v_cmp_ne_u32_e32 vcc_lo, 1, v12
                                        ; implicit-def: $vgpr4_vgpr5
                                        ; implicit-def: $vgpr14
                                        ; implicit-def: $vgpr13
	s_cbranch_vccnz .LBB21_24
; %bb.23:                               ;   in Loop: Header=BB21_20 Depth=1
	v_lshlrev_b32_e32 v13, 16, v1
	v_lshlrev_b32_e32 v4, 16, v2
	;; [unrolled: 1-line block ×3, first 2 shown]
	v_and_b32_e32 v17, 0xffff0000, v2
	s_mov_b32 s17, 0
	s_delay_alu instid0(VALU_DEP_2) | instskip(SKIP_1) | instid1(VALU_DEP_2)
	v_mul_f32_e32 v14, v8, v5
	v_dual_mul_f32 v5, v8, v13 :: v_dual_mul_f32 v4, v9, v4
	v_lshrrev_b32_e32 v15, 16, v14
	s_delay_alu instid0(VALU_DEP_2) | instskip(NEXT) | instid1(VALU_DEP_3)
	v_bfe_u32 v16, v5, 16, 1
	v_lshrrev_b32_e32 v13, 16, v4
	v_cmp_o_f32_e32 vcc_lo, v5, v5
	s_delay_alu instid0(VALU_DEP_4) | instskip(NEXT) | instid1(VALU_DEP_4)
	v_and_b32_e32 v15, 1, v15
	v_add3_u32 v16, v5, v16, 0x7fff
	s_delay_alu instid0(VALU_DEP_4) | instskip(NEXT) | instid1(VALU_DEP_3)
	v_and_b32_e32 v13, 1, v13
	v_add3_u32 v15, v14, v15, 0x7fff
	s_delay_alu instid0(VALU_DEP_3) | instskip(NEXT) | instid1(VALU_DEP_3)
	v_lshrrev_b32_e32 v16, 16, v16
	v_add3_u32 v13, v4, v13, 0x7fff
	s_delay_alu instid0(VALU_DEP_3) | instskip(NEXT) | instid1(VALU_DEP_2)
	v_lshrrev_b32_e32 v15, 16, v15
	v_lshrrev_b32_e32 v18, 16, v13
	s_wait_alu 0xfffd
	v_cndmask_b32_e32 v13, 0x7fc0, v16, vcc_lo
	v_cmp_o_f32_e32 vcc_lo, v4, v4
	s_wait_alu 0xfffd
	v_cndmask_b32_e32 v5, 0x7fc0, v18, vcc_lo
	v_cmp_o_f32_e32 vcc_lo, v14, v14
	v_mul_f32_e32 v14, v8, v17
	s_wait_alu 0xfffd
	v_cndmask_b32_e32 v4, 0x7fc0, v15, vcc_lo
.LBB21_24:                              ;   in Loop: Header=BB21_20 Depth=1
	s_wait_alu 0xfffe
	s_and_not1_b32 vcc_lo, exec_lo, s17
	s_wait_alu 0xfffe
	s_cbranch_vccnz .LBB21_26
; %bb.25:                               ;   in Loop: Header=BB21_20 Depth=1
	v_add_co_u32 v4, s17, s2, v7
	s_wait_alu 0xf1ff
	v_add_co_ci_u32_e64 v5, null, s3, 0, s17
	v_lshlrev_b32_e32 v14, 16, v3
	v_lshlrev_b32_e32 v13, 16, v2
	v_and_b32_e32 v18, 0xffff0000, v2
	global_load_b64 v[4:5], v[4:5], off
	v_dual_sub_f32 v14, v14, v0 :: v_dual_lshlrev_b32 v15, 16, v1
	v_sub_f32_e32 v13, v13, v0
	v_sub_f32_e32 v18, v18, v0
	s_wait_loadcnt 0x0
	s_delay_alu instid0(VALU_DEP_3) | instskip(NEXT) | instid1(VALU_DEP_1)
	v_dual_sub_f32 v15, v15, v0 :: v_dual_lshlrev_b32 v16, 16, v5
	v_dual_fmac_f32 v16, v9, v13 :: v_dual_and_b32 v17, 0xffff0000, v4
	s_delay_alu instid0(VALU_DEP_1) | instskip(NEXT) | instid1(VALU_DEP_2)
	v_dual_fmac_f32 v17, v8, v14 :: v_dual_lshlrev_b32 v4, 16, v4
	v_lshrrev_b32_e32 v13, 16, v16
	s_delay_alu instid0(VALU_DEP_2) | instskip(NEXT) | instid1(VALU_DEP_3)
	v_fmac_f32_e32 v4, v8, v15
	v_lshrrev_b32_e32 v14, 16, v17
	s_delay_alu instid0(VALU_DEP_3) | instskip(NEXT) | instid1(VALU_DEP_3)
	v_and_b32_e32 v13, 1, v13
	v_bfe_u32 v15, v4, 16, 1
	v_cmp_o_f32_e32 vcc_lo, v4, v4
	s_delay_alu instid0(VALU_DEP_3) | instskip(NEXT) | instid1(VALU_DEP_3)
	v_add3_u32 v13, v16, v13, 0x7fff
	v_add3_u32 v15, v4, v15, 0x7fff
	s_delay_alu instid0(VALU_DEP_1) | instskip(SKIP_1) | instid1(VALU_DEP_1)
	v_lshrrev_b32_e32 v15, 16, v15
	v_and_b32_e32 v14, 1, v14
	v_add3_u32 v19, v17, v14, 0x7fff
	v_and_b32_e32 v14, 0xffff0000, v5
	v_lshrrev_b32_e32 v5, 16, v13
	s_wait_alu 0xfffd
	v_cndmask_b32_e32 v13, 0x7fc0, v15, vcc_lo
	v_cmp_o_f32_e32 vcc_lo, v16, v16
	v_lshrrev_b32_e32 v19, 16, v19
	s_wait_alu 0xfffd
	v_dual_fmac_f32 v14, v8, v18 :: v_dual_cndmask_b32 v5, 0x7fc0, v5
	v_cmp_o_f32_e32 vcc_lo, v17, v17
	s_wait_alu 0xfffd
	v_cndmask_b32_e32 v4, 0x7fc0, v19, vcc_lo
.LBB21_26:                              ;   in Loop: Header=BB21_20 Depth=1
	s_mov_b32 s17, 0
.LBB21_27:                              ;   in Loop: Header=BB21_20 Depth=1
	s_wait_alu 0xfffe
	s_and_not1_b32 vcc_lo, exec_lo, s17
	s_wait_alu 0xfffe
	s_cbranch_vccnz .LBB21_29
; %bb.28:                               ;   in Loop: Header=BB21_20 Depth=1
	v_add_co_u32 v4, s17, s0, v7
	s_wait_alu 0xf1ff
	v_add_co_ci_u32_e64 v5, null, s1, 0, s17
	v_lshlrev_b32_e32 v14, 16, v3
	v_and_b32_e32 v18, 0xffff0000, v2
	v_lshlrev_b32_e32 v15, 16, v1
	global_load_b64 v[4:5], v[4:5], off
	v_mul_f32_e32 v14, v8, v14
	v_mul_f32_e32 v18, v8, v18
	s_wait_loadcnt 0x0
	v_dual_mul_f32 v15, v8, v15 :: v_dual_lshlrev_b32 v16, 16, v5
	v_and_b32_e32 v17, 0xffff0000, v4
	v_lshlrev_b32_e32 v13, 16, v2
	v_lshlrev_b32_e32 v4, 16, v4
	v_and_b32_e32 v19, 0xffff0000, v5
	s_delay_alu instid0(VALU_DEP_4) | instskip(NEXT) | instid1(VALU_DEP_3)
	v_mul_f32_e32 v14, v14, v17
	v_dual_mul_f32 v13, v9, v13 :: v_dual_mul_f32 v4, v15, v4
	s_delay_alu instid0(VALU_DEP_2) | instskip(NEXT) | instid1(VALU_DEP_1)
	v_lshrrev_b32_e32 v15, 16, v14
	v_dual_mul_f32 v16, v13, v16 :: v_dual_and_b32 v15, 1, v15
	s_delay_alu instid0(VALU_DEP_1) | instskip(NEXT) | instid1(VALU_DEP_4)
	v_lshrrev_b32_e32 v13, 16, v16
	v_bfe_u32 v17, v4, 16, 1
	v_cmp_o_f32_e32 vcc_lo, v4, v4
	s_delay_alu instid0(VALU_DEP_4) | instskip(NEXT) | instid1(VALU_DEP_4)
	v_add3_u32 v15, v14, v15, 0x7fff
	v_and_b32_e32 v13, 1, v13
	s_delay_alu instid0(VALU_DEP_4) | instskip(NEXT) | instid1(VALU_DEP_3)
	v_add3_u32 v17, v4, v17, 0x7fff
	v_lshrrev_b32_e32 v15, 16, v15
	s_delay_alu instid0(VALU_DEP_3) | instskip(NEXT) | instid1(VALU_DEP_3)
	v_add3_u32 v13, v16, v13, 0x7fff
	v_lshrrev_b32_e32 v17, 16, v17
	s_delay_alu instid0(VALU_DEP_2) | instskip(SKIP_1) | instid1(VALU_DEP_2)
	v_lshrrev_b32_e32 v5, 16, v13
	s_wait_alu 0xfffd
	v_cndmask_b32_e32 v13, 0x7fc0, v17, vcc_lo
	v_cmp_o_f32_e32 vcc_lo, v16, v16
	s_wait_alu 0xfffd
	v_cndmask_b32_e32 v5, 0x7fc0, v5, vcc_lo
	v_cmp_o_f32_e32 vcc_lo, v14, v14
	v_mul_f32_e32 v14, v18, v19
	s_wait_alu 0xfffd
	v_cndmask_b32_e32 v4, 0x7fc0, v15, vcc_lo
.LBB21_29:                              ;   in Loop: Header=BB21_20 Depth=1
	s_mov_b32 s17, 0
.LBB21_30:                              ;   in Loop: Header=BB21_20 Depth=1
	s_wait_alu 0xfffe
	s_and_not1_b32 vcc_lo, exec_lo, s17
	s_wait_alu 0xfffe
	s_cbranch_vccnz .LBB21_19
; %bb.31:                               ;   in Loop: Header=BB21_20 Depth=1
	v_add_co_u32 v4, s17, s0, v7
	s_wait_alu 0xf1ff
	v_add_co_ci_u32_e64 v5, null, s1, 0, s17
	v_lshlrev_b32_e32 v13, 16, v2
	v_and_b32_e32 v2, 0xffff0000, v2
	v_lshlrev_b32_e32 v1, 16, v1
	global_load_b64 v[4:5], v[4:5], off
	v_dual_mul_f32 v13, v9, v13 :: v_dual_mul_f32 v2, v8, v2
	s_wait_loadcnt 0x0
	v_and_b32_e32 v15, 0xffff0000, v4
	v_lshlrev_b32_e32 v14, 16, v5
	v_lshlrev_b32_e32 v4, 16, v4
	;; [unrolled: 1-line block ×3, first 2 shown]
	v_and_b32_e32 v16, 0xffff0000, v5
	s_delay_alu instid0(VALU_DEP_4) | instskip(NEXT) | instid1(VALU_DEP_1)
	v_dual_mul_f32 v1, v8, v1 :: v_dual_mul_f32 v14, v13, v14
	v_mul_f32_e32 v1, v1, v4
	s_delay_alu instid0(VALU_DEP_2) | instskip(SKIP_1) | instid1(VALU_DEP_3)
	v_lshrrev_b32_e32 v4, 16, v14
	v_mul_f32_e32 v3, v8, v3
	v_cmp_o_f32_e32 vcc_lo, v1, v1
	s_delay_alu instid0(VALU_DEP_2) | instskip(SKIP_1) | instid1(VALU_DEP_2)
	v_dual_mul_f32 v3, v3, v15 :: v_dual_and_b32 v4, 1, v4
	v_bfe_u32 v15, v1, 16, 1
	v_add3_u32 v4, v14, v4, 0x7fff
	s_delay_alu instid0(VALU_DEP_3) | instskip(NEXT) | instid1(VALU_DEP_3)
	v_lshrrev_b32_e32 v13, 16, v3
	v_add3_u32 v15, v1, v15, 0x7fff
	s_delay_alu instid0(VALU_DEP_3) | instskip(NEXT) | instid1(VALU_DEP_3)
	v_lshrrev_b32_e32 v4, 16, v4
	v_and_b32_e32 v13, 1, v13
	s_delay_alu instid0(VALU_DEP_3) | instskip(NEXT) | instid1(VALU_DEP_2)
	v_lshrrev_b32_e32 v15, 16, v15
	v_add3_u32 v13, v3, v13, 0x7fff
	s_delay_alu instid0(VALU_DEP_1) | instskip(SKIP_1) | instid1(VALU_DEP_3)
	v_lshrrev_b32_e32 v17, 16, v13
	s_wait_alu 0xfffd
	v_cndmask_b32_e32 v13, 0x7fc0, v15, vcc_lo
	v_cmp_o_f32_e32 vcc_lo, v14, v14
	v_mul_f32_e32 v14, v2, v16
	s_wait_alu 0xfffd
	v_cndmask_b32_e32 v5, 0x7fc0, v4, vcc_lo
	v_cmp_o_f32_e32 vcc_lo, v3, v3
	s_wait_alu 0xfffd
	v_cndmask_b32_e32 v4, 0x7fc0, v17, vcc_lo
	s_branch .LBB21_19
.LBB21_32:
	s_wait_alu 0xfffe
	s_or_b32 exec_lo, exec_lo, s19
	s_delay_alu instid0(SALU_CYCLE_1)
	s_mov_b32 s0, exec_lo
	v_cmpx_eq_u32_e32 0, v6
	s_cbranch_execz .LBB21_34
; %bb.33:
	v_mov_b32_e32 v0, 0
	s_lshl_b64 s[0:1], s[12:13], 2
	s_wait_kmcnt 0x0
	s_wait_alu 0xfffe
	s_add_nc_u64 s[0:1], s[4:5], s[0:1]
	global_store_b32 v0, v8, s[0:1]
.LBB21_34:
	s_endpgm
	.section	.rodata,"a",@progbits
	.p2align	6, 0x0
	.amdhsa_kernel _ZN2at6native12_GLOBAL__N_128vectorized_layer_norm_kernelIN3c108BFloat16EfLb1EEEviT0_PKT_S8_S8_PS5_S9_PS6_
		.amdhsa_group_segment_fixed_size 0
		.amdhsa_private_segment_fixed_size 0
		.amdhsa_kernarg_size 312
		.amdhsa_user_sgpr_count 2
		.amdhsa_user_sgpr_dispatch_ptr 0
		.amdhsa_user_sgpr_queue_ptr 0
		.amdhsa_user_sgpr_kernarg_segment_ptr 1
		.amdhsa_user_sgpr_dispatch_id 0
		.amdhsa_user_sgpr_private_segment_size 0
		.amdhsa_wavefront_size32 1
		.amdhsa_uses_dynamic_stack 0
		.amdhsa_enable_private_segment 0
		.amdhsa_system_sgpr_workgroup_id_x 1
		.amdhsa_system_sgpr_workgroup_id_y 0
		.amdhsa_system_sgpr_workgroup_id_z 0
		.amdhsa_system_sgpr_workgroup_info 0
		.amdhsa_system_vgpr_workitem_id 1
		.amdhsa_next_free_vgpr 20
		.amdhsa_next_free_sgpr 22
		.amdhsa_reserve_vcc 1
		.amdhsa_float_round_mode_32 0
		.amdhsa_float_round_mode_16_64 0
		.amdhsa_float_denorm_mode_32 3
		.amdhsa_float_denorm_mode_16_64 3
		.amdhsa_fp16_overflow 0
		.amdhsa_workgroup_processor_mode 1
		.amdhsa_memory_ordered 1
		.amdhsa_forward_progress 1
		.amdhsa_inst_pref_size 21
		.amdhsa_round_robin_scheduling 0
		.amdhsa_exception_fp_ieee_invalid_op 0
		.amdhsa_exception_fp_denorm_src 0
		.amdhsa_exception_fp_ieee_div_zero 0
		.amdhsa_exception_fp_ieee_overflow 0
		.amdhsa_exception_fp_ieee_underflow 0
		.amdhsa_exception_fp_ieee_inexact 0
		.amdhsa_exception_int_div_zero 0
	.end_amdhsa_kernel
	.section	.text._ZN2at6native12_GLOBAL__N_128vectorized_layer_norm_kernelIN3c108BFloat16EfLb1EEEviT0_PKT_S8_S8_PS5_S9_PS6_,"axG",@progbits,_ZN2at6native12_GLOBAL__N_128vectorized_layer_norm_kernelIN3c108BFloat16EfLb1EEEviT0_PKT_S8_S8_PS5_S9_PS6_,comdat
.Lfunc_end21:
	.size	_ZN2at6native12_GLOBAL__N_128vectorized_layer_norm_kernelIN3c108BFloat16EfLb1EEEviT0_PKT_S8_S8_PS5_S9_PS6_, .Lfunc_end21-_ZN2at6native12_GLOBAL__N_128vectorized_layer_norm_kernelIN3c108BFloat16EfLb1EEEviT0_PKT_S8_S8_PS5_S9_PS6_
                                        ; -- End function
	.set _ZN2at6native12_GLOBAL__N_128vectorized_layer_norm_kernelIN3c108BFloat16EfLb1EEEviT0_PKT_S8_S8_PS5_S9_PS6_.num_vgpr, 20
	.set _ZN2at6native12_GLOBAL__N_128vectorized_layer_norm_kernelIN3c108BFloat16EfLb1EEEviT0_PKT_S8_S8_PS5_S9_PS6_.num_agpr, 0
	.set _ZN2at6native12_GLOBAL__N_128vectorized_layer_norm_kernelIN3c108BFloat16EfLb1EEEviT0_PKT_S8_S8_PS5_S9_PS6_.numbered_sgpr, 22
	.set _ZN2at6native12_GLOBAL__N_128vectorized_layer_norm_kernelIN3c108BFloat16EfLb1EEEviT0_PKT_S8_S8_PS5_S9_PS6_.num_named_barrier, 0
	.set _ZN2at6native12_GLOBAL__N_128vectorized_layer_norm_kernelIN3c108BFloat16EfLb1EEEviT0_PKT_S8_S8_PS5_S9_PS6_.private_seg_size, 0
	.set _ZN2at6native12_GLOBAL__N_128vectorized_layer_norm_kernelIN3c108BFloat16EfLb1EEEviT0_PKT_S8_S8_PS5_S9_PS6_.uses_vcc, 1
	.set _ZN2at6native12_GLOBAL__N_128vectorized_layer_norm_kernelIN3c108BFloat16EfLb1EEEviT0_PKT_S8_S8_PS5_S9_PS6_.uses_flat_scratch, 0
	.set _ZN2at6native12_GLOBAL__N_128vectorized_layer_norm_kernelIN3c108BFloat16EfLb1EEEviT0_PKT_S8_S8_PS5_S9_PS6_.has_dyn_sized_stack, 0
	.set _ZN2at6native12_GLOBAL__N_128vectorized_layer_norm_kernelIN3c108BFloat16EfLb1EEEviT0_PKT_S8_S8_PS5_S9_PS6_.has_recursion, 0
	.set _ZN2at6native12_GLOBAL__N_128vectorized_layer_norm_kernelIN3c108BFloat16EfLb1EEEviT0_PKT_S8_S8_PS5_S9_PS6_.has_indirect_call, 0
	.section	.AMDGPU.csdata,"",@progbits
; Kernel info:
; codeLenInByte = 2584
; TotalNumSgprs: 24
; NumVgprs: 20
; ScratchSize: 0
; MemoryBound: 0
; FloatMode: 240
; IeeeMode: 1
; LDSByteSize: 0 bytes/workgroup (compile time only)
; SGPRBlocks: 0
; VGPRBlocks: 2
; NumSGPRsForWavesPerEU: 24
; NumVGPRsForWavesPerEU: 20
; Occupancy: 16
; WaveLimiterHint : 0
; COMPUTE_PGM_RSRC2:SCRATCH_EN: 0
; COMPUTE_PGM_RSRC2:USER_SGPR: 2
; COMPUTE_PGM_RSRC2:TRAP_HANDLER: 0
; COMPUTE_PGM_RSRC2:TGID_X_EN: 1
; COMPUTE_PGM_RSRC2:TGID_Y_EN: 0
; COMPUTE_PGM_RSRC2:TGID_Z_EN: 0
; COMPUTE_PGM_RSRC2:TIDIG_COMP_CNT: 1
	.section	.text._ZN2at6native12_GLOBAL__N_124RowwiseMomentsCUDAKernelIN3c108BFloat16EfLb1EEEvlT0_PKT_PS5_S9_,"axG",@progbits,_ZN2at6native12_GLOBAL__N_124RowwiseMomentsCUDAKernelIN3c108BFloat16EfLb1EEEvlT0_PKT_PS5_S9_,comdat
	.globl	_ZN2at6native12_GLOBAL__N_124RowwiseMomentsCUDAKernelIN3c108BFloat16EfLb1EEEvlT0_PKT_PS5_S9_ ; -- Begin function _ZN2at6native12_GLOBAL__N_124RowwiseMomentsCUDAKernelIN3c108BFloat16EfLb1EEEvlT0_PKT_PS5_S9_
	.p2align	8
	.type	_ZN2at6native12_GLOBAL__N_124RowwiseMomentsCUDAKernelIN3c108BFloat16EfLb1EEEvlT0_PKT_PS5_S9_,@function
_ZN2at6native12_GLOBAL__N_124RowwiseMomentsCUDAKernelIN3c108BFloat16EfLb1EEEvlT0_PKT_PS5_S9_: ; @_ZN2at6native12_GLOBAL__N_124RowwiseMomentsCUDAKernelIN3c108BFloat16EfLb1EEEvlT0_PKT_PS5_S9_
; %bb.0:
	s_load_b64 s[6:7], s[0:1], 0x0
	v_dual_mov_b32 v1, 0 :: v_dual_mov_b32 v2, 0
	v_mov_b32_e32 v3, 0
	s_mov_b32 s4, ttmp9
	s_mov_b32 s5, 0
	s_delay_alu instid0(VALU_DEP_2)
	v_dual_mov_b32 v8, v1 :: v_dual_mov_b32 v9, v1
	s_mov_b32 s3, exec_lo
	s_wait_kmcnt 0x0
	v_cmpx_gt_i64_e64 s[6:7], v[0:1]
	s_cbranch_execz .LBB22_4
; %bb.1:
	s_clause 0x1
	s_load_b32 s2, s[0:1], 0x34
	s_load_b64 s[8:9], s[0:1], 0x10
	s_mul_u64 s[10:11], s[6:7], s[4:5]
	v_dual_mov_b32 v5, v1 :: v_dual_lshlrev_b32 v2, 1, v0
	s_lshl_b64 s[12:13], s[10:11], 1
	v_dual_mov_b32 v8, 0 :: v_dual_mov_b32 v9, 0
	v_mov_b32_e32 v4, v0
	s_wait_kmcnt 0x0
	s_and_b32 s10, s2, 0xffff
	s_add_nc_u64 s[8:9], s[8:9], s[12:13]
	s_lshl_b32 s11, s10, 1
	v_add_co_u32 v6, s2, s8, v2
	s_delay_alu instid0(VALU_DEP_1)
	v_add_co_ci_u32_e64 v7, null, s9, 0, s2
	s_mov_b64 s[8:9], 0
	s_mov_b32 s12, s5
.LBB22_2:                               ; =>This Inner Loop Header: Depth=1
	global_load_u16 v1, v[6:7], off
	s_wait_alu 0xfffe
	s_add_nc_u64 s[8:9], s[8:9], 1
	s_wait_alu 0xfffe
	s_clz_i32_u32 s2, s9
	s_wait_alu 0xfffe
	s_min_u32 s2, s2, 32
	s_wait_alu 0xfffe
	s_lshl_b64 s[14:15], s[8:9], s2
	s_sub_co_i32 s2, 32, s2
	s_min_u32 s13, s14, 1
	s_wait_alu 0xfffe
	s_or_b32 s13, s15, s13
	s_wait_alu 0xfffe
	s_cvt_f32_u32 s13, s13
	s_wait_loadcnt 0x0
	v_lshlrev_b32_e32 v2, 16, v1
	s_wait_alu 0xfffe
	v_ldexp_f32 v1, s13, s2
	s_delay_alu instid0(VALU_DEP_2) | instskip(NEXT) | instid1(VALU_DEP_1)
	v_sub_f32_e32 v10, v2, v9
	v_div_scale_f32 v3, null, v1, v1, v10
	v_div_scale_f32 v13, vcc_lo, v10, v1, v10
	s_delay_alu instid0(VALU_DEP_2) | instskip(NEXT) | instid1(TRANS32_DEP_1)
	v_rcp_f32_e32 v11, v3
	v_fma_f32 v12, -v3, v11, 1.0
	s_delay_alu instid0(VALU_DEP_1) | instskip(NEXT) | instid1(VALU_DEP_1)
	v_fmac_f32_e32 v11, v12, v11
	v_mul_f32_e32 v12, v13, v11
	s_delay_alu instid0(VALU_DEP_1) | instskip(NEXT) | instid1(VALU_DEP_1)
	v_fma_f32 v14, -v3, v12, v13
	v_fmac_f32_e32 v12, v14, v11
	s_delay_alu instid0(VALU_DEP_1) | instskip(SKIP_1) | instid1(VALU_DEP_1)
	v_fma_f32 v3, -v3, v12, v13
	s_wait_alu 0xfffd
	v_div_fmas_f32 v3, v3, v11, v12
	v_add_co_u32 v4, vcc_lo, v4, s10
	s_wait_alu 0xfffd
	v_add_co_ci_u32_e64 v5, null, 0, v5, vcc_lo
	s_delay_alu instid0(VALU_DEP_3) | instskip(SKIP_1) | instid1(VALU_DEP_3)
	v_div_fixup_f32 v3, v3, v1, v10
	v_add_co_u32 v6, vcc_lo, v6, s11
	v_cmp_le_i64_e64 s2, s[6:7], v[4:5]
	s_wait_alu 0xfffd
	v_add_co_ci_u32_e64 v7, null, 0, v7, vcc_lo
	v_add_f32_e32 v9, v9, v3
	s_delay_alu instid0(VALU_DEP_3) | instskip(NEXT) | instid1(VALU_DEP_1)
	s_or_b32 s12, s2, s12
	v_dual_sub_f32 v11, v2, v9 :: v_dual_mov_b32 v2, s8
	s_delay_alu instid0(VALU_DEP_1)
	v_dual_mov_b32 v3, s9 :: v_dual_fmac_f32 v8, v10, v11
	s_wait_alu 0xfffe
	s_and_not1_b32 exec_lo, exec_lo, s12
	s_cbranch_execnz .LBB22_2
; %bb.3:
	s_or_b32 exec_lo, exec_lo, s12
.LBB22_4:
	s_delay_alu instid0(SALU_CYCLE_1) | instskip(SKIP_2) | instid1(VALU_DEP_1)
	s_or_b32 exec_lo, exec_lo, s3
	v_mbcnt_lo_u32_b32 v11, -1, 0
	s_mov_b32 s2, exec_lo
	v_lshl_or_b32 v7, v11, 2, 64
	ds_bpermute_b32 v12, v7, v9
	ds_bpermute_b32 v6, v7, v8
	;; [unrolled: 1-line block ×5, first 2 shown]
	v_cmpx_neq_f32_e32 0, v1
	s_cbranch_execz .LBB22_8
; %bb.5:
	s_mov_b32 s3, exec_lo
	s_wait_dscnt 0x0
	v_cmpx_neq_f32_e32 0, v14
	s_cbranch_execz .LBB22_7
; %bb.6:
	v_add_f32_e32 v4, v1, v14
	v_add_f32_e32 v8, v8, v6
	s_delay_alu instid0(VALU_DEP_2) | instskip(SKIP_1) | instid1(VALU_DEP_2)
	v_div_scale_f32 v2, null, v4, v4, v14
	v_div_scale_f32 v10, vcc_lo, v14, v4, v14
	v_rcp_f32_e32 v3, v2
	s_delay_alu instid0(TRANS32_DEP_1) | instskip(NEXT) | instid1(VALU_DEP_1)
	v_fma_f32 v5, -v2, v3, 1.0
	v_fmac_f32_e32 v3, v5, v3
	s_delay_alu instid0(VALU_DEP_1) | instskip(NEXT) | instid1(VALU_DEP_1)
	v_mul_f32_e32 v5, v10, v3
	v_fma_f32 v13, -v2, v5, v10
	s_delay_alu instid0(VALU_DEP_1) | instskip(NEXT) | instid1(VALU_DEP_1)
	v_fmac_f32_e32 v5, v13, v3
	v_fma_f32 v2, -v2, v5, v10
	v_sub_f32_e32 v10, v12, v9
	s_wait_alu 0xfffd
	s_delay_alu instid0(VALU_DEP_2) | instskip(NEXT) | instid1(VALU_DEP_1)
	v_div_fmas_f32 v2, v2, v3, v5
	v_div_fixup_f32 v5, v2, v4, v14
	s_delay_alu instid0(VALU_DEP_3) | instskip(NEXT) | instid1(VALU_DEP_2)
	v_mul_f32_e32 v3, v10, v10
	v_fmac_f32_e32 v9, v10, v5
	s_delay_alu instid0(VALU_DEP_2) | instskip(NEXT) | instid1(VALU_DEP_1)
	v_dual_mul_f32 v1, v1, v3 :: v_dual_mov_b32 v2, -1
	v_dual_mov_b32 v3, -1 :: v_dual_fmac_f32 v8, v1, v5
	v_mov_b32_e32 v1, v4
.LBB22_7:
	s_wait_alu 0xfffe
	s_or_b32 exec_lo, exec_lo, s3
	s_delay_alu instid0(VALU_DEP_1)
	v_dual_mov_b32 v14, v1 :: v_dual_mov_b32 v5, v3
	v_mov_b32_e32 v4, v2
	v_mov_b32_e32 v6, v8
	;; [unrolled: 1-line block ×3, first 2 shown]
.LBB22_8:
	s_wait_alu 0xfffe
	s_or_b32 exec_lo, exec_lo, s2
	v_cmp_gt_u32_e32 vcc_lo, 24, v11
	s_mov_b32 s2, exec_lo
	s_wait_alu 0xfffd
	v_cndmask_b32_e64 v1, 0, 8, vcc_lo
	s_delay_alu instid0(VALU_DEP_1)
	v_add_lshl_u32 v8, v1, v11, 2
	s_wait_dscnt 0x4
	ds_bpermute_b32 v13, v8, v12
	s_wait_dscnt 0x4
	ds_bpermute_b32 v10, v8, v6
	;; [unrolled: 2-line block ×5, first 2 shown]
	v_cmpx_neq_f32_e32 0, v14
	s_cbranch_execz .LBB22_12
; %bb.9:
	s_mov_b32 s3, exec_lo
	s_wait_dscnt 0x0
	v_cmpx_neq_f32_e32 0, v15
	s_cbranch_execz .LBB22_11
; %bb.10:
	v_add_f32_e32 v1, v14, v15
	v_add_f32_e32 v6, v6, v10
	s_delay_alu instid0(VALU_DEP_2) | instskip(SKIP_1) | instid1(VALU_DEP_2)
	v_div_scale_f32 v2, null, v1, v1, v15
	v_div_scale_f32 v5, vcc_lo, v15, v1, v15
	v_rcp_f32_e32 v3, v2
	s_delay_alu instid0(TRANS32_DEP_1) | instskip(NEXT) | instid1(VALU_DEP_1)
	v_fma_f32 v4, -v2, v3, 1.0
	v_fmac_f32_e32 v3, v4, v3
	s_delay_alu instid0(VALU_DEP_1) | instskip(NEXT) | instid1(VALU_DEP_1)
	v_mul_f32_e32 v4, v5, v3
	v_fma_f32 v9, -v2, v4, v5
	s_delay_alu instid0(VALU_DEP_1) | instskip(NEXT) | instid1(VALU_DEP_1)
	v_fmac_f32_e32 v4, v9, v3
	v_fma_f32 v2, -v2, v4, v5
	s_wait_alu 0xfffd
	s_delay_alu instid0(VALU_DEP_1) | instskip(SKIP_2) | instid1(VALU_DEP_3)
	v_div_fmas_f32 v2, v2, v3, v4
	v_mov_b32_e32 v4, -1
	v_mov_b32_e32 v5, -1
	v_div_fixup_f32 v2, v2, v1, v15
	v_sub_f32_e32 v9, v13, v12
	s_delay_alu instid0(VALU_DEP_1) | instskip(NEXT) | instid1(VALU_DEP_1)
	v_mul_f32_e32 v3, v9, v9
	v_dual_mul_f32 v3, v14, v3 :: v_dual_mov_b32 v14, v1
	s_delay_alu instid0(VALU_DEP_1)
	v_fmac_f32_e32 v6, v3, v2
	v_fmac_f32_e32 v12, v9, v2
.LBB22_11:
	s_wait_alu 0xfffe
	s_or_b32 exec_lo, exec_lo, s3
	s_delay_alu instid0(VALU_DEP_2)
	v_dual_mov_b32 v1, v4 :: v_dual_mov_b32 v10, v6
	v_dual_mov_b32 v15, v14 :: v_dual_mov_b32 v2, v5
	v_mov_b32_e32 v13, v12
.LBB22_12:
	s_wait_alu 0xfffe
	s_or_b32 exec_lo, exec_lo, s2
	v_cmp_gt_u32_e32 vcc_lo, 28, v11
	s_mov_b32 s2, exec_lo
	s_wait_alu 0xfffd
	v_cndmask_b32_e64 v3, 0, 4, vcc_lo
	s_delay_alu instid0(VALU_DEP_1)
	v_add_lshl_u32 v9, v3, v11, 2
	s_wait_dscnt 0x4
	ds_bpermute_b32 v14, v9, v13
	s_wait_dscnt 0x4
	ds_bpermute_b32 v12, v9, v10
	;; [unrolled: 2-line block ×5, first 2 shown]
	v_cmpx_neq_f32_e32 0, v15
	s_cbranch_execz .LBB22_16
; %bb.13:
	s_mov_b32 s3, exec_lo
	s_wait_dscnt 0x0
	v_cmpx_neq_f32_e32 0, v16
	s_cbranch_execz .LBB22_15
; %bb.14:
	v_add_f32_e32 v3, v15, v16
	v_add_f32_e32 v10, v10, v12
	s_delay_alu instid0(VALU_DEP_2) | instskip(NEXT) | instid1(VALU_DEP_1)
	v_div_scale_f32 v1, null, v3, v3, v16
	v_rcp_f32_e32 v2, v1
	s_delay_alu instid0(TRANS32_DEP_1) | instskip(NEXT) | instid1(VALU_DEP_1)
	v_fma_f32 v4, -v1, v2, 1.0
	v_fmac_f32_e32 v2, v4, v2
	v_div_scale_f32 v5, vcc_lo, v16, v3, v16
	s_delay_alu instid0(VALU_DEP_1) | instskip(NEXT) | instid1(VALU_DEP_1)
	v_mul_f32_e32 v4, v5, v2
	v_fma_f32 v6, -v1, v4, v5
	s_delay_alu instid0(VALU_DEP_1) | instskip(NEXT) | instid1(VALU_DEP_1)
	v_fmac_f32_e32 v4, v6, v2
	v_fma_f32 v1, -v1, v4, v5
	v_sub_f32_e32 v5, v14, v13
	s_wait_alu 0xfffd
	s_delay_alu instid0(VALU_DEP_2) | instskip(NEXT) | instid1(VALU_DEP_2)
	v_div_fmas_f32 v1, v1, v2, v4
	v_mul_f32_e32 v2, v5, v5
	s_delay_alu instid0(VALU_DEP_2) | instskip(NEXT) | instid1(VALU_DEP_2)
	v_div_fixup_f32 v4, v1, v3, v16
	v_dual_mul_f32 v6, v15, v2 :: v_dual_mov_b32 v1, -1
	v_dual_mov_b32 v2, -1 :: v_dual_mov_b32 v15, v3
	s_delay_alu instid0(VALU_DEP_3) | instskip(NEXT) | instid1(VALU_DEP_3)
	v_fmac_f32_e32 v13, v5, v4
	v_fmac_f32_e32 v10, v6, v4
.LBB22_15:
	s_wait_alu 0xfffe
	s_or_b32 exec_lo, exec_lo, s3
	v_mov_b32_e32 v4, v2
	v_dual_mov_b32 v16, v15 :: v_dual_mov_b32 v3, v1
	v_mov_b32_e32 v12, v10
	v_mov_b32_e32 v14, v13
.LBB22_16:
	s_wait_alu 0xfffe
	s_or_b32 exec_lo, exec_lo, s2
	v_cmp_gt_u32_e32 vcc_lo, 30, v11
	s_mov_b32 s2, exec_lo
	s_wait_alu 0xfffd
	v_cndmask_b32_e64 v1, 0, 2, vcc_lo
	s_delay_alu instid0(VALU_DEP_1)
	v_add_lshl_u32 v10, v1, v11, 2
	s_wait_dscnt 0x4
	ds_bpermute_b32 v15, v10, v14
	s_wait_dscnt 0x4
	ds_bpermute_b32 v13, v10, v12
	;; [unrolled: 2-line block ×5, first 2 shown]
	v_cmpx_neq_f32_e32 0, v16
	s_cbranch_execz .LBB22_20
; %bb.17:
	s_mov_b32 s3, exec_lo
	s_wait_dscnt 0x0
	v_cmpx_neq_f32_e32 0, v17
	s_cbranch_execz .LBB22_19
; %bb.18:
	v_add_f32_e32 v1, v16, v17
	v_add_f32_e32 v12, v12, v13
	s_delay_alu instid0(VALU_DEP_2) | instskip(SKIP_1) | instid1(VALU_DEP_2)
	v_div_scale_f32 v2, null, v1, v1, v17
	v_div_scale_f32 v5, vcc_lo, v17, v1, v17
	v_rcp_f32_e32 v3, v2
	s_delay_alu instid0(TRANS32_DEP_1) | instskip(NEXT) | instid1(VALU_DEP_1)
	v_fma_f32 v4, -v2, v3, 1.0
	v_fmac_f32_e32 v3, v4, v3
	s_delay_alu instid0(VALU_DEP_1) | instskip(NEXT) | instid1(VALU_DEP_1)
	v_mul_f32_e32 v4, v5, v3
	v_fma_f32 v6, -v2, v4, v5
	s_delay_alu instid0(VALU_DEP_1) | instskip(NEXT) | instid1(VALU_DEP_1)
	v_fmac_f32_e32 v4, v6, v3
	v_fma_f32 v2, -v2, v4, v5
	v_sub_f32_e32 v5, v15, v14
	s_wait_alu 0xfffd
	s_delay_alu instid0(VALU_DEP_2) | instskip(NEXT) | instid1(VALU_DEP_1)
	v_div_fmas_f32 v2, v2, v3, v4
	v_div_fixup_f32 v2, v2, v1, v17
	s_delay_alu instid0(VALU_DEP_3) | instskip(NEXT) | instid1(VALU_DEP_2)
	v_mul_f32_e32 v3, v5, v5
	v_fmac_f32_e32 v14, v5, v2
	s_delay_alu instid0(VALU_DEP_2) | instskip(SKIP_2) | instid1(VALU_DEP_3)
	v_dual_mul_f32 v6, v16, v3 :: v_dual_mov_b32 v3, -1
	v_mov_b32_e32 v4, -1
	v_mov_b32_e32 v16, v1
	v_fmac_f32_e32 v12, v6, v2
.LBB22_19:
	s_wait_alu 0xfffe
	s_or_b32 exec_lo, exec_lo, s3
	s_delay_alu instid0(VALU_DEP_2)
	v_dual_mov_b32 v17, v16 :: v_dual_mov_b32 v6, v4
	v_mov_b32_e32 v5, v3
	v_mov_b32_e32 v13, v12
	;; [unrolled: 1-line block ×3, first 2 shown]
.LBB22_20:
	s_wait_alu 0xfffe
	s_or_b32 exec_lo, exec_lo, s2
	v_cmp_ne_u32_e32 vcc_lo, 31, v11
	s_mov_b32 s2, exec_lo
	s_wait_alu 0xfffd
	v_add_co_ci_u32_e64 v1, null, 0, v11, vcc_lo
	s_delay_alu instid0(VALU_DEP_1)
	v_lshlrev_b32_e32 v11, 2, v1
	s_wait_dscnt 0x4
	ds_bpermute_b32 v1, v11, v15
	s_wait_dscnt 0x4
	ds_bpermute_b32 v2, v11, v13
	;; [unrolled: 2-line block ×5, first 2 shown]
	v_cmpx_neq_f32_e32 0, v17
	s_cbranch_execz .LBB22_24
; %bb.21:
	s_mov_b32 s3, exec_lo
	s_wait_dscnt 0x0
	v_cmpx_neq_f32_e32 0, v12
	s_cbranch_execz .LBB22_23
; %bb.22:
	v_add_f32_e32 v3, v17, v12
	v_add_f32_e32 v13, v13, v2
	v_sub_f32_e32 v1, v1, v15
	s_delay_alu instid0(VALU_DEP_3) | instskip(SKIP_1) | instid1(VALU_DEP_2)
	v_div_scale_f32 v4, null, v3, v3, v12
	v_div_scale_f32 v14, vcc_lo, v12, v3, v12
	v_rcp_f32_e32 v5, v4
	s_delay_alu instid0(TRANS32_DEP_1) | instskip(NEXT) | instid1(VALU_DEP_1)
	v_fma_f32 v6, -v4, v5, 1.0
	v_fmac_f32_e32 v5, v6, v5
	s_delay_alu instid0(VALU_DEP_1) | instskip(NEXT) | instid1(VALU_DEP_1)
	v_mul_f32_e32 v6, v14, v5
	v_fma_f32 v16, -v4, v6, v14
	s_delay_alu instid0(VALU_DEP_1) | instskip(NEXT) | instid1(VALU_DEP_1)
	v_fmac_f32_e32 v6, v16, v5
	v_fma_f32 v4, -v4, v6, v14
	s_wait_alu 0xfffd
	s_delay_alu instid0(VALU_DEP_1) | instskip(SKIP_1) | instid1(VALU_DEP_2)
	v_div_fmas_f32 v4, v4, v5, v6
	v_mul_f32_e32 v5, v1, v1
	v_div_fixup_f32 v2, v4, v3, v12
	s_delay_alu instid0(VALU_DEP_2) | instskip(SKIP_1) | instid1(VALU_DEP_3)
	v_dual_mul_f32 v4, v17, v5 :: v_dual_mov_b32 v5, -1
	v_dual_mov_b32 v6, -1 :: v_dual_mov_b32 v17, v3
	v_fmac_f32_e32 v15, v1, v2
	s_delay_alu instid0(VALU_DEP_3)
	v_fmac_f32_e32 v13, v4, v2
.LBB22_23:
	s_wait_alu 0xfffe
	s_or_b32 exec_lo, exec_lo, s3
	v_dual_mov_b32 v12, v17 :: v_dual_mov_b32 v3, v5
	v_dual_mov_b32 v4, v6 :: v_dual_mov_b32 v1, v15
	v_mov_b32_e32 v2, v13
.LBB22_24:
	s_wait_alu 0xfffe
	s_or_b32 exec_lo, exec_lo, s2
	v_and_b32_e32 v5, 31, v0
	s_mov_b32 s2, exec_lo
	s_wait_dscnt 0x0
	s_barrier_signal -1
	s_barrier_wait -1
	global_inv scope:SCOPE_SE
	v_cmpx_eq_u32_e32 0, v5
	s_cbranch_execz .LBB22_26
; %bb.25:
	v_lshrrev_b32_e32 v6, 5, v0
	s_delay_alu instid0(VALU_DEP_1)
	v_mul_u32_u24_e32 v6, 24, v6
	ds_store_2addr_b64 v6, v[1:2], v[3:4] offset1:1
	ds_store_b32 v6, v12 offset:16
.LBB22_26:
	s_wait_alu 0xfffe
	s_or_b32 exec_lo, exec_lo, s2
	s_wait_loadcnt_dscnt 0x0
	s_barrier_signal -1
	s_barrier_wait -1
	global_inv scope:SCOPE_SE
	s_load_b32 s2, s[0:1], 0x34
	v_mul_u32_u24_e32 v4, 24, v5
	v_dual_mov_b32 v1, 0 :: v_dual_mov_b32 v2, 0
	s_wait_kmcnt 0x0
	s_bfe_u32 s2, s2, 0xb0005
	s_wait_alu 0xfffe
	v_cmp_gt_u32_e32 vcc_lo, s2, v0
	s_and_saveexec_b32 s2, vcc_lo
	s_cbranch_execnz .LBB22_55
; %bb.27:
	s_wait_alu 0xfffe
	s_or_b32 exec_lo, exec_lo, s2
	s_and_saveexec_b32 s2, vcc_lo
	s_cbranch_execnz .LBB22_56
.LBB22_28:
	s_wait_alu 0xfffe
	s_or_b32 exec_lo, exec_lo, s2
	v_mov_b32_e32 v3, 0
	s_and_saveexec_b32 s2, vcc_lo
.LBB22_29:
	ds_load_b32 v3, v4 offset:16
.LBB22_30:
	s_wait_alu 0xfffe
	s_or_b32 exec_lo, exec_lo, s2
	s_delay_alu instid0(SALU_CYCLE_1)
	s_mov_b32 s2, exec_lo
	v_cmpx_gt_u32_e32 32, v0
	s_cbranch_execz .LBB22_52
; %bb.31:
	s_wait_dscnt 0x0
	ds_bpermute_b32 v6, v7, v2
	ds_bpermute_b32 v4, v7, v1
	;; [unrolled: 1-line block ×3, first 2 shown]
	s_mov_b32 s3, exec_lo
	v_cmpx_neq_f32_e32 0, v3
	s_cbranch_execz .LBB22_35
; %bb.32:
	s_mov_b32 s6, exec_lo
	s_wait_dscnt 0x0
	v_cmpx_neq_f32_e32 0, v5
	s_cbranch_execz .LBB22_34
; %bb.33:
	v_dual_add_f32 v7, v3, v5 :: v_dual_sub_f32 v6, v6, v2
	v_add_f32_e32 v1, v1, v4
	s_delay_alu instid0(VALU_DEP_2) | instskip(SKIP_1) | instid1(VALU_DEP_2)
	v_div_scale_f32 v12, null, v7, v7, v5
	v_div_scale_f32 v15, vcc_lo, v5, v7, v5
	v_rcp_f32_e32 v13, v12
	s_delay_alu instid0(TRANS32_DEP_1) | instskip(NEXT) | instid1(VALU_DEP_1)
	v_fma_f32 v14, -v12, v13, 1.0
	v_fmac_f32_e32 v13, v14, v13
	s_delay_alu instid0(VALU_DEP_1) | instskip(NEXT) | instid1(VALU_DEP_1)
	v_mul_f32_e32 v14, v15, v13
	v_fma_f32 v16, -v12, v14, v15
	s_delay_alu instid0(VALU_DEP_1) | instskip(NEXT) | instid1(VALU_DEP_1)
	v_fmac_f32_e32 v14, v16, v13
	v_fma_f32 v12, -v12, v14, v15
	s_wait_alu 0xfffd
	s_delay_alu instid0(VALU_DEP_1) | instskip(SKIP_1) | instid1(VALU_DEP_2)
	v_div_fmas_f32 v12, v12, v13, v14
	v_mul_f32_e32 v13, v6, v6
	v_div_fixup_f32 v4, v12, v7, v5
	s_delay_alu instid0(VALU_DEP_1) | instskip(NEXT) | instid1(VALU_DEP_1)
	v_dual_mul_f32 v3, v3, v13 :: v_dual_fmac_f32 v2, v6, v4
	v_fmac_f32_e32 v1, v3, v4
	v_mov_b32_e32 v3, v7
.LBB22_34:
	s_wait_alu 0xfffe
	s_or_b32 exec_lo, exec_lo, s6
	s_delay_alu instid0(VALU_DEP_1)
	v_dual_mov_b32 v5, v3 :: v_dual_mov_b32 v4, v1
	v_mov_b32_e32 v6, v2
.LBB22_35:
	s_wait_alu 0xfffe
	s_or_b32 exec_lo, exec_lo, s3
	s_wait_dscnt 0x2
	ds_bpermute_b32 v7, v8, v6
	s_wait_dscnt 0x2
	ds_bpermute_b32 v1, v8, v4
	;; [unrolled: 2-line block ×3, first 2 shown]
	s_mov_b32 s3, exec_lo
	v_cmpx_neq_f32_e32 0, v5
	s_cbranch_execz .LBB22_39
; %bb.36:
	s_mov_b32 s6, exec_lo
	s_wait_dscnt 0x0
	v_cmpx_neq_f32_e32 0, v3
	s_cbranch_execz .LBB22_38
; %bb.37:
	v_dual_add_f32 v2, v5, v3 :: v_dual_sub_f32 v7, v7, v6
	v_add_f32_e32 v4, v4, v1
	s_delay_alu instid0(VALU_DEP_2) | instskip(SKIP_1) | instid1(VALU_DEP_2)
	v_div_scale_f32 v8, null, v2, v2, v3
	v_div_scale_f32 v14, vcc_lo, v3, v2, v3
	v_rcp_f32_e32 v12, v8
	s_delay_alu instid0(TRANS32_DEP_1) | instskip(NEXT) | instid1(VALU_DEP_1)
	v_fma_f32 v13, -v8, v12, 1.0
	v_fmac_f32_e32 v12, v13, v12
	s_delay_alu instid0(VALU_DEP_1) | instskip(NEXT) | instid1(VALU_DEP_1)
	v_mul_f32_e32 v13, v14, v12
	v_fma_f32 v15, -v8, v13, v14
	s_delay_alu instid0(VALU_DEP_1) | instskip(NEXT) | instid1(VALU_DEP_1)
	v_fmac_f32_e32 v13, v15, v12
	v_fma_f32 v8, -v8, v13, v14
	s_wait_alu 0xfffd
	s_delay_alu instid0(VALU_DEP_1) | instskip(SKIP_1) | instid1(VALU_DEP_2)
	v_div_fmas_f32 v8, v8, v12, v13
	v_mul_f32_e32 v12, v7, v7
	v_div_fixup_f32 v1, v8, v2, v3
	s_delay_alu instid0(VALU_DEP_2) | instskip(NEXT) | instid1(VALU_DEP_2)
	v_mul_f32_e32 v3, v5, v12
	v_dual_mov_b32 v5, v2 :: v_dual_fmac_f32 v6, v7, v1
	s_delay_alu instid0(VALU_DEP_2)
	v_fmac_f32_e32 v4, v3, v1
.LBB22_38:
	s_wait_alu 0xfffe
	s_or_b32 exec_lo, exec_lo, s6
	s_delay_alu instid0(VALU_DEP_2) | instskip(NEXT) | instid1(VALU_DEP_2)
	v_mov_b32_e32 v3, v5
	v_mov_b32_e32 v1, v4
	;; [unrolled: 1-line block ×3, first 2 shown]
.LBB22_39:
	s_wait_alu 0xfffe
	s_or_b32 exec_lo, exec_lo, s3
	s_wait_dscnt 0x2
	ds_bpermute_b32 v8, v9, v7
	s_wait_dscnt 0x2
	ds_bpermute_b32 v2, v9, v1
	;; [unrolled: 2-line block ×3, first 2 shown]
	s_mov_b32 s3, exec_lo
	v_cmpx_neq_f32_e32 0, v3
	s_cbranch_execz .LBB22_43
; %bb.40:
	s_mov_b32 s6, exec_lo
	s_wait_dscnt 0x0
	v_cmpx_neq_f32_e32 0, v6
	s_cbranch_execz .LBB22_42
; %bb.41:
	v_add_f32_e32 v4, v3, v6
	v_dual_sub_f32 v8, v8, v7 :: v_dual_add_f32 v1, v1, v2
	s_delay_alu instid0(VALU_DEP_2) | instskip(NEXT) | instid1(VALU_DEP_1)
	v_div_scale_f32 v5, null, v4, v4, v6
	v_rcp_f32_e32 v9, v5
	s_delay_alu instid0(TRANS32_DEP_1) | instskip(NEXT) | instid1(VALU_DEP_1)
	v_fma_f32 v12, -v5, v9, 1.0
	v_fmac_f32_e32 v9, v12, v9
	v_div_scale_f32 v13, vcc_lo, v6, v4, v6
	s_delay_alu instid0(VALU_DEP_1) | instskip(NEXT) | instid1(VALU_DEP_1)
	v_mul_f32_e32 v12, v13, v9
	v_fma_f32 v14, -v5, v12, v13
	s_delay_alu instid0(VALU_DEP_1) | instskip(NEXT) | instid1(VALU_DEP_1)
	v_fmac_f32_e32 v12, v14, v9
	v_fma_f32 v5, -v5, v12, v13
	s_wait_alu 0xfffd
	s_delay_alu instid0(VALU_DEP_1) | instskip(SKIP_1) | instid1(VALU_DEP_2)
	v_div_fmas_f32 v5, v5, v9, v12
	v_mul_f32_e32 v9, v8, v8
	v_div_fixup_f32 v2, v5, v4, v6
	s_delay_alu instid0(VALU_DEP_2) | instskip(NEXT) | instid1(VALU_DEP_2)
	v_mul_f32_e32 v3, v3, v9
	v_fmac_f32_e32 v7, v8, v2
	s_delay_alu instid0(VALU_DEP_2)
	v_fmac_f32_e32 v1, v3, v2
	v_mov_b32_e32 v3, v4
.LBB22_42:
	s_wait_alu 0xfffe
	s_or_b32 exec_lo, exec_lo, s6
	s_delay_alu instid0(VALU_DEP_1)
	v_mov_b32_e32 v6, v3
	v_mov_b32_e32 v2, v1
	;; [unrolled: 1-line block ×3, first 2 shown]
.LBB22_43:
	s_wait_alu 0xfffe
	s_or_b32 exec_lo, exec_lo, s3
	s_wait_dscnt 0x2
	ds_bpermute_b32 v7, v10, v8
	s_wait_dscnt 0x2
	ds_bpermute_b32 v4, v10, v2
	;; [unrolled: 2-line block ×3, first 2 shown]
	s_mov_b32 s3, exec_lo
	v_cmpx_neq_f32_e32 0, v6
	s_cbranch_execz .LBB22_47
; %bb.44:
	s_mov_b32 s6, exec_lo
	s_wait_dscnt 0x0
	v_cmpx_neq_f32_e32 0, v5
	s_cbranch_execz .LBB22_46
; %bb.45:
	v_sub_f32_e32 v7, v7, v8
	v_add_f32_e32 v1, v6, v5
	v_add_f32_e32 v2, v2, v4
	s_delay_alu instid0(VALU_DEP_2) | instskip(SKIP_1) | instid1(VALU_DEP_2)
	v_div_scale_f32 v3, null, v1, v1, v5
	v_div_scale_f32 v12, vcc_lo, v5, v1, v5
	v_rcp_f32_e32 v9, v3
	s_delay_alu instid0(TRANS32_DEP_1) | instskip(NEXT) | instid1(VALU_DEP_1)
	v_fma_f32 v10, -v3, v9, 1.0
	v_fmac_f32_e32 v9, v10, v9
	s_delay_alu instid0(VALU_DEP_1) | instskip(NEXT) | instid1(VALU_DEP_1)
	v_mul_f32_e32 v10, v12, v9
	v_fma_f32 v13, -v3, v10, v12
	s_delay_alu instid0(VALU_DEP_1) | instskip(NEXT) | instid1(VALU_DEP_1)
	v_fmac_f32_e32 v10, v13, v9
	v_fma_f32 v3, -v3, v10, v12
	s_wait_alu 0xfffd
	s_delay_alu instid0(VALU_DEP_1) | instskip(SKIP_1) | instid1(VALU_DEP_2)
	v_div_fmas_f32 v3, v3, v9, v10
	v_mul_f32_e32 v9, v7, v7
	v_div_fixup_f32 v3, v3, v1, v5
	s_delay_alu instid0(VALU_DEP_2) | instskip(NEXT) | instid1(VALU_DEP_2)
	v_mul_f32_e32 v4, v6, v9
	v_fmac_f32_e32 v8, v7, v3
	s_delay_alu instid0(VALU_DEP_2)
	v_fmac_f32_e32 v2, v4, v3
	v_mov_b32_e32 v6, v1
.LBB22_46:
	s_wait_alu 0xfffe
	s_or_b32 exec_lo, exec_lo, s6
	s_delay_alu instid0(VALU_DEP_1)
	v_dual_mov_b32 v5, v6 :: v_dual_mov_b32 v4, v2
	v_mov_b32_e32 v7, v8
.LBB22_47:
	s_wait_alu 0xfffe
	s_or_b32 exec_lo, exec_lo, s3
	s_wait_dscnt 0x2
	ds_bpermute_b32 v2, v11, v7
	s_wait_dscnt 0x2
	ds_bpermute_b32 v1, v11, v4
	;; [unrolled: 2-line block ×3, first 2 shown]
	s_mov_b32 s3, exec_lo
	v_cmpx_neq_f32_e32 0, v5
	s_cbranch_execz .LBB22_51
; %bb.48:
	s_mov_b32 s6, exec_lo
	s_wait_dscnt 0x0
	v_cmpx_neq_f32_e32 0, v3
	s_cbranch_execz .LBB22_50
; %bb.49:
	v_add_f32_e32 v6, v5, v3
	v_sub_f32_e32 v2, v2, v7
	v_add_f32_e32 v4, v4, v1
	s_delay_alu instid0(VALU_DEP_3) | instskip(NEXT) | instid1(VALU_DEP_1)
	v_div_scale_f32 v8, null, v6, v6, v3
	v_rcp_f32_e32 v9, v8
	s_delay_alu instid0(TRANS32_DEP_1) | instskip(NEXT) | instid1(VALU_DEP_1)
	v_fma_f32 v10, -v8, v9, 1.0
	v_fmac_f32_e32 v9, v10, v9
	v_div_scale_f32 v11, vcc_lo, v3, v6, v3
	s_delay_alu instid0(VALU_DEP_1) | instskip(NEXT) | instid1(VALU_DEP_1)
	v_mul_f32_e32 v10, v11, v9
	v_fma_f32 v12, -v8, v10, v11
	s_delay_alu instid0(VALU_DEP_1) | instskip(NEXT) | instid1(VALU_DEP_1)
	v_fmac_f32_e32 v10, v12, v9
	v_fma_f32 v8, -v8, v10, v11
	s_wait_alu 0xfffd
	s_delay_alu instid0(VALU_DEP_1) | instskip(SKIP_1) | instid1(VALU_DEP_2)
	v_div_fmas_f32 v8, v8, v9, v10
	v_mul_f32_e32 v9, v2, v2
	v_div_fixup_f32 v1, v8, v6, v3
	s_delay_alu instid0(VALU_DEP_2) | instskip(SKIP_1) | instid1(VALU_DEP_3)
	v_mul_f32_e32 v3, v5, v9
	v_mov_b32_e32 v5, v6
	v_fmac_f32_e32 v7, v2, v1
	s_delay_alu instid0(VALU_DEP_3)
	v_fmac_f32_e32 v4, v3, v1
.LBB22_50:
	s_wait_alu 0xfffe
	s_or_b32 exec_lo, exec_lo, s6
	s_delay_alu instid0(VALU_DEP_2) | instskip(NEXT) | instid1(VALU_DEP_2)
	v_dual_mov_b32 v3, v5 :: v_dual_mov_b32 v2, v7
	v_mov_b32_e32 v1, v4
.LBB22_51:
	s_wait_alu 0xfffe
	s_or_b32 exec_lo, exec_lo, s3
.LBB22_52:
	s_wait_alu 0xfffe
	s_or_b32 exec_lo, exec_lo, s2
	s_delay_alu instid0(SALU_CYCLE_1)
	s_mov_b32 s2, exec_lo
	v_cmpx_eq_u32_e32 0, v0
	s_cbranch_execz .LBB22_54
; %bb.53:
	s_wait_dscnt 0x0
	v_max_num_f32_e32 v0, v3, v3
	s_clause 0x1
	s_load_b32 s2, s[0:1], 0x8
	s_load_b64 s[0:1], s[0:1], 0x20
	s_delay_alu instid0(VALU_DEP_1) | instskip(NEXT) | instid1(VALU_DEP_1)
	v_max_num_f32_e32 v0, 0, v0
	v_div_scale_f32 v3, null, v0, v0, v1
	v_div_scale_f32 v6, vcc_lo, v1, v0, v1
	s_delay_alu instid0(VALU_DEP_2) | instskip(NEXT) | instid1(TRANS32_DEP_1)
	v_rcp_f32_e32 v4, v3
	v_fma_f32 v5, -v3, v4, 1.0
	s_delay_alu instid0(VALU_DEP_1) | instskip(NEXT) | instid1(VALU_DEP_1)
	v_fmac_f32_e32 v4, v5, v4
	v_mul_f32_e32 v5, v6, v4
	s_delay_alu instid0(VALU_DEP_1) | instskip(NEXT) | instid1(VALU_DEP_1)
	v_fma_f32 v7, -v3, v5, v6
	v_fmac_f32_e32 v5, v7, v4
	s_delay_alu instid0(VALU_DEP_1) | instskip(SKIP_1) | instid1(VALU_DEP_1)
	v_fma_f32 v3, -v3, v5, v6
	s_wait_alu 0xfffd
	v_div_fmas_f32 v3, v3, v4, v5
	s_delay_alu instid0(VALU_DEP_1) | instskip(NEXT) | instid1(VALU_DEP_1)
	v_div_fixup_f32 v0, v3, v0, v1
	v_fmac_f32_e32 v0, v2, v2
	s_wait_kmcnt 0x0
	s_delay_alu instid0(VALU_DEP_1) | instskip(SKIP_3) | instid1(VALU_DEP_1)
	v_add_f32_e32 v0, s2, v0
	s_lshl_b64 s[2:3], s[4:5], 2
	s_wait_alu 0xfffe
	s_add_nc_u64 s[0:1], s[0:1], s[2:3]
	v_mul_f32_e32 v1, 0x4b800000, v0
	v_cmp_gt_f32_e32 vcc_lo, 0x800000, v0
	s_wait_alu 0xfffd
	s_delay_alu instid0(VALU_DEP_2) | instskip(NEXT) | instid1(VALU_DEP_1)
	v_cndmask_b32_e32 v0, v0, v1, vcc_lo
	v_rsq_f32_e32 v0, v0
	s_delay_alu instid0(TRANS32_DEP_1) | instskip(NEXT) | instid1(VALU_DEP_1)
	v_mul_f32_e32 v1, 0x45800000, v0
	v_dual_cndmask_b32 v0, v0, v1 :: v_dual_mov_b32 v1, 0
	global_store_b32 v1, v0, s[0:1]
.LBB22_54:
	s_endpgm
.LBB22_55:
	ds_load_b32 v2, v4
	s_wait_alu 0xfffe
	s_or_b32 exec_lo, exec_lo, s2
	s_and_saveexec_b32 s2, vcc_lo
	s_cbranch_execz .LBB22_28
.LBB22_56:
	ds_load_b32 v1, v4 offset:4
	s_wait_alu 0xfffe
	s_or_b32 exec_lo, exec_lo, s2
	v_mov_b32_e32 v3, 0
	s_and_saveexec_b32 s2, vcc_lo
	s_cbranch_execnz .LBB22_29
	s_branch .LBB22_30
	.section	.rodata,"a",@progbits
	.p2align	6, 0x0
	.amdhsa_kernel _ZN2at6native12_GLOBAL__N_124RowwiseMomentsCUDAKernelIN3c108BFloat16EfLb1EEEvlT0_PKT_PS5_S9_
		.amdhsa_group_segment_fixed_size 768
		.amdhsa_private_segment_fixed_size 0
		.amdhsa_kernarg_size 296
		.amdhsa_user_sgpr_count 2
		.amdhsa_user_sgpr_dispatch_ptr 0
		.amdhsa_user_sgpr_queue_ptr 0
		.amdhsa_user_sgpr_kernarg_segment_ptr 1
		.amdhsa_user_sgpr_dispatch_id 0
		.amdhsa_user_sgpr_private_segment_size 0
		.amdhsa_wavefront_size32 1
		.amdhsa_uses_dynamic_stack 0
		.amdhsa_enable_private_segment 0
		.amdhsa_system_sgpr_workgroup_id_x 1
		.amdhsa_system_sgpr_workgroup_id_y 0
		.amdhsa_system_sgpr_workgroup_id_z 0
		.amdhsa_system_sgpr_workgroup_info 0
		.amdhsa_system_vgpr_workitem_id 0
		.amdhsa_next_free_vgpr 18
		.amdhsa_next_free_sgpr 16
		.amdhsa_reserve_vcc 1
		.amdhsa_float_round_mode_32 0
		.amdhsa_float_round_mode_16_64 0
		.amdhsa_float_denorm_mode_32 3
		.amdhsa_float_denorm_mode_16_64 3
		.amdhsa_fp16_overflow 0
		.amdhsa_workgroup_processor_mode 1
		.amdhsa_memory_ordered 1
		.amdhsa_forward_progress 1
		.amdhsa_inst_pref_size 28
		.amdhsa_round_robin_scheduling 0
		.amdhsa_exception_fp_ieee_invalid_op 0
		.amdhsa_exception_fp_denorm_src 0
		.amdhsa_exception_fp_ieee_div_zero 0
		.amdhsa_exception_fp_ieee_overflow 0
		.amdhsa_exception_fp_ieee_underflow 0
		.amdhsa_exception_fp_ieee_inexact 0
		.amdhsa_exception_int_div_zero 0
	.end_amdhsa_kernel
	.section	.text._ZN2at6native12_GLOBAL__N_124RowwiseMomentsCUDAKernelIN3c108BFloat16EfLb1EEEvlT0_PKT_PS5_S9_,"axG",@progbits,_ZN2at6native12_GLOBAL__N_124RowwiseMomentsCUDAKernelIN3c108BFloat16EfLb1EEEvlT0_PKT_PS5_S9_,comdat
.Lfunc_end22:
	.size	_ZN2at6native12_GLOBAL__N_124RowwiseMomentsCUDAKernelIN3c108BFloat16EfLb1EEEvlT0_PKT_PS5_S9_, .Lfunc_end22-_ZN2at6native12_GLOBAL__N_124RowwiseMomentsCUDAKernelIN3c108BFloat16EfLb1EEEvlT0_PKT_PS5_S9_
                                        ; -- End function
	.set _ZN2at6native12_GLOBAL__N_124RowwiseMomentsCUDAKernelIN3c108BFloat16EfLb1EEEvlT0_PKT_PS5_S9_.num_vgpr, 18
	.set _ZN2at6native12_GLOBAL__N_124RowwiseMomentsCUDAKernelIN3c108BFloat16EfLb1EEEvlT0_PKT_PS5_S9_.num_agpr, 0
	.set _ZN2at6native12_GLOBAL__N_124RowwiseMomentsCUDAKernelIN3c108BFloat16EfLb1EEEvlT0_PKT_PS5_S9_.numbered_sgpr, 16
	.set _ZN2at6native12_GLOBAL__N_124RowwiseMomentsCUDAKernelIN3c108BFloat16EfLb1EEEvlT0_PKT_PS5_S9_.num_named_barrier, 0
	.set _ZN2at6native12_GLOBAL__N_124RowwiseMomentsCUDAKernelIN3c108BFloat16EfLb1EEEvlT0_PKT_PS5_S9_.private_seg_size, 0
	.set _ZN2at6native12_GLOBAL__N_124RowwiseMomentsCUDAKernelIN3c108BFloat16EfLb1EEEvlT0_PKT_PS5_S9_.uses_vcc, 1
	.set _ZN2at6native12_GLOBAL__N_124RowwiseMomentsCUDAKernelIN3c108BFloat16EfLb1EEEvlT0_PKT_PS5_S9_.uses_flat_scratch, 0
	.set _ZN2at6native12_GLOBAL__N_124RowwiseMomentsCUDAKernelIN3c108BFloat16EfLb1EEEvlT0_PKT_PS5_S9_.has_dyn_sized_stack, 0
	.set _ZN2at6native12_GLOBAL__N_124RowwiseMomentsCUDAKernelIN3c108BFloat16EfLb1EEEvlT0_PKT_PS5_S9_.has_recursion, 0
	.set _ZN2at6native12_GLOBAL__N_124RowwiseMomentsCUDAKernelIN3c108BFloat16EfLb1EEEvlT0_PKT_PS5_S9_.has_indirect_call, 0
	.section	.AMDGPU.csdata,"",@progbits
; Kernel info:
; codeLenInByte = 3576
; TotalNumSgprs: 18
; NumVgprs: 18
; ScratchSize: 0
; MemoryBound: 0
; FloatMode: 240
; IeeeMode: 1
; LDSByteSize: 768 bytes/workgroup (compile time only)
; SGPRBlocks: 0
; VGPRBlocks: 2
; NumSGPRsForWavesPerEU: 18
; NumVGPRsForWavesPerEU: 18
; Occupancy: 16
; WaveLimiterHint : 0
; COMPUTE_PGM_RSRC2:SCRATCH_EN: 0
; COMPUTE_PGM_RSRC2:USER_SGPR: 2
; COMPUTE_PGM_RSRC2:TRAP_HANDLER: 0
; COMPUTE_PGM_RSRC2:TGID_X_EN: 1
; COMPUTE_PGM_RSRC2:TGID_Y_EN: 0
; COMPUTE_PGM_RSRC2:TGID_Z_EN: 0
; COMPUTE_PGM_RSRC2:TIDIG_COMP_CNT: 0
	.section	.text._ZN2at6native12_GLOBAL__N_126LayerNormForwardCUDAKernelIN3c108BFloat16EfLb1EEEvlPKT_PKT0_SA_S7_S7_PS5_,"axG",@progbits,_ZN2at6native12_GLOBAL__N_126LayerNormForwardCUDAKernelIN3c108BFloat16EfLb1EEEvlPKT_PKT0_SA_S7_S7_PS5_,comdat
	.globl	_ZN2at6native12_GLOBAL__N_126LayerNormForwardCUDAKernelIN3c108BFloat16EfLb1EEEvlPKT_PKT0_SA_S7_S7_PS5_ ; -- Begin function _ZN2at6native12_GLOBAL__N_126LayerNormForwardCUDAKernelIN3c108BFloat16EfLb1EEEvlPKT_PKT0_SA_S7_S7_PS5_
	.p2align	8
	.type	_ZN2at6native12_GLOBAL__N_126LayerNormForwardCUDAKernelIN3c108BFloat16EfLb1EEEvlPKT_PKT0_SA_S7_S7_PS5_,@function
_ZN2at6native12_GLOBAL__N_126LayerNormForwardCUDAKernelIN3c108BFloat16EfLb1EEEvlPKT_PKT0_SA_S7_S7_PS5_: ; @_ZN2at6native12_GLOBAL__N_126LayerNormForwardCUDAKernelIN3c108BFloat16EfLb1EEEvlPKT_PKT0_SA_S7_S7_PS5_
; %bb.0:
	s_load_b128 s[4:7], s[0:1], 0x0
	v_mov_b32_e32 v1, 0
	s_mov_b32 s2, exec_lo
	s_wait_kmcnt 0x0
	s_delay_alu instid0(VALU_DEP_1)
	v_cmpx_gt_i64_e64 s[4:5], v[0:1]
	s_cbranch_execz .LBB23_6
; %bb.1:
	s_clause 0x2
	s_load_b128 s[8:11], s[0:1], 0x18
	s_load_b32 s16, s[0:1], 0x44
	s_load_b64 s[14:15], s[0:1], 0x30
	s_mov_b32 s2, ttmp9
	s_mov_b32 s3, 0
	v_dual_mov_b32 v3, v1 :: v_dual_lshlrev_b32 v2, 1, v0
	s_wait_kmcnt 0x0
	s_cmp_lg_u64 s[10:11], 0
	s_cselect_b32 s1, -1, 0
	s_lshl_b64 s[12:13], s[2:3], 2
	s_delay_alu instid0(SALU_CYCLE_1)
	s_add_nc_u64 s[8:9], s[8:9], s[12:13]
	s_load_b32 s12, s[8:9], 0x0
	s_mul_u64 s[8:9], s[4:5], s[2:3]
	s_and_b32 s2, s16, 0xffff
	s_lshl_b64 s[8:9], s[8:9], 1
	s_lshl_b32 s13, s2, 1
	s_add_nc_u64 s[6:7], s[6:7], s[8:9]
	s_add_nc_u64 s[8:9], s[14:15], s[8:9]
	s_branch .LBB23_4
.LBB23_2:                               ;   in Loop: Header=BB23_4 Depth=1
	v_add_co_u32 v4, vcc_lo, s10, v2
	s_wait_alu 0xfffd
	v_add_co_ci_u32_e64 v5, null, s11, v3, vcc_lo
	global_load_u16 v4, v[4:5], off
	s_wait_loadcnt 0x0
	v_lshlrev_b32_e32 v4, 16, v4
.LBB23_3:                               ;   in Loop: Header=BB23_4 Depth=1
	v_add_co_u32 v5, vcc_lo, s6, v2
	s_wait_alu 0xfffd
	v_add_co_ci_u32_e64 v6, null, s7, v3, vcc_lo
	v_add_co_u32 v0, vcc_lo, v0, s2
	s_wait_alu 0xfffd
	v_add_co_ci_u32_e64 v1, null, 0, v1, vcc_lo
	global_load_u16 v5, v[5:6], off
	s_wait_loadcnt 0x0
	v_lshlrev_b32_e32 v5, 16, v5
	s_wait_kmcnt 0x0
	s_delay_alu instid0(VALU_DEP_1) | instskip(NEXT) | instid1(VALU_DEP_1)
	v_mul_f32_e32 v5, s12, v5
	v_mul_f32_e32 v6, v4, v5
	s_delay_alu instid0(VALU_DEP_1) | instskip(SKIP_1) | instid1(VALU_DEP_2)
	v_bfe_u32 v4, v6, 16, 1
	v_cmp_o_f32_e64 s0, v6, v6
	v_add3_u32 v4, v6, v4, 0x7fff
	s_delay_alu instid0(VALU_DEP_1)
	v_lshrrev_b32_e32 v7, 16, v4
	v_add_co_u32 v4, vcc_lo, s8, v2
	s_wait_alu 0xfffd
	v_add_co_ci_u32_e64 v5, null, s9, v3, vcc_lo
	v_cmp_le_i64_e32 vcc_lo, s[4:5], v[0:1]
	s_wait_alu 0xf1ff
	v_cndmask_b32_e64 v6, 0x7fc0, v7, s0
	v_add_co_u32 v2, s0, v2, s13
	s_wait_alu 0xf1ff
	v_add_co_ci_u32_e64 v3, null, 0, v3, s0
	s_or_b32 s3, vcc_lo, s3
	global_store_b16 v[4:5], v6, off
	s_wait_alu 0xfffe
	s_and_not1_b32 exec_lo, exec_lo, s3
	s_cbranch_execz .LBB23_6
.LBB23_4:                               ; =>This Inner Loop Header: Depth=1
	s_and_not1_b32 vcc_lo, exec_lo, s1
	s_wait_alu 0xfffe
	s_cbranch_vccz .LBB23_2
; %bb.5:                                ;   in Loop: Header=BB23_4 Depth=1
	v_mov_b32_e32 v4, 1.0
	s_branch .LBB23_3
.LBB23_6:
	s_endpgm
	.section	.rodata,"a",@progbits
	.p2align	6, 0x0
	.amdhsa_kernel _ZN2at6native12_GLOBAL__N_126LayerNormForwardCUDAKernelIN3c108BFloat16EfLb1EEEvlPKT_PKT0_SA_S7_S7_PS5_
		.amdhsa_group_segment_fixed_size 0
		.amdhsa_private_segment_fixed_size 0
		.amdhsa_kernarg_size 312
		.amdhsa_user_sgpr_count 2
		.amdhsa_user_sgpr_dispatch_ptr 0
		.amdhsa_user_sgpr_queue_ptr 0
		.amdhsa_user_sgpr_kernarg_segment_ptr 1
		.amdhsa_user_sgpr_dispatch_id 0
		.amdhsa_user_sgpr_private_segment_size 0
		.amdhsa_wavefront_size32 1
		.amdhsa_uses_dynamic_stack 0
		.amdhsa_enable_private_segment 0
		.amdhsa_system_sgpr_workgroup_id_x 1
		.amdhsa_system_sgpr_workgroup_id_y 0
		.amdhsa_system_sgpr_workgroup_id_z 0
		.amdhsa_system_sgpr_workgroup_info 0
		.amdhsa_system_vgpr_workitem_id 0
		.amdhsa_next_free_vgpr 8
		.amdhsa_next_free_sgpr 17
		.amdhsa_reserve_vcc 1
		.amdhsa_float_round_mode_32 0
		.amdhsa_float_round_mode_16_64 0
		.amdhsa_float_denorm_mode_32 3
		.amdhsa_float_denorm_mode_16_64 3
		.amdhsa_fp16_overflow 0
		.amdhsa_workgroup_processor_mode 1
		.amdhsa_memory_ordered 1
		.amdhsa_forward_progress 1
		.amdhsa_inst_pref_size 4
		.amdhsa_round_robin_scheduling 0
		.amdhsa_exception_fp_ieee_invalid_op 0
		.amdhsa_exception_fp_denorm_src 0
		.amdhsa_exception_fp_ieee_div_zero 0
		.amdhsa_exception_fp_ieee_overflow 0
		.amdhsa_exception_fp_ieee_underflow 0
		.amdhsa_exception_fp_ieee_inexact 0
		.amdhsa_exception_int_div_zero 0
	.end_amdhsa_kernel
	.section	.text._ZN2at6native12_GLOBAL__N_126LayerNormForwardCUDAKernelIN3c108BFloat16EfLb1EEEvlPKT_PKT0_SA_S7_S7_PS5_,"axG",@progbits,_ZN2at6native12_GLOBAL__N_126LayerNormForwardCUDAKernelIN3c108BFloat16EfLb1EEEvlPKT_PKT0_SA_S7_S7_PS5_,comdat
.Lfunc_end23:
	.size	_ZN2at6native12_GLOBAL__N_126LayerNormForwardCUDAKernelIN3c108BFloat16EfLb1EEEvlPKT_PKT0_SA_S7_S7_PS5_, .Lfunc_end23-_ZN2at6native12_GLOBAL__N_126LayerNormForwardCUDAKernelIN3c108BFloat16EfLb1EEEvlPKT_PKT0_SA_S7_S7_PS5_
                                        ; -- End function
	.set _ZN2at6native12_GLOBAL__N_126LayerNormForwardCUDAKernelIN3c108BFloat16EfLb1EEEvlPKT_PKT0_SA_S7_S7_PS5_.num_vgpr, 8
	.set _ZN2at6native12_GLOBAL__N_126LayerNormForwardCUDAKernelIN3c108BFloat16EfLb1EEEvlPKT_PKT0_SA_S7_S7_PS5_.num_agpr, 0
	.set _ZN2at6native12_GLOBAL__N_126LayerNormForwardCUDAKernelIN3c108BFloat16EfLb1EEEvlPKT_PKT0_SA_S7_S7_PS5_.numbered_sgpr, 17
	.set _ZN2at6native12_GLOBAL__N_126LayerNormForwardCUDAKernelIN3c108BFloat16EfLb1EEEvlPKT_PKT0_SA_S7_S7_PS5_.num_named_barrier, 0
	.set _ZN2at6native12_GLOBAL__N_126LayerNormForwardCUDAKernelIN3c108BFloat16EfLb1EEEvlPKT_PKT0_SA_S7_S7_PS5_.private_seg_size, 0
	.set _ZN2at6native12_GLOBAL__N_126LayerNormForwardCUDAKernelIN3c108BFloat16EfLb1EEEvlPKT_PKT0_SA_S7_S7_PS5_.uses_vcc, 1
	.set _ZN2at6native12_GLOBAL__N_126LayerNormForwardCUDAKernelIN3c108BFloat16EfLb1EEEvlPKT_PKT0_SA_S7_S7_PS5_.uses_flat_scratch, 0
	.set _ZN2at6native12_GLOBAL__N_126LayerNormForwardCUDAKernelIN3c108BFloat16EfLb1EEEvlPKT_PKT0_SA_S7_S7_PS5_.has_dyn_sized_stack, 0
	.set _ZN2at6native12_GLOBAL__N_126LayerNormForwardCUDAKernelIN3c108BFloat16EfLb1EEEvlPKT_PKT0_SA_S7_S7_PS5_.has_recursion, 0
	.set _ZN2at6native12_GLOBAL__N_126LayerNormForwardCUDAKernelIN3c108BFloat16EfLb1EEEvlPKT_PKT0_SA_S7_S7_PS5_.has_indirect_call, 0
	.section	.AMDGPU.csdata,"",@progbits
; Kernel info:
; codeLenInByte = 412
; TotalNumSgprs: 19
; NumVgprs: 8
; ScratchSize: 0
; MemoryBound: 0
; FloatMode: 240
; IeeeMode: 1
; LDSByteSize: 0 bytes/workgroup (compile time only)
; SGPRBlocks: 0
; VGPRBlocks: 0
; NumSGPRsForWavesPerEU: 19
; NumVGPRsForWavesPerEU: 8
; Occupancy: 16
; WaveLimiterHint : 0
; COMPUTE_PGM_RSRC2:SCRATCH_EN: 0
; COMPUTE_PGM_RSRC2:USER_SGPR: 2
; COMPUTE_PGM_RSRC2:TRAP_HANDLER: 0
; COMPUTE_PGM_RSRC2:TGID_X_EN: 1
; COMPUTE_PGM_RSRC2:TGID_Y_EN: 0
; COMPUTE_PGM_RSRC2:TGID_Z_EN: 0
; COMPUTE_PGM_RSRC2:TIDIG_COMP_CNT: 0
	.section	.text._ZN2at6native12_GLOBAL__N_118cuComputeGradInputIddLb0EEEvPKT_S5_llPKT0_S8_S5_PS3_,"axG",@progbits,_ZN2at6native12_GLOBAL__N_118cuComputeGradInputIddLb0EEEvPKT_S5_llPKT0_S8_S5_PS3_,comdat
	.globl	_ZN2at6native12_GLOBAL__N_118cuComputeGradInputIddLb0EEEvPKT_S5_llPKT0_S8_S5_PS3_ ; -- Begin function _ZN2at6native12_GLOBAL__N_118cuComputeGradInputIddLb0EEEvPKT_S5_llPKT0_S8_S5_PS3_
	.p2align	8
	.type	_ZN2at6native12_GLOBAL__N_118cuComputeGradInputIddLb0EEEvPKT_S5_llPKT0_S8_S5_PS3_,@function
_ZN2at6native12_GLOBAL__N_118cuComputeGradInputIddLb0EEEvPKT_S5_llPKT0_S8_S5_PS3_: ; @_ZN2at6native12_GLOBAL__N_118cuComputeGradInputIddLb0EEEvPKT_S5_llPKT0_S8_S5_PS3_
; %bb.0:
	s_load_b128 s[16:19], s[0:1], 0x10
	s_mov_b32 s4, ttmp7
	s_ashr_i32 s5, ttmp7, 31
	s_wait_kmcnt 0x0
	v_cmp_le_i64_e64 s2, s[16:17], s[4:5]
	s_and_b32 vcc_lo, exec_lo, s2
	s_cbranch_vccnz .LBB24_47
; %bb.1:
	v_cvt_f64_i32_e32 v[1:2], s19
	v_cvt_f64_u32_e32 v[3:4], s18
	s_clause 0x1
	s_load_b32 s2, s[0:1], 0x4c
	s_load_b256 s[8:15], s[0:1], 0x20
	v_and_b32_e32 v20, 0x3ff, v0
	v_bfe_u32 v21, v0, 10, 10
	s_clause 0x1
	s_load_b32 s34, s[0:1], 0x44
	s_load_b128 s[20:23], s[0:1], 0x0
	v_cmp_gt_i64_e64 s42, s[18:19], 0
	v_mbcnt_lo_u32_b32 v24, -1, 0
	v_cmp_eq_u32_e64 s0, 0, v21
	v_cmp_ne_u32_e64 s1, 0, v21
	s_mov_b32 s33, ttmp7
	v_cndmask_b32_e64 v22, 0, 1, s42
	s_wait_kmcnt 0x0
	s_and_b32 s36, s2, 0xffff
	s_lshr_b32 s35, s2, 16
	s_cmp_lg_u64 s[12:13], 0
	s_mul_i32 s39, s35, s36
	s_cselect_b32 s37, -1, 0
	s_cmp_gt_u32 s36, 1
	s_cselect_b32 s38, -1, 0
	s_cmp_gt_u32 s35, 1
	s_cselect_b32 s40, -1, 0
	s_ashr_i32 s41, s39, 31
	v_ldexp_f64 v[1:2], v[1:2], 32
	s_delay_alu instid0(VALU_DEP_1) | instskip(NEXT) | instid1(VALU_DEP_1)
	v_add_f64_e32 v[4:5], v[1:2], v[3:4]
	v_div_scale_f64 v[1:2], null, v[4:5], v[4:5], 1.0
	s_delay_alu instid0(VALU_DEP_1) | instskip(NEXT) | instid1(TRANS32_DEP_1)
	v_rcp_f64_e32 v[6:7], v[1:2]
	v_fma_f64 v[8:9], -v[1:2], v[6:7], 1.0
	s_delay_alu instid0(VALU_DEP_1) | instskip(NEXT) | instid1(VALU_DEP_1)
	v_fma_f64 v[6:7], v[6:7], v[8:9], v[6:7]
	v_fma_f64 v[8:9], -v[1:2], v[6:7], 1.0
	s_delay_alu instid0(VALU_DEP_1) | instskip(SKIP_1) | instid1(VALU_DEP_1)
	v_fma_f64 v[6:7], v[6:7], v[8:9], v[6:7]
	v_div_scale_f64 v[8:9], vcc_lo, 1.0, v[4:5], 1.0
	v_mul_f64_e32 v[10:11], v[8:9], v[6:7]
	s_delay_alu instid0(VALU_DEP_1) | instskip(SKIP_2) | instid1(VALU_DEP_1)
	v_fma_f64 v[1:2], -v[1:2], v[10:11], v[8:9]
	v_mov_b32_e32 v9, 0
	v_mad_u32_u24 v8, v21, s36, v20
	v_lshlrev_b32_e32 v0, 4, v8
	s_delay_alu instid0(VALU_DEP_3) | instskip(NEXT) | instid1(VALU_DEP_2)
	v_cmp_gt_i64_e64 s2, s[18:19], v[8:9]
	v_add_nc_u32_e32 v23, 0, v0
	v_div_fmas_f64 v[1:2], v[1:2], v[6:7], v[10:11]
	s_delay_alu instid0(VALU_DEP_1) | instskip(SKIP_2) | instid1(VALU_DEP_2)
	v_div_fixup_f64 v[6:7], v[1:2], v[4:5], 1.0
	v_add_nc_u32_e32 v1, s39, v8
	v_lshlrev_b32_e32 v2, 4, v20
	v_ashrrev_i32_e32 v3, 31, v1
	v_sub_co_u32 v10, vcc_lo, v1, s39
	s_delay_alu instid0(VALU_DEP_3) | instskip(SKIP_1) | instid1(VALU_DEP_3)
	v_add_nc_u32_e32 v25, 0, v2
	s_wait_alu 0xfffd
	v_subrev_co_ci_u32_e64 v11, null, s41, v3, vcc_lo
	s_branch .LBB24_4
.LBB24_2:                               ;   in Loop: Header=BB24_4 Depth=1
	s_or_b32 exec_lo, exec_lo, s30
.LBB24_3:                               ;   in Loop: Header=BB24_4 Depth=1
	s_add_co_i32 s4, s34, s33
	s_wait_storecnt 0x0
	s_wait_loadcnt_dscnt 0x0
	s_wait_alu 0xfffe
	s_ashr_i32 s5, s4, 31
	s_mov_b32 s33, s4
	s_wait_alu 0xfffe
	v_cmp_le_i64_e64 s3, s[16:17], s[4:5]
	s_barrier_signal -1
	s_barrier_wait -1
	global_inv scope:SCOPE_SE
	s_and_b32 vcc_lo, exec_lo, s3
	s_wait_alu 0xfffe
	s_cbranch_vccnz .LBB24_47
.LBB24_4:                               ; =>This Loop Header: Depth=1
                                        ;     Child Loop BB24_8 Depth 2
                                        ;     Child Loop BB24_19 Depth 2
	;; [unrolled: 1-line block ×6, first 2 shown]
	s_lshl_b64 s[6:7], s[4:5], 3
	s_mul_u64 s[4:5], s[4:5], s[18:19]
	s_wait_alu 0xfffe
	s_add_nc_u64 s[24:25], s[8:9], s[6:7]
	s_add_nc_u64 s[26:27], s[10:11], s[6:7]
	s_load_b64 s[6:7], s[24:25], 0x0
	s_load_b64 s[24:25], s[26:27], 0x0
	v_cmp_ne_u32_e64 s3, 1, v22
	s_lshl_b64 s[30:31], s[4:5], 3
	s_and_not1_b32 vcc_lo, exec_lo, s37
	s_add_nc_u64 s[26:27], s[22:23], s[30:31]
	s_add_nc_u64 s[28:29], s[20:21], s[30:31]
	s_mov_b32 s4, -1
                                        ; implicit-def: $vgpr0_vgpr1
	s_wait_alu 0xfffe
	s_cbranch_vccnz .LBB24_15
; %bb.5:                                ;   in Loop: Header=BB24_4 Depth=1
	v_mov_b32_e32 v0, 0
	v_mov_b32_e32 v1, 0
	s_and_b32 vcc_lo, exec_lo, s3
	s_delay_alu instid0(VALU_DEP_1)
	v_dual_mov_b32 v3, v1 :: v_dual_mov_b32 v2, v0
	s_wait_alu 0xfffe
	s_cbranch_vccnz .LBB24_14
; %bb.6:                                ;   in Loop: Header=BB24_4 Depth=1
	s_mov_b32 s4, 0
	s_branch .LBB24_8
.LBB24_7:                               ;   in Loop: Header=BB24_8 Depth=2
	s_wait_alu 0xfffe
	s_or_b32 exec_lo, exec_lo, s3
	s_wait_loadcnt 0x0
	v_mul_f64_e32 v[14:15], v[12:13], v[16:17]
	s_wait_kmcnt 0x0
	v_add_f64_e64 v[18:19], v[18:19], -s[6:7]
	v_fma_f64 v[0:1], v[12:13], v[16:17], v[0:1]
	s_add_co_i32 s4, s4, s39
	s_wait_alu 0xfffe
	s_ashr_i32 s5, s4, 31
	s_wait_alu 0xfffe
	v_cmp_le_i64_e64 s3, s[18:19], s[4:5]
	s_and_b32 vcc_lo, exec_lo, s3
	v_mul_f64_e32 v[14:15], v[18:19], v[14:15]
	s_delay_alu instid0(VALU_DEP_1)
	v_fma_f64 v[2:3], s[24:25], v[14:15], v[2:3]
	s_wait_alu 0xfffe
	s_cbranch_vccnz .LBB24_14
.LBB24_8:                               ;   Parent Loop BB24_4 Depth=1
                                        ; =>  This Inner Loop Header: Depth=2
	s_wait_alu 0xfffe
	v_add_nc_u32_e32 v12, s4, v8
	s_delay_alu instid0(VALU_DEP_1) | instskip(NEXT) | instid1(VALU_DEP_1)
	v_ashrrev_i32_e32 v13, 31, v12
	v_cmp_gt_i64_e32 vcc_lo, s[18:19], v[12:13]
	v_lshlrev_b64_e32 v[14:15], 3, v[12:13]
	v_mov_b32_e32 v12, 0
	v_mov_b32_e32 v13, 0
	s_and_saveexec_b32 s5, vcc_lo
	s_cbranch_execz .LBB24_10
; %bb.9:                                ;   in Loop: Header=BB24_8 Depth=2
	s_delay_alu instid0(VALU_DEP_3)
	v_add_co_u32 v12, s3, s12, v14
	s_wait_alu 0xf1ff
	v_add_co_ci_u32_e64 v13, null, s13, v15, s3
	global_load_b64 v[12:13], v[12:13], off
.LBB24_10:                              ;   in Loop: Header=BB24_8 Depth=2
	s_wait_alu 0xfffe
	s_or_b32 exec_lo, exec_lo, s5
	v_mov_b32_e32 v16, 0
	v_dual_mov_b32 v17, 0 :: v_dual_mov_b32 v18, 0
	v_mov_b32_e32 v19, 0
	s_and_saveexec_b32 s5, vcc_lo
	s_cbranch_execz .LBB24_12
; %bb.11:                               ;   in Loop: Header=BB24_8 Depth=2
	v_add_co_u32 v18, s3, s26, v14
	s_wait_alu 0xf1ff
	v_add_co_ci_u32_e64 v19, null, s27, v15, s3
	global_load_b64 v[18:19], v[18:19], off
.LBB24_12:                              ;   in Loop: Header=BB24_8 Depth=2
	s_wait_alu 0xfffe
	s_or_b32 exec_lo, exec_lo, s5
	s_and_saveexec_b32 s3, vcc_lo
	s_cbranch_execz .LBB24_7
; %bb.13:                               ;   in Loop: Header=BB24_8 Depth=2
	v_add_co_u32 v14, vcc_lo, s28, v14
	s_wait_alu 0xfffd
	v_add_co_ci_u32_e64 v15, null, s29, v15, vcc_lo
	global_load_b64 v[16:17], v[14:15], off
	s_branch .LBB24_7
.LBB24_14:                              ;   in Loop: Header=BB24_4 Depth=1
	s_mov_b32 s4, 0
.LBB24_15:                              ;   in Loop: Header=BB24_4 Depth=1
	s_wait_alu 0xfffe
	s_and_not1_b32 vcc_lo, exec_lo, s4
	s_wait_alu 0xfffe
	s_cbranch_vccnz .LBB24_23
; %bb.16:                               ;   in Loop: Header=BB24_4 Depth=1
	v_mov_b32_e32 v0, 0
	v_mov_b32_e32 v1, 0
	s_and_not1_b32 vcc_lo, exec_lo, s42
	s_delay_alu instid0(VALU_DEP_1)
	v_dual_mov_b32 v3, v1 :: v_dual_mov_b32 v2, v0
	s_wait_alu 0xfffe
	s_cbranch_vccnz .LBB24_23
; %bb.17:                               ;   in Loop: Header=BB24_4 Depth=1
	s_mov_b32 s4, 0
	s_branch .LBB24_19
.LBB24_18:                              ;   in Loop: Header=BB24_19 Depth=2
	s_wait_alu 0xfffe
	s_or_b32 exec_lo, exec_lo, s3
	s_wait_loadcnt 0x0
	s_wait_kmcnt 0x0
	v_add_f64_e64 v[12:13], v[12:13], -s[6:7]
	v_add_f64_e32 v[0:1], v[0:1], v[16:17]
	s_add_co_i32 s4, s4, s39
	s_wait_alu 0xfffe
	s_ashr_i32 s5, s4, 31
	s_wait_alu 0xfffe
	v_cmp_le_i64_e64 s3, s[18:19], s[4:5]
	s_and_b32 vcc_lo, exec_lo, s3
	v_mul_f64_e32 v[12:13], v[12:13], v[16:17]
	s_delay_alu instid0(VALU_DEP_1)
	v_fma_f64 v[2:3], s[24:25], v[12:13], v[2:3]
	s_wait_alu 0xfffe
	s_cbranch_vccnz .LBB24_23
.LBB24_19:                              ;   Parent Loop BB24_4 Depth=1
                                        ; =>  This Inner Loop Header: Depth=2
	s_wait_alu 0xfffe
	v_add_nc_u32_e32 v12, s4, v8
	s_delay_alu instid0(VALU_DEP_1) | instskip(NEXT) | instid1(VALU_DEP_1)
	v_ashrrev_i32_e32 v13, 31, v12
	v_cmp_gt_i64_e32 vcc_lo, s[18:19], v[12:13]
	v_lshlrev_b64_e32 v[14:15], 3, v[12:13]
	v_mov_b32_e32 v12, 0
	v_mov_b32_e32 v13, 0
	s_and_saveexec_b32 s5, vcc_lo
	s_cbranch_execz .LBB24_21
; %bb.20:                               ;   in Loop: Header=BB24_19 Depth=2
	s_delay_alu instid0(VALU_DEP_3)
	v_add_co_u32 v12, s3, s26, v14
	s_wait_alu 0xf1ff
	v_add_co_ci_u32_e64 v13, null, s27, v15, s3
	global_load_b64 v[12:13], v[12:13], off
.LBB24_21:                              ;   in Loop: Header=BB24_19 Depth=2
	s_wait_alu 0xfffe
	s_or_b32 exec_lo, exec_lo, s5
	v_mov_b32_e32 v16, 0
	v_mov_b32_e32 v17, 0
	s_and_saveexec_b32 s3, vcc_lo
	s_cbranch_execz .LBB24_18
; %bb.22:                               ;   in Loop: Header=BB24_19 Depth=2
	v_add_co_u32 v14, vcc_lo, s28, v14
	s_wait_alu 0xfffd
	v_add_co_ci_u32_e64 v15, null, s29, v15, vcc_lo
	global_load_b64 v[16:17], v[14:15], off
	s_branch .LBB24_18
.LBB24_23:                              ;   in Loop: Header=BB24_4 Depth=1
	s_and_not1_b32 vcc_lo, exec_lo, s38
	s_wait_alu 0xfffe
	s_cbranch_vccnz .LBB24_26
; %bb.24:                               ;   in Loop: Header=BB24_4 Depth=1
	s_mov_b32 s3, s36
.LBB24_25:                              ;   Parent Loop BB24_4 Depth=1
                                        ; =>  This Inner Loop Header: Depth=2
	s_wait_alu 0xfffe
	s_lshr_b32 s4, s3, 1
	s_cmp_lt_u32 s3, 4
	s_wait_alu 0xfffe
	v_xor_b32_e32 v12, s4, v24
	s_mov_b32 s3, s4
	s_delay_alu instid0(VALU_DEP_1) | instskip(SKIP_2) | instid1(VALU_DEP_1)
	v_cmp_gt_i32_e32 vcc_lo, 32, v12
	s_wait_alu 0xfffd
	v_cndmask_b32_e32 v12, v24, v12, vcc_lo
	v_lshlrev_b32_e32 v15, 2, v12
	ds_bpermute_b32 v12, v15, v0
	ds_bpermute_b32 v13, v15, v1
	;; [unrolled: 1-line block ×4, first 2 shown]
	s_wait_dscnt 0x2
	v_add_f64_e32 v[0:1], v[0:1], v[12:13]
	s_wait_dscnt 0x0
	v_add_f64_e32 v[2:3], v[2:3], v[14:15]
	s_cbranch_scc0 .LBB24_25
.LBB24_26:                              ;   in Loop: Header=BB24_4 Depth=1
	s_and_not1_b32 vcc_lo, exec_lo, s40
	s_mov_b32 s5, s35
	s_wait_alu 0xfffe
	s_cbranch_vccnz .LBB24_38
.LBB24_27:                              ;   Parent Loop BB24_4 Depth=1
                                        ; =>  This Inner Loop Header: Depth=2
	s_wait_alu 0xfffe
	s_lshr_b32 s43, s5, 1
	s_and_b32 s4, s5, 0xfffe
	s_wait_alu 0xfffe
	v_cmp_le_u32_e64 s3, s43, v21
	v_cmp_gt_u32_e64 s4, s4, v21
	v_cmp_gt_u32_e32 vcc_lo, s43, v21
	s_and_b32 s4, s3, s4
	s_wait_alu 0xfffe
	s_and_saveexec_b32 s3, s4
	s_cbranch_execz .LBB24_29
; %bb.28:                               ;   in Loop: Header=BB24_27 Depth=2
	v_subrev_nc_u32_e32 v12, s43, v21
	s_delay_alu instid0(VALU_DEP_1) | instskip(NEXT) | instid1(VALU_DEP_1)
	v_mad_u32_u24 v12, v12, s36, v20
	v_lshl_add_u32 v12, v12, 4, 0
	ds_store_2addr_b64 v12, v[0:1], v[2:3] offset1:1
.LBB24_29:                              ;   in Loop: Header=BB24_27 Depth=2
	s_wait_alu 0xfffe
	s_or_b32 exec_lo, exec_lo, s3
	s_wait_dscnt 0x0
	s_barrier_signal -1
	s_barrier_wait -1
	global_inv scope:SCOPE_SE
	s_and_saveexec_b32 s3, vcc_lo
	s_cbranch_execz .LBB24_31
; %bb.30:                               ;   in Loop: Header=BB24_27 Depth=2
	ds_load_2addr_b64 v[12:15], v23 offset1:1
	s_wait_dscnt 0x0
	v_add_f64_e32 v[0:1], v[0:1], v[12:13]
	v_add_f64_e32 v[2:3], v[2:3], v[14:15]
.LBB24_31:                              ;   in Loop: Header=BB24_27 Depth=2
	s_wait_alu 0xfffe
	s_or_b32 exec_lo, exec_lo, s3
	s_cmp_lt_u32 s5, 4
	s_wait_loadcnt 0x0
	s_barrier_signal -1
	s_barrier_wait -1
	global_inv scope:SCOPE_SE
	s_cbranch_scc1 .LBB24_33
; %bb.32:                               ;   in Loop: Header=BB24_27 Depth=2
	s_mov_b32 s5, s43
	s_branch .LBB24_27
.LBB24_33:                              ;   in Loop: Header=BB24_4 Depth=1
	s_and_saveexec_b32 s3, s0
; %bb.34:                               ;   in Loop: Header=BB24_4 Depth=1
	ds_store_2addr_b64 v25, v[0:1], v[2:3] offset1:1
; %bb.35:                               ;   in Loop: Header=BB24_4 Depth=1
	s_wait_alu 0xfffe
	s_or_b32 exec_lo, exec_lo, s3
	s_wait_loadcnt_dscnt 0x0
	s_barrier_signal -1
	s_barrier_wait -1
	global_inv scope:SCOPE_SE
	s_and_saveexec_b32 s3, s1
; %bb.36:                               ;   in Loop: Header=BB24_4 Depth=1
	ds_load_2addr_b64 v[0:3], v25 offset1:1
; %bb.37:                               ;   in Loop: Header=BB24_4 Depth=1
	s_wait_alu 0xfffe
	s_or_b32 exec_lo, exec_lo, s3
.LBB24_38:                              ;   in Loop: Header=BB24_4 Depth=1
	s_wait_kmcnt 0x0
	v_mul_f64_e32 v[12:13], s[24:25], v[6:7]
	s_and_not1_b32 vcc_lo, exec_lo, s37
	s_add_nc_u64 s[4:5], s[14:15], s[30:31]
	s_wait_alu 0xfffe
	s_cbranch_vccnz .LBB24_43
; %bb.39:                               ;   in Loop: Header=BB24_4 Depth=1
	s_and_saveexec_b32 s30, s2
	s_cbranch_execz .LBB24_42
; %bb.40:                               ;   in Loop: Header=BB24_4 Depth=1
	v_dual_mov_b32 v15, v11 :: v_dual_mov_b32 v14, v10
	v_dual_mov_b32 v17, v9 :: v_dual_mov_b32 v16, v8
	s_mov_b32 s31, 0
.LBB24_41:                              ;   Parent Loop BB24_4 Depth=1
                                        ; =>  This Inner Loop Header: Depth=2
	s_delay_alu instid0(VALU_DEP_1) | instskip(NEXT) | instid1(VALU_DEP_1)
	v_lshlrev_b64_e32 v[18:19], 3, v[16:17]
	v_add_co_u32 v16, vcc_lo, s28, v18
	s_wait_alu 0xfffd
	s_delay_alu instid0(VALU_DEP_2)
	v_add_co_ci_u32_e64 v17, null, s29, v19, vcc_lo
	v_add_co_u32 v26, vcc_lo, s26, v18
	s_wait_alu 0xfffd
	v_add_co_ci_u32_e64 v27, null, s27, v19, vcc_lo
	global_load_b64 v[16:17], v[16:17], off
	global_load_b64 v[26:27], v[26:27], off
	v_add_co_u32 v28, vcc_lo, s12, v18
	s_wait_alu 0xfffd
	v_add_co_ci_u32_e64 v29, null, s13, v19, vcc_lo
	v_add_co_u32 v14, vcc_lo, v14, s39
	s_wait_alu 0xfffd
	v_add_co_ci_u32_e64 v15, null, s41, v15, vcc_lo
	global_load_b64 v[28:29], v[28:29], off
	v_add_co_u32 v18, s3, s4, v18
	v_cmp_le_i64_e32 vcc_lo, s[18:19], v[14:15]
	s_wait_alu 0xf1ff
	v_add_co_ci_u32_e64 v19, null, s5, v19, s3
	s_or_b32 s31, vcc_lo, s31
	s_wait_loadcnt 0x2
	v_mul_f64_e32 v[16:17], v[16:17], v[4:5]
	s_wait_loadcnt 0x1
	v_add_f64_e64 v[26:27], v[26:27], -s[6:7]
	s_wait_loadcnt_dscnt 0x0
	s_delay_alu instid0(VALU_DEP_2) | instskip(NEXT) | instid1(VALU_DEP_2)
	v_fma_f64 v[16:17], v[16:17], v[28:29], -v[0:1]
	v_mul_f64_e32 v[26:27], s[24:25], v[26:27]
	s_delay_alu instid0(VALU_DEP_1) | instskip(NEXT) | instid1(VALU_DEP_1)
	v_fma_f64 v[16:17], -v[2:3], v[26:27], v[16:17]
	v_mul_f64_e32 v[26:27], v[12:13], v[16:17]
	v_ashrrev_i32_e32 v17, 31, v14
	v_mov_b32_e32 v16, v14
	global_store_b64 v[18:19], v[26:27], off
	s_and_not1_b32 exec_lo, exec_lo, s31
	s_cbranch_execnz .LBB24_41
.LBB24_42:                              ;   in Loop: Header=BB24_4 Depth=1
	s_or_b32 exec_lo, exec_lo, s30
	s_cbranch_execnz .LBB24_3
	s_branch .LBB24_44
.LBB24_43:                              ;   in Loop: Header=BB24_4 Depth=1
.LBB24_44:                              ;   in Loop: Header=BB24_4 Depth=1
	s_and_saveexec_b32 s30, s2
	s_cbranch_execz .LBB24_2
; %bb.45:                               ;   in Loop: Header=BB24_4 Depth=1
	v_dual_mov_b32 v15, v11 :: v_dual_mov_b32 v14, v10
	v_dual_mov_b32 v17, v9 :: v_dual_mov_b32 v16, v8
	s_mov_b32 s31, 0
.LBB24_46:                              ;   Parent Loop BB24_4 Depth=1
                                        ; =>  This Inner Loop Header: Depth=2
	s_delay_alu instid0(VALU_DEP_1) | instskip(NEXT) | instid1(VALU_DEP_1)
	v_lshlrev_b64_e32 v[18:19], 3, v[16:17]
	v_add_co_u32 v16, vcc_lo, s26, v18
	s_wait_alu 0xfffd
	s_delay_alu instid0(VALU_DEP_2)
	v_add_co_ci_u32_e64 v17, null, s27, v19, vcc_lo
	v_add_co_u32 v26, vcc_lo, s28, v18
	s_wait_alu 0xfffd
	v_add_co_ci_u32_e64 v27, null, s29, v19, vcc_lo
	global_load_b64 v[16:17], v[16:17], off
	v_add_co_u32 v14, vcc_lo, v14, s39
	global_load_b64 v[26:27], v[26:27], off
	s_wait_alu 0xfffd
	v_add_co_ci_u32_e64 v15, null, s41, v15, vcc_lo
	v_add_co_u32 v18, s3, s4, v18
	s_wait_alu 0xf1ff
	v_add_co_ci_u32_e64 v19, null, s5, v19, s3
	s_delay_alu instid0(VALU_DEP_3)
	v_cmp_le_i64_e32 vcc_lo, s[18:19], v[14:15]
	s_or_b32 s31, vcc_lo, s31
	s_wait_loadcnt 0x1
	v_add_f64_e64 v[16:17], v[16:17], -s[6:7]
	s_wait_loadcnt_dscnt 0x0
	v_fma_f64 v[26:27], v[26:27], v[4:5], -v[0:1]
	s_delay_alu instid0(VALU_DEP_2) | instskip(NEXT) | instid1(VALU_DEP_1)
	v_mul_f64_e32 v[16:17], s[24:25], v[16:17]
	v_fma_f64 v[16:17], -v[2:3], v[16:17], v[26:27]
	s_delay_alu instid0(VALU_DEP_1)
	v_mul_f64_e32 v[26:27], v[12:13], v[16:17]
	v_ashrrev_i32_e32 v17, 31, v14
	v_mov_b32_e32 v16, v14
	global_store_b64 v[18:19], v[26:27], off
	s_and_not1_b32 exec_lo, exec_lo, s31
	s_cbranch_execnz .LBB24_46
	s_branch .LBB24_2
.LBB24_47:
	s_endpgm
	.section	.rodata,"a",@progbits
	.p2align	6, 0x0
	.amdhsa_kernel _ZN2at6native12_GLOBAL__N_118cuComputeGradInputIddLb0EEEvPKT_S5_llPKT0_S8_S5_PS3_
		.amdhsa_group_segment_fixed_size 0
		.amdhsa_private_segment_fixed_size 0
		.amdhsa_kernarg_size 320
		.amdhsa_user_sgpr_count 2
		.amdhsa_user_sgpr_dispatch_ptr 0
		.amdhsa_user_sgpr_queue_ptr 0
		.amdhsa_user_sgpr_kernarg_segment_ptr 1
		.amdhsa_user_sgpr_dispatch_id 0
		.amdhsa_user_sgpr_private_segment_size 0
		.amdhsa_wavefront_size32 1
		.amdhsa_uses_dynamic_stack 0
		.amdhsa_enable_private_segment 0
		.amdhsa_system_sgpr_workgroup_id_x 1
		.amdhsa_system_sgpr_workgroup_id_y 1
		.amdhsa_system_sgpr_workgroup_id_z 0
		.amdhsa_system_sgpr_workgroup_info 0
		.amdhsa_system_vgpr_workitem_id 1
		.amdhsa_next_free_vgpr 30
		.amdhsa_next_free_sgpr 44
		.amdhsa_reserve_vcc 1
		.amdhsa_float_round_mode_32 0
		.amdhsa_float_round_mode_16_64 0
		.amdhsa_float_denorm_mode_32 3
		.amdhsa_float_denorm_mode_16_64 3
		.amdhsa_fp16_overflow 0
		.amdhsa_workgroup_processor_mode 1
		.amdhsa_memory_ordered 1
		.amdhsa_forward_progress 1
		.amdhsa_inst_pref_size 17
		.amdhsa_round_robin_scheduling 0
		.amdhsa_exception_fp_ieee_invalid_op 0
		.amdhsa_exception_fp_denorm_src 0
		.amdhsa_exception_fp_ieee_div_zero 0
		.amdhsa_exception_fp_ieee_overflow 0
		.amdhsa_exception_fp_ieee_underflow 0
		.amdhsa_exception_fp_ieee_inexact 0
		.amdhsa_exception_int_div_zero 0
	.end_amdhsa_kernel
	.section	.text._ZN2at6native12_GLOBAL__N_118cuComputeGradInputIddLb0EEEvPKT_S5_llPKT0_S8_S5_PS3_,"axG",@progbits,_ZN2at6native12_GLOBAL__N_118cuComputeGradInputIddLb0EEEvPKT_S5_llPKT0_S8_S5_PS3_,comdat
.Lfunc_end24:
	.size	_ZN2at6native12_GLOBAL__N_118cuComputeGradInputIddLb0EEEvPKT_S5_llPKT0_S8_S5_PS3_, .Lfunc_end24-_ZN2at6native12_GLOBAL__N_118cuComputeGradInputIddLb0EEEvPKT_S5_llPKT0_S8_S5_PS3_
                                        ; -- End function
	.set _ZN2at6native12_GLOBAL__N_118cuComputeGradInputIddLb0EEEvPKT_S5_llPKT0_S8_S5_PS3_.num_vgpr, 30
	.set _ZN2at6native12_GLOBAL__N_118cuComputeGradInputIddLb0EEEvPKT_S5_llPKT0_S8_S5_PS3_.num_agpr, 0
	.set _ZN2at6native12_GLOBAL__N_118cuComputeGradInputIddLb0EEEvPKT_S5_llPKT0_S8_S5_PS3_.numbered_sgpr, 44
	.set _ZN2at6native12_GLOBAL__N_118cuComputeGradInputIddLb0EEEvPKT_S5_llPKT0_S8_S5_PS3_.num_named_barrier, 0
	.set _ZN2at6native12_GLOBAL__N_118cuComputeGradInputIddLb0EEEvPKT_S5_llPKT0_S8_S5_PS3_.private_seg_size, 0
	.set _ZN2at6native12_GLOBAL__N_118cuComputeGradInputIddLb0EEEvPKT_S5_llPKT0_S8_S5_PS3_.uses_vcc, 1
	.set _ZN2at6native12_GLOBAL__N_118cuComputeGradInputIddLb0EEEvPKT_S5_llPKT0_S8_S5_PS3_.uses_flat_scratch, 0
	.set _ZN2at6native12_GLOBAL__N_118cuComputeGradInputIddLb0EEEvPKT_S5_llPKT0_S8_S5_PS3_.has_dyn_sized_stack, 0
	.set _ZN2at6native12_GLOBAL__N_118cuComputeGradInputIddLb0EEEvPKT_S5_llPKT0_S8_S5_PS3_.has_recursion, 0
	.set _ZN2at6native12_GLOBAL__N_118cuComputeGradInputIddLb0EEEvPKT_S5_llPKT0_S8_S5_PS3_.has_indirect_call, 0
	.section	.AMDGPU.csdata,"",@progbits
; Kernel info:
; codeLenInByte = 2056
; TotalNumSgprs: 46
; NumVgprs: 30
; ScratchSize: 0
; MemoryBound: 0
; FloatMode: 240
; IeeeMode: 1
; LDSByteSize: 0 bytes/workgroup (compile time only)
; SGPRBlocks: 0
; VGPRBlocks: 3
; NumSGPRsForWavesPerEU: 46
; NumVGPRsForWavesPerEU: 30
; Occupancy: 16
; WaveLimiterHint : 0
; COMPUTE_PGM_RSRC2:SCRATCH_EN: 0
; COMPUTE_PGM_RSRC2:USER_SGPR: 2
; COMPUTE_PGM_RSRC2:TRAP_HANDLER: 0
; COMPUTE_PGM_RSRC2:TGID_X_EN: 1
; COMPUTE_PGM_RSRC2:TGID_Y_EN: 1
; COMPUTE_PGM_RSRC2:TGID_Z_EN: 0
; COMPUTE_PGM_RSRC2:TIDIG_COMP_CNT: 1
	.section	.text._ZN2at6native12_GLOBAL__N_128layer_norm_grad_input_kernelIddLb0EEEvPKT_S5_PKT0_S8_S5_PS3_i,"axG",@progbits,_ZN2at6native12_GLOBAL__N_128layer_norm_grad_input_kernelIddLb0EEEvPKT_S5_PKT0_S8_S5_PS3_i,comdat
	.globl	_ZN2at6native12_GLOBAL__N_128layer_norm_grad_input_kernelIddLb0EEEvPKT_S5_PKT0_S8_S5_PS3_i ; -- Begin function _ZN2at6native12_GLOBAL__N_128layer_norm_grad_input_kernelIddLb0EEEvPKT_S5_PKT0_S8_S5_PS3_i
	.p2align	8
	.type	_ZN2at6native12_GLOBAL__N_128layer_norm_grad_input_kernelIddLb0EEEvPKT_S5_PKT0_S8_S5_PS3_i,@function
_ZN2at6native12_GLOBAL__N_128layer_norm_grad_input_kernelIddLb0EEEvPKT_S5_PKT0_S8_S5_PS3_i: ; @_ZN2at6native12_GLOBAL__N_128layer_norm_grad_input_kernelIddLb0EEEvPKT_S5_PKT0_S8_S5_PS3_i
; %bb.0:
	s_clause 0x1
	s_load_b256 s[4:11], s[0:1], 0x0
	s_load_b32 s12, s[0:1], 0x30
	s_mov_b32 s2, ttmp9
	s_mov_b32 s3, 0
	s_load_b64 s[14:15], s[0:1], 0x20
	s_lshl_b64 s[16:17], s[2:3], 3
	v_lshlrev_b32_e32 v3, 2, v0
	v_mov_b32_e32 v5, 0
	v_dual_mov_b32 v1, 0 :: v_dual_mov_b32 v6, 0
	v_mov_b32_e32 v2, 0
	s_delay_alu instid0(VALU_DEP_4)
	v_or_b32_e32 v4, 3, v3
	s_wait_kmcnt 0x0
	s_add_nc_u64 s[8:9], s[8:9], s[16:17]
	s_add_nc_u64 s[10:11], s[10:11], s[16:17]
	s_load_b64 s[8:9], s[8:9], 0x0
	s_load_b64 s[10:11], s[10:11], 0x0
	s_ashr_i32 s13, s12, 31
	s_delay_alu instid0(SALU_CYCLE_1) | instskip(SKIP_2) | instid1(SALU_CYCLE_1)
	s_mul_u64 s[16:17], s[12:13], s[2:3]
	s_mov_b32 s2, exec_lo
	s_lshl_b64 s[20:21], s[16:17], 3
	s_add_nc_u64 s[16:17], s[6:7], s[20:21]
	s_add_nc_u64 s[18:19], s[4:5], s[20:21]
	v_cmpx_gt_u32_e64 s12, v4
	s_cbranch_execz .LBB25_12
; %bb.1:
	s_load_b32 s22, s[0:1], 0x44
	v_dual_mov_b32 v5, 0 :: v_dual_mov_b32 v4, 0
	s_cmp_lg_u64 s[14:15], 0
	v_dual_mov_b32 v6, 0 :: v_dual_mov_b32 v1, 0
	v_mov_b32_e32 v2, 0
	s_cselect_b32 s13, -1, 0
	s_wait_kmcnt 0x0
	s_and_b32 s22, s22, 0xffff
	s_delay_alu instid0(SALU_CYCLE_1)
	s_lshl_b32 s22, s22, 2
	s_branch .LBB25_3
.LBB25_2:                               ;   in Loop: Header=BB25_3 Depth=1
	global_load_b64 v[17:18], v[17:18], off offset:24
	global_load_b64 v[11:12], v[11:12], off offset:24
	s_wait_loadcnt 0x6
	v_mul_f64_e32 v[19:20], v[9:10], v[13:14]
	v_add_f64_e64 v[15:16], v[15:16], -s[8:9]
	s_wait_loadcnt 0x4
	v_mul_f64_e32 v[33:34], v[7:8], v[23:24]
	v_add_f64_e64 v[27:28], v[27:28], -s[8:9]
	v_fma_f64 v[5:6], v[9:10], v[13:14], v[5:6]
	s_wait_loadcnt 0x2
	v_mul_f64_e32 v[9:10], v[25:26], v[29:30]
	v_add_f64_e64 v[13:14], v[31:32], -s[8:9]
	v_add_nc_u32_e32 v3, s22, v3
	v_mul_f64_e32 v[15:16], v[15:16], v[19:20]
	v_mul_f64_e32 v[19:20], v[27:28], v[33:34]
	v_fma_f64 v[5:6], v[7:8], v[23:24], v[5:6]
	v_mul_f64_e32 v[7:8], v[13:14], v[9:10]
	s_delay_alu instid0(VALU_DEP_4) | instskip(NEXT) | instid1(VALU_DEP_3)
	v_fma_f64 v[1:2], s[10:11], v[15:16], v[1:2]
	v_fma_f64 v[5:6], v[25:26], v[29:30], v[5:6]
	s_delay_alu instid0(VALU_DEP_2) | instskip(NEXT) | instid1(VALU_DEP_1)
	v_fma_f64 v[1:2], s[10:11], v[19:20], v[1:2]
	v_fma_f64 v[1:2], s[10:11], v[7:8], v[1:2]
	s_wait_loadcnt 0x1
	v_mul_f64_e32 v[9:10], v[21:22], v[17:18]
	s_wait_loadcnt 0x0
	v_add_f64_e64 v[11:12], v[11:12], -s[8:9]
	v_fma_f64 v[5:6], v[21:22], v[17:18], v[5:6]
	s_delay_alu instid0(VALU_DEP_2) | instskip(NEXT) | instid1(VALU_DEP_1)
	v_mul_f64_e32 v[7:8], v[11:12], v[9:10]
	v_fma_f64 v[1:2], s[10:11], v[7:8], v[1:2]
	v_add_nc_u32_e32 v7, 3, v3
	s_delay_alu instid0(VALU_DEP_1) | instskip(SKIP_1) | instid1(SALU_CYCLE_1)
	v_cmp_le_u32_e32 vcc_lo, s12, v7
	s_or_b32 s3, vcc_lo, s3
	s_and_not1_b32 exec_lo, exec_lo, s3
	s_cbranch_execz .LBB25_11
.LBB25_3:                               ; =>This Inner Loop Header: Depth=1
	v_mov_b32_e32 v7, 0
	v_dual_mov_b32 v8, 0x3ff00000 :: v_dual_mov_b32 v9, 0
	v_lshlrev_b64_e32 v[19:20], 3, v[3:4]
	v_mov_b32_e32 v10, 0x3ff00000
	s_wait_alu 0xfffe
	s_and_b32 vcc_lo, exec_lo, s13
	s_wait_alu 0xfffe
	s_cbranch_vccz .LBB25_5
; %bb.4:                                ;   in Loop: Header=BB25_3 Depth=1
	v_add_co_u32 v9, vcc_lo, s14, v19
	s_wait_alu 0xfffd
	v_add_co_ci_u32_e64 v10, null, s15, v20, vcc_lo
	global_load_b64 v[9:10], v[9:10], off
.LBB25_5:                               ;   in Loop: Header=BB25_3 Depth=1
	v_add_co_u32 v11, vcc_lo, s16, v19
	s_wait_alu 0xfffd
	v_add_co_ci_u32_e64 v12, null, s17, v20, vcc_lo
	v_add_co_u32 v17, vcc_lo, s18, v19
	s_wait_alu 0xfffd
	v_add_co_ci_u32_e64 v18, null, s19, v20, vcc_lo
	global_load_b64 v[15:16], v[11:12], off
	global_load_b64 v[13:14], v[17:18], off
	s_and_not1_b32 vcc_lo, exec_lo, s13
	s_wait_alu 0xfffe
	s_cbranch_vccnz .LBB25_7
; %bb.6:                                ;   in Loop: Header=BB25_3 Depth=1
	v_add_co_u32 v7, vcc_lo, s14, v19
	s_wait_alu 0xfffd
	v_add_co_ci_u32_e64 v8, null, s15, v20, vcc_lo
	global_load_b64 v[7:8], v[7:8], off offset:8
.LBB25_7:                               ;   in Loop: Header=BB25_3 Depth=1
	global_load_b64 v[27:28], v[11:12], off offset:8
	global_load_b64 v[23:24], v[17:18], off offset:8
	v_mov_b32_e32 v21, 0
	v_dual_mov_b32 v22, 0x3ff00000 :: v_dual_mov_b32 v25, 0
	v_mov_b32_e32 v26, 0x3ff00000
	s_and_not1_b32 vcc_lo, exec_lo, s13
	s_wait_alu 0xfffe
	s_cbranch_vccnz .LBB25_9
; %bb.8:                                ;   in Loop: Header=BB25_3 Depth=1
	v_add_co_u32 v25, vcc_lo, s14, v19
	s_wait_alu 0xfffd
	v_add_co_ci_u32_e64 v26, null, s15, v20, vcc_lo
	global_load_b64 v[25:26], v[25:26], off offset:16
.LBB25_9:                               ;   in Loop: Header=BB25_3 Depth=1
	global_load_b64 v[31:32], v[11:12], off offset:16
	global_load_b64 v[29:30], v[17:18], off offset:16
	s_and_not1_b32 vcc_lo, exec_lo, s13
	s_wait_alu 0xfffe
	s_cbranch_vccnz .LBB25_2
; %bb.10:                               ;   in Loop: Header=BB25_3 Depth=1
	v_add_co_u32 v19, vcc_lo, s14, v19
	s_wait_alu 0xfffd
	v_add_co_ci_u32_e64 v20, null, s15, v20, vcc_lo
	global_load_b64 v[21:22], v[19:20], off offset:24
	s_branch .LBB25_2
.LBB25_11:
	s_or_b32 exec_lo, exec_lo, s3
.LBB25_12:
	s_delay_alu instid0(SALU_CYCLE_1) | instskip(NEXT) | instid1(SALU_CYCLE_1)
	s_or_b32 exec_lo, exec_lo, s2
	s_mov_b32 s3, exec_lo
	v_cmpx_gt_u32_e64 s12, v3
	s_cbranch_execz .LBB25_19
; %bb.13:
	v_mov_b32_e32 v4, 0
	s_cmp_lg_u64 s[14:15], 0
	s_delay_alu instid0(VALU_DEP_1) | instskip(NEXT) | instid1(VALU_DEP_1)
	v_lshlrev_b64_e32 v[7:8], 3, v[3:4]
	v_add_co_u32 v4, vcc_lo, s20, v7
	s_wait_alu 0xfffd
	s_delay_alu instid0(VALU_DEP_2)
	v_add_co_ci_u32_e64 v12, null, s21, v8, vcc_lo
	v_add_co_u32 v7, vcc_lo, s14, v7
	s_wait_alu 0xfffd
	v_add_co_ci_u32_e64 v8, null, s15, v8, vcc_lo
	v_add_co_u32 v9, vcc_lo, s6, v4
	s_wait_alu 0xfffd
	;; [unrolled: 3-line block ×3, first 2 shown]
	v_add_co_ci_u32_e64 v12, null, s5, v12, vcc_lo
	s_cselect_b32 s4, -1, 0
	s_mov_b32 s5, 0
	s_branch .LBB25_16
.LBB25_14:                              ;   in Loop: Header=BB25_16 Depth=1
	global_load_b64 v[13:14], v[7:8], off
.LBB25_15:                              ;   in Loop: Header=BB25_16 Depth=1
	global_load_b64 v[15:16], v[11:12], off
	global_load_b64 v[17:18], v[9:10], off
	v_add_nc_u32_e32 v3, 1, v3
	v_add_co_u32 v7, vcc_lo, v7, 8
	s_wait_alu 0xfffd
	v_add_co_ci_u32_e64 v8, null, 0, v8, vcc_lo
	v_add_co_u32 v9, vcc_lo, v9, 8
	s_wait_alu 0xfffd
	v_add_co_ci_u32_e64 v10, null, 0, v10, vcc_lo
	v_cmp_le_u32_e32 vcc_lo, s12, v3
	v_add_co_u32 v11, s2, v11, 8
	s_wait_alu 0xf1ff
	v_add_co_ci_u32_e64 v12, null, 0, v12, s2
	s_or_b32 s5, vcc_lo, s5
	s_wait_loadcnt 0x1
	v_mul_f64_e32 v[19:20], v[13:14], v[15:16]
	s_wait_loadcnt 0x0
	s_wait_kmcnt 0x0
	v_add_f64_e64 v[17:18], v[17:18], -s[8:9]
	v_fma_f64 v[5:6], v[13:14], v[15:16], v[5:6]
	s_delay_alu instid0(VALU_DEP_2) | instskip(NEXT) | instid1(VALU_DEP_1)
	v_mul_f64_e32 v[17:18], v[17:18], v[19:20]
	v_fma_f64 v[1:2], s[10:11], v[17:18], v[1:2]
	s_wait_alu 0xfffe
	s_and_not1_b32 exec_lo, exec_lo, s5
	s_cbranch_execz .LBB25_18
.LBB25_16:                              ; =>This Inner Loop Header: Depth=1
	s_wait_alu 0xfffe
	s_and_not1_b32 vcc_lo, exec_lo, s4
	s_wait_alu 0xfffe
	s_cbranch_vccz .LBB25_14
; %bb.17:                               ;   in Loop: Header=BB25_16 Depth=1
	v_mov_b32_e32 v13, 0
	v_mov_b32_e32 v14, 0x3ff00000
	s_branch .LBB25_15
.LBB25_18:
	s_or_b32 exec_lo, exec_lo, s5
.LBB25_19:
	s_delay_alu instid0(SALU_CYCLE_1) | instskip(SKIP_4) | instid1(VALU_DEP_3)
	s_or_b32 exec_lo, exec_lo, s3
	v_mbcnt_lo_u32_b32 v11, -1, 0
	v_and_b32_e32 v13, 31, v0
	v_lshrrev_b32_e32 v12, 2, v0
	s_barrier_signal -1
	v_lshl_or_b32 v7, v11, 2, 64
	v_cmp_gt_u32_e32 vcc_lo, 24, v11
	s_barrier_wait -1
	global_inv scope:SCOPE_SE
	ds_bpermute_b32 v3, v7, v5
	ds_bpermute_b32 v4, v7, v6
	s_wait_dscnt 0x0
	v_add_f64_e32 v[3:4], v[5:6], v[3:4]
	s_wait_alu 0xfffd
	v_cndmask_b32_e64 v5, 0, 8, vcc_lo
	v_cmp_gt_u32_e32 vcc_lo, 28, v11
	s_delay_alu instid0(VALU_DEP_2)
	v_add_lshl_u32 v8, v5, v11, 2
	ds_bpermute_b32 v5, v8, v3
	ds_bpermute_b32 v6, v8, v4
	s_wait_dscnt 0x0
	v_add_f64_e32 v[3:4], v[3:4], v[5:6]
	s_wait_alu 0xfffd
	v_cndmask_b32_e64 v5, 0, 4, vcc_lo
	v_cmp_gt_u32_e32 vcc_lo, 30, v11
	s_delay_alu instid0(VALU_DEP_2)
	v_add_lshl_u32 v9, v5, v11, 2
	ds_bpermute_b32 v5, v9, v3
	ds_bpermute_b32 v6, v9, v4
	s_wait_dscnt 0x0
	v_add_f64_e32 v[3:4], v[3:4], v[5:6]
	s_wait_alu 0xfffd
	v_cndmask_b32_e64 v5, 0, 2, vcc_lo
	v_cmp_ne_u32_e32 vcc_lo, 31, v11
	s_delay_alu instid0(VALU_DEP_2)
	v_add_lshl_u32 v10, v5, v11, 2
	ds_bpermute_b32 v5, v10, v3
	ds_bpermute_b32 v6, v10, v4
	s_wait_dscnt 0x0
	v_add_f64_e32 v[3:4], v[3:4], v[5:6]
	s_wait_alu 0xfffd
	v_add_co_ci_u32_e64 v5, null, 0, v11, vcc_lo
	v_cmp_eq_u32_e32 vcc_lo, 0, v13
	s_delay_alu instid0(VALU_DEP_2)
	v_lshlrev_b32_e32 v11, 2, v5
	ds_bpermute_b32 v5, v11, v3
	ds_bpermute_b32 v6, v11, v4
	s_and_saveexec_b32 s2, vcc_lo
	s_cbranch_execz .LBB25_21
; %bb.20:
	s_wait_dscnt 0x0
	v_add_f64_e32 v[3:4], v[3:4], v[5:6]
	v_add_nc_u32_e32 v5, 0, v12
	ds_store_b64 v5, v[3:4]
.LBB25_21:
	s_wait_alu 0xfffe
	s_or_b32 exec_lo, exec_lo, s2
	s_wait_loadcnt_dscnt 0x0
	s_barrier_signal -1
	s_barrier_wait -1
	global_inv scope:SCOPE_SE
	s_load_b32 s4, s[0:1], 0x44
	v_mov_b32_e32 v3, 0
	v_mov_b32_e32 v4, 0
	v_lshl_add_u32 v13, v13, 3, 0
	s_wait_kmcnt 0x0
	s_bfe_u32 s2, s4, 0xb0005
	s_wait_alu 0xfffe
	v_cmp_gt_u32_e64 s2, s2, v0
	s_and_saveexec_b32 s3, s2
; %bb.22:
	ds_load_b64 v[3:4], v13
; %bb.23:
	s_wait_alu 0xfffe
	s_or_b32 exec_lo, exec_lo, s3
	v_cmp_gt_u32_e64 s3, 32, v0
	s_and_saveexec_b32 s5, s3
	s_cbranch_execz .LBB25_25
; %bb.24:
	s_wait_dscnt 0x0
	ds_bpermute_b32 v5, v7, v3
	ds_bpermute_b32 v6, v7, v4
	s_wait_dscnt 0x0
	v_add_f64_e32 v[3:4], v[3:4], v[5:6]
	ds_bpermute_b32 v5, v8, v3
	ds_bpermute_b32 v6, v8, v4
	s_wait_dscnt 0x0
	v_add_f64_e32 v[3:4], v[3:4], v[5:6]
	ds_bpermute_b32 v5, v9, v3
	ds_bpermute_b32 v6, v9, v4
	s_wait_dscnt 0x0
	v_add_f64_e32 v[3:4], v[3:4], v[5:6]
	ds_bpermute_b32 v5, v10, v3
	ds_bpermute_b32 v6, v10, v4
	s_wait_dscnt 0x0
	v_add_f64_e32 v[3:4], v[3:4], v[5:6]
	ds_bpermute_b32 v5, v11, v3
	ds_bpermute_b32 v6, v11, v4
	s_wait_dscnt 0x0
	v_add_f64_e32 v[3:4], v[3:4], v[5:6]
.LBB25_25:
	s_wait_alu 0xfffe
	s_or_b32 exec_lo, exec_lo, s5
	ds_bpermute_b32 v5, v7, v1
	ds_bpermute_b32 v6, v7, v2
	s_wait_loadcnt_dscnt 0x0
	s_barrier_signal -1
	s_barrier_wait -1
	global_inv scope:SCOPE_SE
	v_add_f64_e32 v[1:2], v[1:2], v[5:6]
	ds_bpermute_b32 v5, v8, v1
	ds_bpermute_b32 v6, v8, v2
	s_wait_dscnt 0x0
	v_add_f64_e32 v[1:2], v[1:2], v[5:6]
	ds_bpermute_b32 v5, v9, v1
	ds_bpermute_b32 v6, v9, v2
	s_wait_dscnt 0x0
	;; [unrolled: 4-line block ×3, first 2 shown]
	v_add_f64_e32 v[1:2], v[1:2], v[5:6]
	ds_bpermute_b32 v5, v11, v1
	ds_bpermute_b32 v6, v11, v2
	s_and_saveexec_b32 s5, vcc_lo
	s_cbranch_execz .LBB25_27
; %bb.26:
	s_wait_dscnt 0x0
	v_add_f64_e32 v[1:2], v[1:2], v[5:6]
	v_add_nc_u32_e32 v5, 0, v12
	ds_store_b64 v5, v[1:2]
.LBB25_27:
	s_wait_alu 0xfffe
	s_or_b32 exec_lo, exec_lo, s5
	v_mov_b32_e32 v1, 0
	v_mov_b32_e32 v2, 0
	s_wait_loadcnt_dscnt 0x0
	s_barrier_signal -1
	s_barrier_wait -1
	global_inv scope:SCOPE_SE
	s_and_saveexec_b32 s5, s2
; %bb.28:
	ds_load_b64 v[1:2], v13
; %bb.29:
	s_wait_alu 0xfffe
	s_or_b32 exec_lo, exec_lo, s5
	s_and_saveexec_b32 s2, s3
	s_cbranch_execz .LBB25_31
; %bb.30:
	s_wait_dscnt 0x0
	ds_bpermute_b32 v5, v7, v1
	ds_bpermute_b32 v6, v7, v2
	s_wait_dscnt 0x0
	v_add_f64_e32 v[1:2], v[1:2], v[5:6]
	ds_bpermute_b32 v5, v8, v1
	ds_bpermute_b32 v6, v8, v2
	s_wait_dscnt 0x0
	v_add_f64_e32 v[1:2], v[1:2], v[5:6]
	;; [unrolled: 4-line block ×5, first 2 shown]
.LBB25_31:
	s_wait_alu 0xfffe
	s_or_b32 exec_lo, exec_lo, s2
	s_delay_alu instid0(SALU_CYCLE_1)
	s_mov_b32 s2, exec_lo
	v_cmpx_eq_u32_e32 0, v0
	s_cbranch_execz .LBB25_33
; %bb.32:
	v_mov_b32_e32 v5, 0
	s_wait_dscnt 0x0
	ds_store_2addr_b64 v5, v[3:4], v[1:2] offset1:1
.LBB25_33:
	s_wait_alu 0xfffe
	s_or_b32 exec_lo, exec_lo, s2
	s_wait_loadcnt_dscnt 0x0
	s_barrier_signal -1
	s_barrier_wait -1
	global_inv scope:SCOPE_SE
	s_mov_b32 s2, exec_lo
	v_cmpx_gt_i32_e64 s12, v0
	s_cbranch_execz .LBB25_39
; %bb.34:
	v_cvt_f64_i32_e32 v[6:7], s12
	s_load_b64 s[2:3], s[0:1], 0x28
	s_and_b32 s1, 0xffff, s4
	s_cmp_lg_u64 s[14:15], 0
	s_mov_b32 s5, 0
	s_cselect_b32 s4, -1, 0
	s_wait_kmcnt 0x0
	s_add_nc_u64 s[2:3], s[2:3], s[20:21]
	s_delay_alu instid0(VALU_DEP_1) | instskip(NEXT) | instid1(VALU_DEP_1)
	v_div_scale_f64 v[1:2], null, v[6:7], v[6:7], 1.0
	v_rcp_f64_e32 v[3:4], v[1:2]
	s_delay_alu instid0(TRANS32_DEP_1) | instskip(NEXT) | instid1(VALU_DEP_1)
	v_fma_f64 v[8:9], -v[1:2], v[3:4], 1.0
	v_fma_f64 v[3:4], v[3:4], v[8:9], v[3:4]
	s_delay_alu instid0(VALU_DEP_1) | instskip(NEXT) | instid1(VALU_DEP_1)
	v_fma_f64 v[8:9], -v[1:2], v[3:4], 1.0
	v_fma_f64 v[3:4], v[3:4], v[8:9], v[3:4]
	v_div_scale_f64 v[8:9], vcc_lo, 1.0, v[6:7], 1.0
	s_delay_alu instid0(VALU_DEP_1) | instskip(NEXT) | instid1(VALU_DEP_1)
	v_mul_f64_e32 v[10:11], v[8:9], v[3:4]
	v_fma_f64 v[1:2], -v[1:2], v[10:11], v[8:9]
	s_wait_alu 0xfffd
	s_delay_alu instid0(VALU_DEP_1) | instskip(NEXT) | instid1(VALU_DEP_1)
	v_div_fmas_f64 v[1:2], v[1:2], v[3:4], v[10:11]
	v_div_fixup_f64 v[1:2], v[1:2], v[6:7], 1.0
	s_delay_alu instid0(VALU_DEP_1)
	v_mul_f64_e32 v[8:9], s[10:11], v[1:2]
	v_mov_b32_e32 v1, 0
	ds_load_2addr_b64 v[2:5], v1 offset1:1
	s_branch .LBB25_37
.LBB25_35:                              ;   in Loop: Header=BB25_37 Depth=1
	v_add_co_u32 v16, vcc_lo, s14, v10
	s_wait_alu 0xfffd
	v_add_co_ci_u32_e64 v17, null, s15, v11, vcc_lo
	global_load_b64 v[16:17], v[16:17], off
.LBB25_36:                              ;   in Loop: Header=BB25_37 Depth=1
	s_wait_loadcnt 0x1
	v_add_f64_e64 v[14:15], v[14:15], -s[8:9]
	s_wait_loadcnt 0x0
	v_mul_f64_e32 v[16:17], v[16:17], v[6:7]
	v_add_nc_u32_e32 v0, s1, v0
	v_add_co_u32 v10, s0, s2, v10
	s_wait_alu 0xf1ff
	v_add_co_ci_u32_e64 v11, null, s3, v11, s0
	s_delay_alu instid0(VALU_DEP_3) | instskip(SKIP_3) | instid1(VALU_DEP_1)
	v_cmp_le_i32_e32 vcc_lo, s12, v0
	s_or_b32 s5, vcc_lo, s5
	v_mul_f64_e32 v[14:15], s[10:11], v[14:15]
	s_wait_dscnt 0x0
	v_mul_f64_e32 v[14:15], v[4:5], v[14:15]
	s_delay_alu instid0(VALU_DEP_1) | instskip(NEXT) | instid1(VALU_DEP_1)
	v_fma_f64 v[12:13], v[12:13], v[16:17], -v[14:15]
	v_add_f64_e64 v[12:13], v[12:13], -v[2:3]
	s_delay_alu instid0(VALU_DEP_1)
	v_mul_f64_e32 v[12:13], v[8:9], v[12:13]
	global_store_b64 v[10:11], v[12:13], off
	s_wait_alu 0xfffe
	s_and_not1_b32 exec_lo, exec_lo, s5
	s_cbranch_execz .LBB25_39
.LBB25_37:                              ; =>This Inner Loop Header: Depth=1
	v_ashrrev_i32_e32 v1, 31, v0
	s_delay_alu instid0(VALU_DEP_1) | instskip(NEXT) | instid1(VALU_DEP_1)
	v_lshlrev_b64_e32 v[10:11], 3, v[0:1]
	v_add_co_u32 v12, vcc_lo, s16, v10
	s_wait_alu 0xfffd
	s_delay_alu instid0(VALU_DEP_2)
	v_add_co_ci_u32_e64 v13, null, s17, v11, vcc_lo
	v_add_co_u32 v16, vcc_lo, s18, v10
	s_wait_alu 0xfffd
	v_add_co_ci_u32_e64 v17, null, s19, v11, vcc_lo
	global_load_b64 v[14:15], v[12:13], off
	global_load_b64 v[12:13], v[16:17], off
	s_wait_alu 0xfffe
	s_and_not1_b32 vcc_lo, exec_lo, s4
	s_wait_alu 0xfffe
	s_cbranch_vccz .LBB25_35
; %bb.38:                               ;   in Loop: Header=BB25_37 Depth=1
	v_mov_b32_e32 v16, 0
	v_mov_b32_e32 v17, 0x3ff00000
	s_branch .LBB25_36
.LBB25_39:
	s_endpgm
	.section	.rodata,"a",@progbits
	.p2align	6, 0x0
	.amdhsa_kernel _ZN2at6native12_GLOBAL__N_128layer_norm_grad_input_kernelIddLb0EEEvPKT_S5_PKT0_S8_S5_PS3_i
		.amdhsa_group_segment_fixed_size 0
		.amdhsa_private_segment_fixed_size 0
		.amdhsa_kernarg_size 312
		.amdhsa_user_sgpr_count 2
		.amdhsa_user_sgpr_dispatch_ptr 0
		.amdhsa_user_sgpr_queue_ptr 0
		.amdhsa_user_sgpr_kernarg_segment_ptr 1
		.amdhsa_user_sgpr_dispatch_id 0
		.amdhsa_user_sgpr_private_segment_size 0
		.amdhsa_wavefront_size32 1
		.amdhsa_uses_dynamic_stack 0
		.amdhsa_enable_private_segment 0
		.amdhsa_system_sgpr_workgroup_id_x 1
		.amdhsa_system_sgpr_workgroup_id_y 0
		.amdhsa_system_sgpr_workgroup_id_z 0
		.amdhsa_system_sgpr_workgroup_info 0
		.amdhsa_system_vgpr_workitem_id 0
		.amdhsa_next_free_vgpr 35
		.amdhsa_next_free_sgpr 23
		.amdhsa_reserve_vcc 1
		.amdhsa_float_round_mode_32 0
		.amdhsa_float_round_mode_16_64 0
		.amdhsa_float_denorm_mode_32 3
		.amdhsa_float_denorm_mode_16_64 3
		.amdhsa_fp16_overflow 0
		.amdhsa_workgroup_processor_mode 1
		.amdhsa_memory_ordered 1
		.amdhsa_forward_progress 1
		.amdhsa_inst_pref_size 20
		.amdhsa_round_robin_scheduling 0
		.amdhsa_exception_fp_ieee_invalid_op 0
		.amdhsa_exception_fp_denorm_src 0
		.amdhsa_exception_fp_ieee_div_zero 0
		.amdhsa_exception_fp_ieee_overflow 0
		.amdhsa_exception_fp_ieee_underflow 0
		.amdhsa_exception_fp_ieee_inexact 0
		.amdhsa_exception_int_div_zero 0
	.end_amdhsa_kernel
	.section	.text._ZN2at6native12_GLOBAL__N_128layer_norm_grad_input_kernelIddLb0EEEvPKT_S5_PKT0_S8_S5_PS3_i,"axG",@progbits,_ZN2at6native12_GLOBAL__N_128layer_norm_grad_input_kernelIddLb0EEEvPKT_S5_PKT0_S8_S5_PS3_i,comdat
.Lfunc_end25:
	.size	_ZN2at6native12_GLOBAL__N_128layer_norm_grad_input_kernelIddLb0EEEvPKT_S5_PKT0_S8_S5_PS3_i, .Lfunc_end25-_ZN2at6native12_GLOBAL__N_128layer_norm_grad_input_kernelIddLb0EEEvPKT_S5_PKT0_S8_S5_PS3_i
                                        ; -- End function
	.set _ZN2at6native12_GLOBAL__N_128layer_norm_grad_input_kernelIddLb0EEEvPKT_S5_PKT0_S8_S5_PS3_i.num_vgpr, 35
	.set _ZN2at6native12_GLOBAL__N_128layer_norm_grad_input_kernelIddLb0EEEvPKT_S5_PKT0_S8_S5_PS3_i.num_agpr, 0
	.set _ZN2at6native12_GLOBAL__N_128layer_norm_grad_input_kernelIddLb0EEEvPKT_S5_PKT0_S8_S5_PS3_i.numbered_sgpr, 23
	.set _ZN2at6native12_GLOBAL__N_128layer_norm_grad_input_kernelIddLb0EEEvPKT_S5_PKT0_S8_S5_PS3_i.num_named_barrier, 0
	.set _ZN2at6native12_GLOBAL__N_128layer_norm_grad_input_kernelIddLb0EEEvPKT_S5_PKT0_S8_S5_PS3_i.private_seg_size, 0
	.set _ZN2at6native12_GLOBAL__N_128layer_norm_grad_input_kernelIddLb0EEEvPKT_S5_PKT0_S8_S5_PS3_i.uses_vcc, 1
	.set _ZN2at6native12_GLOBAL__N_128layer_norm_grad_input_kernelIddLb0EEEvPKT_S5_PKT0_S8_S5_PS3_i.uses_flat_scratch, 0
	.set _ZN2at6native12_GLOBAL__N_128layer_norm_grad_input_kernelIddLb0EEEvPKT_S5_PKT0_S8_S5_PS3_i.has_dyn_sized_stack, 0
	.set _ZN2at6native12_GLOBAL__N_128layer_norm_grad_input_kernelIddLb0EEEvPKT_S5_PKT0_S8_S5_PS3_i.has_recursion, 0
	.set _ZN2at6native12_GLOBAL__N_128layer_norm_grad_input_kernelIddLb0EEEvPKT_S5_PKT0_S8_S5_PS3_i.has_indirect_call, 0
	.section	.AMDGPU.csdata,"",@progbits
; Kernel info:
; codeLenInByte = 2528
; TotalNumSgprs: 25
; NumVgprs: 35
; ScratchSize: 0
; MemoryBound: 0
; FloatMode: 240
; IeeeMode: 1
; LDSByteSize: 0 bytes/workgroup (compile time only)
; SGPRBlocks: 0
; VGPRBlocks: 4
; NumSGPRsForWavesPerEU: 25
; NumVGPRsForWavesPerEU: 35
; Occupancy: 16
; WaveLimiterHint : 0
; COMPUTE_PGM_RSRC2:SCRATCH_EN: 0
; COMPUTE_PGM_RSRC2:USER_SGPR: 2
; COMPUTE_PGM_RSRC2:TRAP_HANDLER: 0
; COMPUTE_PGM_RSRC2:TGID_X_EN: 1
; COMPUTE_PGM_RSRC2:TGID_Y_EN: 0
; COMPUTE_PGM_RSRC2:TGID_Z_EN: 0
; COMPUTE_PGM_RSRC2:TIDIG_COMP_CNT: 0
	.section	.text._ZN2at6native12_GLOBAL__N_133GammaBetaBackwardSimpleCUDAKernelIddLb0EEEvllPKT_S5_PKT0_S8_PS3_S9_,"axG",@progbits,_ZN2at6native12_GLOBAL__N_133GammaBetaBackwardSimpleCUDAKernelIddLb0EEEvllPKT_S5_PKT0_S8_PS3_S9_,comdat
	.globl	_ZN2at6native12_GLOBAL__N_133GammaBetaBackwardSimpleCUDAKernelIddLb0EEEvllPKT_S5_PKT0_S8_PS3_S9_ ; -- Begin function _ZN2at6native12_GLOBAL__N_133GammaBetaBackwardSimpleCUDAKernelIddLb0EEEvllPKT_S5_PKT0_S8_PS3_S9_
	.p2align	8
	.type	_ZN2at6native12_GLOBAL__N_133GammaBetaBackwardSimpleCUDAKernelIddLb0EEEvllPKT_S5_PKT0_S8_PS3_S9_,@function
_ZN2at6native12_GLOBAL__N_133GammaBetaBackwardSimpleCUDAKernelIddLb0EEEvllPKT_S5_PKT0_S8_PS3_S9_: ; @_ZN2at6native12_GLOBAL__N_133GammaBetaBackwardSimpleCUDAKernelIddLb0EEEvllPKT_S5_PKT0_S8_PS3_S9_
; %bb.0:
	s_clause 0x1
	s_load_b32 s16, s[0:1], 0x4c
	s_load_b512 s[0:15], s[0:1], 0x0
	v_mov_b32_e32 v1, 0
	s_wait_kmcnt 0x0
	s_and_b32 s16, s16, 0xffff
	s_delay_alu instid0(VALU_DEP_1) | instid1(SALU_CYCLE_1)
	v_mad_co_u64_u32 v[0:1], null, s16, ttmp9, v[0:1]
	s_mov_b32 s16, exec_lo
	v_cmpx_gt_i64_e64 s[2:3], v[0:1]
	s_cbranch_execz .LBB26_14
; %bb.1:
	v_cmp_lt_i64_e64 s16, s[0:1], 1
	v_lshlrev_b64_e32 v[0:1], 3, v[0:1]
	s_wait_alu 0xfffe
	s_and_b32 vcc_lo, exec_lo, s16
	s_cbranch_vccnz .LBB26_9
; %bb.2:
	v_mov_b32_e32 v2, 0
	s_cmp_lg_u64 s[12:13], 0
	v_dual_mov_b32 v3, 0 :: v_dual_mov_b32 v4, 0
	v_mov_b32_e32 v5, 0
	v_dual_mov_b32 v7, v1 :: v_dual_mov_b32 v6, v0
	s_cselect_b32 s16, -1, 0
	s_cmp_lg_u64 s[14:15], 0
	s_cselect_b32 s17, -1, 0
	s_lshl_b64 s[2:3], s[2:3], 3
	s_branch .LBB26_5
.LBB26_3:                               ;   in Loop: Header=BB26_5 Depth=1
	v_add_co_u32 v10, vcc_lo, s4, v6
	s_wait_alu 0xfffd
	v_add_co_ci_u32_e64 v11, null, s5, v7, vcc_lo
	global_load_b64 v[10:11], v[10:11], off
.LBB26_4:                               ;   in Loop: Header=BB26_5 Depth=1
	s_delay_alu instid0(VALU_DEP_3) | instskip(SKIP_1) | instid1(VALU_DEP_2)
	v_add_f64_e32 v[2:3], v[2:3], v[8:9]
	s_wait_loadcnt 0x0
	v_add_f64_e32 v[4:5], v[4:5], v[10:11]
	v_add_co_u32 v6, vcc_lo, v6, s2
	s_wait_alu 0xfffd
	v_add_co_ci_u32_e64 v7, null, s3, v7, vcc_lo
	s_add_nc_u64 s[0:1], s[0:1], -1
	s_add_nc_u64 s[10:11], s[10:11], 8
	s_wait_alu 0xfffe
	s_cmp_eq_u64 s[0:1], 0
	s_add_nc_u64 s[8:9], s[8:9], 8
	s_cbranch_scc1 .LBB26_10
.LBB26_5:                               ; =>This Inner Loop Header: Depth=1
	v_mov_b32_e32 v8, 0
	v_mov_b32_e32 v9, 0
	s_wait_alu 0xfffe
	s_and_not1_b32 vcc_lo, exec_lo, s16
	s_wait_alu 0xfffe
	s_cbranch_vccnz .LBB26_7
; %bb.6:                                ;   in Loop: Header=BB26_5 Depth=1
	v_add_co_u32 v8, vcc_lo, s6, v6
	s_wait_alu 0xfffd
	v_add_co_ci_u32_e64 v9, null, s7, v7, vcc_lo
	v_add_co_u32 v10, vcc_lo, s4, v6
	s_wait_alu 0xfffd
	v_add_co_ci_u32_e64 v11, null, s5, v7, vcc_lo
	global_load_b64 v[8:9], v[8:9], off
	s_load_b64 s[18:19], s[8:9], 0x0
	global_load_b64 v[10:11], v[10:11], off
	s_wait_loadcnt 0x1
	s_wait_kmcnt 0x0
	v_add_f64_e64 v[8:9], v[8:9], -s[18:19]
	s_load_b64 s[18:19], s[10:11], 0x0
	s_wait_loadcnt 0x0
	s_delay_alu instid0(VALU_DEP_1) | instskip(SKIP_1) | instid1(VALU_DEP_1)
	v_mul_f64_e32 v[8:9], v[10:11], v[8:9]
	s_wait_kmcnt 0x0
	v_mul_f64_e32 v[8:9], s[18:19], v[8:9]
.LBB26_7:                               ;   in Loop: Header=BB26_5 Depth=1
	s_and_not1_b32 vcc_lo, exec_lo, s17
	s_wait_alu 0xfffe
	s_cbranch_vccz .LBB26_3
; %bb.8:                                ;   in Loop: Header=BB26_5 Depth=1
	v_mov_b32_e32 v10, 0
	v_mov_b32_e32 v11, 0
	s_branch .LBB26_4
.LBB26_9:
	v_mov_b32_e32 v2, 0
	v_dual_mov_b32 v3, 0 :: v_dual_mov_b32 v4, 0
	v_mov_b32_e32 v5, 0
.LBB26_10:
	s_cmp_lg_u64 s[12:13], 0
	s_cbranch_scc0 .LBB26_12
; %bb.11:
	v_add_co_u32 v6, vcc_lo, s12, v0
	s_wait_alu 0xfffd
	v_add_co_ci_u32_e64 v7, null, s13, v1, vcc_lo
	global_store_b64 v[6:7], v[2:3], off
.LBB26_12:
	s_cmp_eq_u64 s[14:15], 0
	s_cbranch_scc1 .LBB26_14
; %bb.13:
	v_add_co_u32 v0, vcc_lo, s14, v0
	s_wait_alu 0xfffd
	v_add_co_ci_u32_e64 v1, null, s15, v1, vcc_lo
	global_store_b64 v[0:1], v[4:5], off
.LBB26_14:
	s_endpgm
	.section	.rodata,"a",@progbits
	.p2align	6, 0x0
	.amdhsa_kernel _ZN2at6native12_GLOBAL__N_133GammaBetaBackwardSimpleCUDAKernelIddLb0EEEvllPKT_S5_PKT0_S8_PS3_S9_
		.amdhsa_group_segment_fixed_size 0
		.amdhsa_private_segment_fixed_size 0
		.amdhsa_kernarg_size 320
		.amdhsa_user_sgpr_count 2
		.amdhsa_user_sgpr_dispatch_ptr 0
		.amdhsa_user_sgpr_queue_ptr 0
		.amdhsa_user_sgpr_kernarg_segment_ptr 1
		.amdhsa_user_sgpr_dispatch_id 0
		.amdhsa_user_sgpr_private_segment_size 0
		.amdhsa_wavefront_size32 1
		.amdhsa_uses_dynamic_stack 0
		.amdhsa_enable_private_segment 0
		.amdhsa_system_sgpr_workgroup_id_x 1
		.amdhsa_system_sgpr_workgroup_id_y 0
		.amdhsa_system_sgpr_workgroup_id_z 0
		.amdhsa_system_sgpr_workgroup_info 0
		.amdhsa_system_vgpr_workitem_id 0
		.amdhsa_next_free_vgpr 12
		.amdhsa_next_free_sgpr 20
		.amdhsa_reserve_vcc 1
		.amdhsa_float_round_mode_32 0
		.amdhsa_float_round_mode_16_64 0
		.amdhsa_float_denorm_mode_32 3
		.amdhsa_float_denorm_mode_16_64 3
		.amdhsa_fp16_overflow 0
		.amdhsa_workgroup_processor_mode 1
		.amdhsa_memory_ordered 1
		.amdhsa_forward_progress 1
		.amdhsa_inst_pref_size 4
		.amdhsa_round_robin_scheduling 0
		.amdhsa_exception_fp_ieee_invalid_op 0
		.amdhsa_exception_fp_denorm_src 0
		.amdhsa_exception_fp_ieee_div_zero 0
		.amdhsa_exception_fp_ieee_overflow 0
		.amdhsa_exception_fp_ieee_underflow 0
		.amdhsa_exception_fp_ieee_inexact 0
		.amdhsa_exception_int_div_zero 0
	.end_amdhsa_kernel
	.section	.text._ZN2at6native12_GLOBAL__N_133GammaBetaBackwardSimpleCUDAKernelIddLb0EEEvllPKT_S5_PKT0_S8_PS3_S9_,"axG",@progbits,_ZN2at6native12_GLOBAL__N_133GammaBetaBackwardSimpleCUDAKernelIddLb0EEEvllPKT_S5_PKT0_S8_PS3_S9_,comdat
.Lfunc_end26:
	.size	_ZN2at6native12_GLOBAL__N_133GammaBetaBackwardSimpleCUDAKernelIddLb0EEEvllPKT_S5_PKT0_S8_PS3_S9_, .Lfunc_end26-_ZN2at6native12_GLOBAL__N_133GammaBetaBackwardSimpleCUDAKernelIddLb0EEEvllPKT_S5_PKT0_S8_PS3_S9_
                                        ; -- End function
	.set _ZN2at6native12_GLOBAL__N_133GammaBetaBackwardSimpleCUDAKernelIddLb0EEEvllPKT_S5_PKT0_S8_PS3_S9_.num_vgpr, 12
	.set _ZN2at6native12_GLOBAL__N_133GammaBetaBackwardSimpleCUDAKernelIddLb0EEEvllPKT_S5_PKT0_S8_PS3_S9_.num_agpr, 0
	.set _ZN2at6native12_GLOBAL__N_133GammaBetaBackwardSimpleCUDAKernelIddLb0EEEvllPKT_S5_PKT0_S8_PS3_S9_.numbered_sgpr, 20
	.set _ZN2at6native12_GLOBAL__N_133GammaBetaBackwardSimpleCUDAKernelIddLb0EEEvllPKT_S5_PKT0_S8_PS3_S9_.num_named_barrier, 0
	.set _ZN2at6native12_GLOBAL__N_133GammaBetaBackwardSimpleCUDAKernelIddLb0EEEvllPKT_S5_PKT0_S8_PS3_S9_.private_seg_size, 0
	.set _ZN2at6native12_GLOBAL__N_133GammaBetaBackwardSimpleCUDAKernelIddLb0EEEvllPKT_S5_PKT0_S8_PS3_S9_.uses_vcc, 1
	.set _ZN2at6native12_GLOBAL__N_133GammaBetaBackwardSimpleCUDAKernelIddLb0EEEvllPKT_S5_PKT0_S8_PS3_S9_.uses_flat_scratch, 0
	.set _ZN2at6native12_GLOBAL__N_133GammaBetaBackwardSimpleCUDAKernelIddLb0EEEvllPKT_S5_PKT0_S8_PS3_S9_.has_dyn_sized_stack, 0
	.set _ZN2at6native12_GLOBAL__N_133GammaBetaBackwardSimpleCUDAKernelIddLb0EEEvllPKT_S5_PKT0_S8_PS3_S9_.has_recursion, 0
	.set _ZN2at6native12_GLOBAL__N_133GammaBetaBackwardSimpleCUDAKernelIddLb0EEEvllPKT_S5_PKT0_S8_PS3_S9_.has_indirect_call, 0
	.section	.AMDGPU.csdata,"",@progbits
; Kernel info:
; codeLenInByte = 492
; TotalNumSgprs: 22
; NumVgprs: 12
; ScratchSize: 0
; MemoryBound: 1
; FloatMode: 240
; IeeeMode: 1
; LDSByteSize: 0 bytes/workgroup (compile time only)
; SGPRBlocks: 0
; VGPRBlocks: 1
; NumSGPRsForWavesPerEU: 22
; NumVGPRsForWavesPerEU: 12
; Occupancy: 16
; WaveLimiterHint : 0
; COMPUTE_PGM_RSRC2:SCRATCH_EN: 0
; COMPUTE_PGM_RSRC2:USER_SGPR: 2
; COMPUTE_PGM_RSRC2:TRAP_HANDLER: 0
; COMPUTE_PGM_RSRC2:TGID_X_EN: 1
; COMPUTE_PGM_RSRC2:TGID_Y_EN: 0
; COMPUTE_PGM_RSRC2:TGID_Z_EN: 0
; COMPUTE_PGM_RSRC2:TIDIG_COMP_CNT: 0
	.section	.text._ZN2at6native12_GLOBAL__N_135GammaBetaBackwardCUDAKernelTemplateIddLj64ELj1ELj32ELb1ELb1ELb0EEEvllPKT_S5_PKT0_S8_PS3_S9_,"axG",@progbits,_ZN2at6native12_GLOBAL__N_135GammaBetaBackwardCUDAKernelTemplateIddLj64ELj1ELj32ELb1ELb1ELb0EEEvllPKT_S5_PKT0_S8_PS3_S9_,comdat
	.globl	_ZN2at6native12_GLOBAL__N_135GammaBetaBackwardCUDAKernelTemplateIddLj64ELj1ELj32ELb1ELb1ELb0EEEvllPKT_S5_PKT0_S8_PS3_S9_ ; -- Begin function _ZN2at6native12_GLOBAL__N_135GammaBetaBackwardCUDAKernelTemplateIddLj64ELj1ELj32ELb1ELb1ELb0EEEvllPKT_S5_PKT0_S8_PS3_S9_
	.p2align	8
	.type	_ZN2at6native12_GLOBAL__N_135GammaBetaBackwardCUDAKernelTemplateIddLj64ELj1ELj32ELb1ELb1ELb0EEEvllPKT_S5_PKT0_S8_PS3_S9_,@function
_ZN2at6native12_GLOBAL__N_135GammaBetaBackwardCUDAKernelTemplateIddLj64ELj1ELj32ELb1ELb1ELb0EEEvllPKT_S5_PKT0_S8_PS3_S9_: ; @_ZN2at6native12_GLOBAL__N_135GammaBetaBackwardCUDAKernelTemplateIddLj64ELj1ELj32ELb1ELb1ELb0EEEvllPKT_S5_PKT0_S8_PS3_S9_
; %bb.0:
	s_load_b128 s[8:11], s[0:1], 0x0
	s_lshl_b32 s16, ttmp7, 5
	s_mov_b32 s17, 0
	v_bfe_u32 v14, v0, 10, 10
	s_add_nc_u64 s[18:19], s[0:1], 64
	s_wait_kmcnt 0x0
	v_cmp_gt_i64_e64 s2, s[8:9], s[16:17]
	s_and_b32 vcc_lo, exec_lo, s2
	s_cbranch_vccnz .LBB27_2
; %bb.1:
	v_bfe_u32 v1, v0, 10, 10
	s_add_nc_u64 s[2:3], s[0:1], 64
	s_mov_b32 s4, s17
	s_branch .LBB27_3
.LBB27_2:
	s_mov_b32 s4, -1
                                        ; implicit-def: $sgpr2_sgpr3
                                        ; implicit-def: $vgpr1
.LBB27_3:
	s_load_b128 s[12:15], s[0:1], 0x30
	v_mov_b32_e32 v10, 0
	v_dual_mov_b32 v11, 0 :: v_dual_mov_b32 v12, 0
	v_mov_b32_e32 v13, 0
	v_and_b32_e32 v15, 0x3ff, v0
	s_and_not1_b32 vcc_lo, exec_lo, s4
	s_cbranch_vccnz .LBB27_9
; %bb.4:
	s_clause 0x2
	s_load_b32 s20, s[0:1], 0x4c
	s_load_b32 s22, s[0:1], 0x44
	s_load_b256 s[0:7], s[0:1], 0x10
	v_dual_mov_b32 v1, 0 :: v_dual_lshlrev_b32 v2, 5, v14
	v_lshl_add_u32 v0, ttmp9, 6, v15
	s_mov_b32 s21, 0
	v_dual_mov_b32 v33, 0x48 :: v_dual_mov_b32 v12, 0
	v_dual_mov_b32 v35, 0x50 :: v_dual_mov_b32 v10, 0
	;; [unrolled: 1-line block ×7, first 2 shown]
	s_wait_kmcnt 0x0
	s_and_b32 s20, s20, 0xffff
	v_dual_mov_b32 v26, 44 :: v_dual_mov_b32 v27, 48
	v_mad_u32_u24 v3, v14, s20, v15
	v_add_co_u32 v2, s20, v2, s16
	s_wait_alu 0xf1ff
	v_add_co_ci_u32_e64 v6, null, 0, 0, s20
	s_delay_alu instid0(VALU_DEP_3) | instskip(NEXT) | instid1(VALU_DEP_3)
	v_dual_mov_b32 v32, 0x44 :: v_dual_and_b32 v3, 31, v3
	v_mul_lo_u32 v7, s11, v2
	s_delay_alu instid0(VALU_DEP_3) | instskip(SKIP_1) | instid1(VALU_DEP_4)
	v_mul_lo_u32 v8, s10, v6
	v_mad_co_u64_u32 v[4:5], null, s10, v2, 0
	v_add_co_u32 v2, vcc_lo, v2, v3
	s_delay_alu instid0(VALU_DEP_1)
	v_add_co_ci_u32_e64 v3, null, 0, v6, vcc_lo
	s_lshl_b32 s20, s22, 5
	v_dual_mov_b32 v28, 52 :: v_dual_mov_b32 v29, 56
	v_add3_u32 v5, v5, v8, v7
	v_lshlrev_b64_e32 v[8:9], 3, v[0:1]
	v_dual_mov_b32 v30, 60 :: v_dual_mov_b32 v31, 64
	v_dual_mov_b32 v34, 0x4c :: v_dual_mov_b32 v13, 0
	s_delay_alu instid0(VALU_DEP_4)
	v_lshlrev_b64_e32 v[6:7], 3, v[4:5]
	v_lshlrev_b64_e32 v[4:5], 3, v[2:3]
	v_dual_mov_b32 v36, 0x54 :: v_dual_mov_b32 v11, 0
	v_mov_b32_e32 v37, 0x58
	v_mov_b32_e32 v38, 0x5c
	v_add_co_u32 v0, vcc_lo, v6, v8
	v_mov_b32_e32 v39, 0x60
	v_mov_b32_e32 v40, 0x64
	;; [unrolled: 1-line block ×8, first 2 shown]
	s_wait_alu 0xfffd
	v_add_co_ci_u32_e64 v47, null, v7, v9, vcc_lo
	s_wait_alu 0xfffe
	s_mul_u64 s[22:23], s[10:11], s[20:21]
	s_lshl_b64 s[24:25], s[20:21], 3
	s_lshl_b64 s[22:23], s[22:23], 3
	;; [unrolled: 1-line block ×3, first 2 shown]
	s_branch .LBB27_6
.LBB27_5:                               ;   in Loop: Header=BB27_6 Depth=1
	s_or_b32 exec_lo, exec_lo, s28
	v_add_co_u32 v48, vcc_lo, s2, v0
	s_wait_alu 0xfffd
	v_add_co_ci_u32_e64 v49, null, s3, v47, vcc_lo
	s_wait_loadcnt 0x1
	ds_bpermute_b32 v80, v1, v8
	ds_bpermute_b32 v81, v1, v9
	s_wait_loadcnt 0x0
	ds_bpermute_b32 v88, v1, v6
	global_load_b64 v[50:51], v[48:49], off
	v_add_co_u32 v48, vcc_lo, v48, s26
	s_wait_alu 0xfffd
	v_add_co_ci_u32_e64 v49, null, s27, v49, vcc_lo
	v_add_co_u32 v52, vcc_lo, s0, v0
	s_wait_alu 0xfffd
	v_add_co_ci_u32_e64 v53, null, s1, v47, vcc_lo
	global_load_b64 v[54:55], v[48:49], off
	global_load_b64 v[56:57], v[52:53], off
	v_add_co_u32 v48, vcc_lo, v48, s26
	s_wait_alu 0xfffd
	v_add_co_ci_u32_e64 v49, null, s27, v49, vcc_lo
	v_add_co_u32 v52, vcc_lo, v52, s26
	s_wait_alu 0xfffd
	v_add_co_ci_u32_e64 v53, null, s27, v53, vcc_lo
	global_load_b64 v[58:59], v[48:49], off
	;; [unrolled: 8-line block ×3, first 2 shown]
	v_add_co_u32 v52, vcc_lo, v52, s26
	global_load_b64 v[64:65], v[48:49], off
	s_wait_alu 0xfffd
	v_add_co_ci_u32_e64 v53, null, s27, v53, vcc_lo
	v_add_co_u32 v48, vcc_lo, v48, s26
	s_wait_alu 0xfffd
	v_add_co_ci_u32_e64 v49, null, s27, v49, vcc_lo
	global_load_b64 v[66:67], v[52:53], off
	v_add_co_u32 v52, vcc_lo, v52, s26
	global_load_b64 v[68:69], v[48:49], off
	s_wait_alu 0xfffd
	v_add_co_ci_u32_e64 v53, null, s27, v53, vcc_lo
	v_add_co_u32 v48, vcc_lo, v48, s26
	s_wait_alu 0xfffd
	v_add_co_ci_u32_e64 v49, null, s27, v49, vcc_lo
	global_load_b64 v[70:71], v[52:53], off
	ds_bpermute_b32 v89, v1, v7
	ds_bpermute_b32 v86, v17, v8
	global_load_b64 v[72:73], v[48:49], off
	v_add_co_u32 v48, vcc_lo, v48, s26
	s_wait_alu 0xfffd
	v_add_co_ci_u32_e64 v49, null, s27, v49, vcc_lo
	v_add_co_u32 v52, vcc_lo, v52, s26
	s_wait_alu 0xfffd
	v_add_co_ci_u32_e64 v53, null, s27, v53, vcc_lo
	global_load_b64 v[74:75], v[48:49], off
	global_load_b64 v[76:77], v[52:53], off
	v_add_co_u32 v48, vcc_lo, v48, s26
	s_wait_alu 0xfffd
	v_add_co_ci_u32_e64 v49, null, s27, v49, vcc_lo
	v_add_co_u32 v52, vcc_lo, v52, s26
	s_wait_alu 0xfffd
	v_add_co_ci_u32_e64 v53, null, s27, v53, vcc_lo
	global_load_b64 v[78:79], v[48:49], off
	ds_bpermute_b32 v87, v17, v9
	ds_bpermute_b32 v90, v18, v8
	global_load_b64 v[82:83], v[52:53], off
	v_add_co_u32 v52, vcc_lo, v52, s26
	s_wait_alu 0xfffd
	v_add_co_ci_u32_e64 v53, null, s27, v53, vcc_lo
	v_add_co_u32 v48, vcc_lo, v48, s26
	s_wait_alu 0xfffd
	v_add_co_ci_u32_e64 v49, null, s27, v49, vcc_lo
	global_load_b64 v[84:85], v[52:53], off
	ds_bpermute_b32 v91, v18, v9
	s_add_nc_u64 s[16:17], s[16:17], s[20:21]
	s_wait_alu 0xfffe
	v_cmp_lt_i64_e64 s28, s[16:17], s[8:9]
	s_wait_loadcnt_dscnt 0xf06
	v_add_f64_e64 v[50:51], v[50:51], -v[80:81]
	ds_bpermute_b32 v80, v16, v8
	ds_bpermute_b32 v81, v16, v9
	s_wait_loadcnt 0xd
	v_add_f64_e32 v[10:11], v[10:11], v[56:57]
	s_wait_loadcnt_dscnt 0xc04
	v_add_f64_e64 v[58:59], v[58:59], -v[86:87]
	s_wait_dscnt 0x0
	v_add_f64_e64 v[54:55], v[54:55], -v[80:81]
	global_load_b64 v[80:81], v[48:49], off
	ds_bpermute_b32 v86, v16, v6
	ds_bpermute_b32 v87, v16, v7
	v_mul_f64_e32 v[50:51], v[56:57], v[50:51]
	ds_bpermute_b32 v56, v19, v6
	ds_bpermute_b32 v57, v19, v7
	s_wait_loadcnt 0xc
	v_add_f64_e32 v[10:11], v[10:11], v[60:61]
	s_wait_loadcnt 0xb
	v_mul_f64_e32 v[58:59], v[62:63], v[58:59]
	v_mul_f64_e32 v[54:55], v[60:61], v[54:55]
	ds_bpermute_b32 v60, v22, v8
	ds_bpermute_b32 v61, v22, v9
	v_fma_f64 v[12:13], v[50:51], v[88:89], v[12:13]
	v_add_co_u32 v50, vcc_lo, v52, s26
	s_wait_alu 0xfffd
	v_add_co_ci_u32_e64 v51, null, s27, v53, vcc_lo
	v_add_co_u32 v48, vcc_lo, v48, s26
	s_wait_alu 0xfffd
	v_add_co_ci_u32_e64 v49, null, s27, v49, vcc_lo
	global_load_b64 v[52:53], v[50:51], off
	v_add_co_u32 v50, vcc_lo, v50, s26
	global_load_b64 v[88:89], v[48:49], off
	s_wait_alu 0xfffd
	v_add_co_ci_u32_e64 v51, null, s27, v51, vcc_lo
	v_add_co_u32 v48, vcc_lo, v48, s26
	s_wait_alu 0xfffd
	v_add_co_ci_u32_e64 v49, null, s27, v49, vcc_lo
	s_wait_loadcnt_dscnt 0x500
	v_add_f64_e64 v[60:61], v[78:79], -v[60:61]
	ds_bpermute_b32 v78, v20, v6
	ds_bpermute_b32 v79, v20, v7
	v_add_f64_e32 v[10:11], v[10:11], v[62:63]
	v_fma_f64 v[12:13], v[54:55], v[86:87], v[12:13]
	v_add_f64_e64 v[54:55], v[64:65], -v[90:91]
	ds_bpermute_b32 v64, v17, v6
	ds_bpermute_b32 v65, v17, v7
	global_load_b64 v[86:87], v[50:51], off
	global_load_b64 v[90:91], v[48:49], off
	v_add_co_u32 v50, vcc_lo, v50, s26
	s_wait_alu 0xfffd
	v_add_co_ci_u32_e64 v51, null, s27, v51, vcc_lo
	v_add_co_u32 v48, vcc_lo, v48, s26
	s_wait_alu 0xfffd
	v_add_co_ci_u32_e64 v49, null, s27, v49, vcc_lo
	s_wait_loadcnt 0x5
	v_mul_f64_e32 v[60:61], v[84:85], v[60:61]
	v_add_f64_e32 v[10:11], v[10:11], v[66:67]
	s_wait_dscnt 0x0
	v_fma_f64 v[12:13], v[58:59], v[64:65], v[12:13]
	ds_bpermute_b32 v58, v19, v8
	ds_bpermute_b32 v59, v19, v9
	v_mul_f64_e32 v[54:55], v[66:67], v[54:55]
	ds_bpermute_b32 v64, v18, v6
	ds_bpermute_b32 v65, v18, v7
	;; [unrolled: 1-line block ×4, first 2 shown]
	v_add_f64_e32 v[10:11], v[10:11], v[70:71]
	s_wait_dscnt 0x4
	v_add_f64_e64 v[58:59], v[68:69], -v[58:59]
	global_load_b64 v[68:69], v[50:51], off
	v_add_co_u32 v50, vcc_lo, v50, s26
	s_wait_alu 0xfffd
	v_add_co_ci_u32_e64 v51, null, s27, v51, vcc_lo
	s_wait_dscnt 0x2
	v_fma_f64 v[12:13], v[54:55], v[64:65], v[12:13]
	global_load_b64 v[54:55], v[48:49], off
	ds_bpermute_b32 v64, v20, v8
	ds_bpermute_b32 v65, v20, v9
	v_add_co_u32 v48, vcc_lo, v48, s26
	s_wait_alu 0xfffd
	v_add_co_ci_u32_e64 v49, null, s27, v49, vcc_lo
	v_add_f64_e32 v[10:11], v[10:11], v[76:77]
	v_mul_f64_e32 v[58:59], v[70:71], v[58:59]
	ds_bpermute_b32 v70, v24, v8
	ds_bpermute_b32 v71, v24, v9
	s_wait_dscnt 0x2
	v_add_f64_e64 v[64:65], v[72:73], -v[64:65]
	global_load_b64 v[72:73], v[50:51], off
	v_add_co_u32 v50, vcc_lo, v50, s26
	s_wait_alu 0xfffd
	v_add_co_ci_u32_e64 v51, null, s27, v51, vcc_lo
	v_add_f64_e32 v[10:11], v[10:11], v[82:83]
	v_fma_f64 v[12:13], v[58:59], v[56:57], v[12:13]
	global_load_b64 v[56:57], v[48:49], off
	ds_bpermute_b32 v58, v21, v8
	ds_bpermute_b32 v59, v21, v9
	v_mul_f64_e32 v[64:65], v[76:77], v[64:65]
	v_add_co_u32 v48, vcc_lo, v48, s26
	s_wait_alu 0xfffd
	v_add_co_ci_u32_e64 v49, null, s27, v49, vcc_lo
	global_load_b64 v[62:63], v[48:49], off
	s_wait_dscnt 0x0
	v_add_f64_e64 v[58:59], v[74:75], -v[58:59]
	global_load_b64 v[74:75], v[50:51], off
	v_add_co_u32 v50, vcc_lo, v50, s26
	s_wait_alu 0xfffd
	v_add_co_ci_u32_e64 v51, null, s27, v51, vcc_lo
	v_add_co_u32 v48, vcc_lo, v48, s26
	s_wait_alu 0xfffd
	v_add_co_ci_u32_e64 v49, null, s27, v49, vcc_lo
	v_add_f64_e32 v[10:11], v[10:11], v[84:85]
	v_fma_f64 v[12:13], v[64:65], v[78:79], v[12:13]
	ds_bpermute_b32 v64, v21, v6
	ds_bpermute_b32 v65, v21, v7
	;; [unrolled: 1-line block ×4, first 2 shown]
	v_mul_f64_e32 v[58:59], v[82:83], v[58:59]
	s_wait_loadcnt_dscnt 0xa00
	v_add_f64_e64 v[78:79], v[80:81], -v[78:79]
	s_delay_alu instid0(VALU_DEP_2)
	v_fma_f64 v[12:13], v[58:59], v[64:65], v[12:13]
	global_load_b64 v[58:59], v[48:49], off
	global_load_b64 v[64:65], v[50:51], off
	v_add_co_u32 v48, vcc_lo, v48, s26
	s_wait_alu 0xfffd
	v_add_co_ci_u32_e64 v49, null, s27, v49, vcc_lo
	v_add_co_u32 v50, vcc_lo, v50, s26
	s_wait_alu 0xfffd
	v_add_co_ci_u32_e64 v51, null, s27, v51, vcc_lo
	global_load_b64 v[80:81], v[48:49], off
	v_add_co_u32 v48, vcc_lo, v48, s26
	s_wait_alu 0xfffd
	v_add_co_ci_u32_e64 v49, null, s27, v49, vcc_lo
	v_fma_f64 v[12:13], v[60:61], v[66:67], v[12:13]
	global_load_b64 v[60:61], v[50:51], off
	v_add_co_u32 v50, vcc_lo, v50, s26
	s_wait_alu 0xfffd
	v_add_co_ci_u32_e64 v51, null, s27, v51, vcc_lo
	s_wait_loadcnt 0xd
	v_mul_f64_e32 v[66:67], v[52:53], v[78:79]
	ds_bpermute_b32 v78, v23, v6
	ds_bpermute_b32 v79, v23, v7
	s_wait_loadcnt 0xc
	v_add_f64_e64 v[70:71], v[88:89], -v[70:71]
	global_load_b64 v[76:77], v[48:49], off
	global_load_b64 v[88:89], v[50:51], off
	v_add_co_u32 v48, vcc_lo, v48, s26
	s_wait_alu 0xfffd
	v_add_co_ci_u32_e64 v49, null, s27, v49, vcc_lo
	v_add_co_u32 v50, vcc_lo, v50, s26
	s_wait_alu 0xfffd
	v_add_co_ci_u32_e64 v51, null, s27, v51, vcc_lo
	global_load_b64 v[82:83], v[48:49], off
	v_add_f64_e32 v[10:11], v[10:11], v[52:53]
	s_wait_dscnt 0x0
	v_fma_f64 v[12:13], v[66:67], v[78:79], v[12:13]
	ds_bpermute_b32 v66, v25, v8
	ds_bpermute_b32 v67, v25, v9
	s_wait_loadcnt 0xe
	v_mul_f64_e32 v[70:71], v[86:87], v[70:71]
	ds_bpermute_b32 v78, v24, v6
	ds_bpermute_b32 v79, v24, v7
	v_add_f64_e32 v[10:11], v[10:11], v[86:87]
	s_wait_loadcnt_dscnt 0xd02
	v_add_f64_e64 v[66:67], v[90:91], -v[66:67]
	global_load_b64 v[90:91], v[50:51], off
	v_add_co_u32 v50, vcc_lo, v50, s26
	s_wait_alu 0xfffd
	v_add_co_ci_u32_e64 v51, null, s27, v51, vcc_lo
	v_add_co_u32 v48, vcc_lo, v48, s26
	s_wait_alu 0xfffd
	v_add_co_ci_u32_e64 v49, null, s27, v49, vcc_lo
	s_wait_dscnt 0x0
	v_fma_f64 v[12:13], v[70:71], v[78:79], v[12:13]
	ds_bpermute_b32 v70, v26, v8
	ds_bpermute_b32 v71, v26, v9
	v_add_co_u32 v78, vcc_lo, v50, s26
	s_wait_alu 0xfffd
	v_add_co_ci_u32_e64 v79, null, s27, v51, vcc_lo
	global_load_b64 v[84:85], v[48:49], off
	global_load_b64 v[50:51], v[50:51], off
	v_add_co_u32 v48, vcc_lo, v48, s26
	global_load_b64 v[52:53], v[78:79], off
	s_wait_alu 0xfffd
	v_add_co_ci_u32_e64 v49, null, s27, v49, vcc_lo
	s_wait_loadcnt 0x10
	v_add_f64_e32 v[10:11], v[10:11], v[68:69]
	v_mul_f64_e32 v[66:67], v[68:69], v[66:67]
	ds_bpermute_b32 v68, v27, v6
	ds_bpermute_b32 v69, v27, v7
	s_wait_loadcnt_dscnt 0xf02
	v_add_f64_e64 v[54:55], v[54:55], -v[70:71]
	ds_bpermute_b32 v70, v25, v6
	ds_bpermute_b32 v71, v25, v7
	s_wait_loadcnt 0xe
	v_add_f64_e32 v[10:11], v[10:11], v[72:73]
	s_wait_dscnt 0x0
	v_fma_f64 v[12:13], v[66:67], v[70:71], v[12:13]
	ds_bpermute_b32 v66, v27, v8
	global_load_b64 v[70:71], v[48:49], off
	ds_bpermute_b32 v67, v27, v9
	v_mul_f64_e32 v[54:55], v[72:73], v[54:55]
	ds_bpermute_b32 v72, v30, v8
	ds_bpermute_b32 v73, v30, v9
	s_wait_loadcnt_dscnt 0xe02
	v_add_f64_e64 v[56:57], v[56:57], -v[66:67]
	v_add_co_u32 v66, vcc_lo, v78, s26
	s_wait_alu 0xfffd
	v_add_co_ci_u32_e64 v67, null, s27, v79, vcc_lo
	ds_bpermute_b32 v78, v26, v6
	ds_bpermute_b32 v79, v26, v7
	v_add_co_u32 v48, vcc_lo, v48, s26
	s_wait_alu 0xfffd
	v_add_co_ci_u32_e64 v49, null, s27, v49, vcc_lo
	global_load_b64 v[86:87], v[66:67], off
	v_add_co_u32 v66, vcc_lo, v66, s26
	s_wait_alu 0xfffd
	v_add_co_ci_u32_e64 v67, null, s27, v67, vcc_lo
	s_wait_loadcnt 0xd
	v_add_f64_e32 v[10:11], v[10:11], v[74:75]
	s_wait_dscnt 0x0
	v_fma_f64 v[12:13], v[54:55], v[78:79], v[12:13]
	global_load_b64 v[54:55], v[48:49], off
	ds_bpermute_b32 v78, v28, v8
	ds_bpermute_b32 v79, v28, v9
	v_add_co_u32 v48, vcc_lo, v48, s26
	s_wait_alu 0xfffd
	v_add_co_ci_u32_e64 v49, null, s27, v49, vcc_lo
	v_mul_f64_e32 v[56:57], v[74:75], v[56:57]
	s_wait_dscnt 0x0
	v_add_f64_e64 v[62:63], v[62:63], -v[78:79]
	global_load_b64 v[78:79], v[66:67], off
	v_add_co_u32 v66, vcc_lo, v66, s26
	s_wait_alu 0xfffd
	v_add_co_ci_u32_e64 v67, null, s27, v67, vcc_lo
	v_fma_f64 v[12:13], v[56:57], v[68:69], v[12:13]
	global_load_b64 v[56:57], v[48:49], off
	ds_bpermute_b32 v68, v29, v8
	ds_bpermute_b32 v69, v29, v9
	v_add_co_u32 v48, vcc_lo, v48, s26
	s_wait_alu 0xfffd
	v_add_co_ci_u32_e64 v49, null, s27, v49, vcc_lo
	global_load_b64 v[74:75], v[48:49], off
	v_add_co_u32 v48, vcc_lo, v48, s26
	s_wait_alu 0xfffd
	v_add_co_ci_u32_e64 v49, null, s27, v49, vcc_lo
	s_wait_loadcnt_dscnt 0x1000
	v_add_f64_e64 v[58:59], v[58:59], -v[68:69]
	s_wait_loadcnt 0xf
	v_mul_f64_e32 v[62:63], v[64:65], v[62:63]
	global_load_b64 v[68:69], v[66:67], off
	v_add_f64_e32 v[10:11], v[10:11], v[64:65]
	v_add_co_u32 v64, vcc_lo, v66, s26
	s_wait_alu 0xfffd
	v_add_co_ci_u32_e64 v65, null, s27, v67, vcc_lo
	s_wait_loadcnt 0xf
	v_add_f64_e64 v[72:73], v[80:81], -v[72:73]
	ds_bpermute_b32 v80, v28, v6
	ds_bpermute_b32 v81, v28, v7
	s_wait_loadcnt 0xe
	v_mul_f64_e32 v[58:59], v[60:61], v[58:59]
	s_wait_dscnt 0x0
	v_fma_f64 v[12:13], v[62:63], v[80:81], v[12:13]
	ds_bpermute_b32 v62, v31, v8
	ds_bpermute_b32 v63, v31, v9
	;; [unrolled: 1-line block ×4, first 2 shown]
	v_add_f64_e32 v[10:11], v[10:11], v[60:61]
	s_wait_loadcnt 0xc
	v_mul_f64_e32 v[66:67], v[88:89], v[72:73]
	s_wait_dscnt 0x2
	v_add_f64_e64 v[62:63], v[76:77], -v[62:63]
	ds_bpermute_b32 v76, v32, v8
	ds_bpermute_b32 v77, v32, v9
	s_wait_dscnt 0x2
	v_fma_f64 v[12:13], v[58:59], v[80:81], v[12:13]
	global_load_b64 v[58:59], v[48:49], off
	global_load_b64 v[72:73], v[64:65], off
	ds_bpermute_b32 v80, v30, v6
	ds_bpermute_b32 v81, v30, v7
	v_add_co_u32 v64, vcc_lo, v64, s26
	s_wait_alu 0xfffd
	v_add_co_ci_u32_e64 v65, null, s27, v65, vcc_lo
	v_add_co_u32 v48, vcc_lo, v48, s26
	s_wait_alu 0xfffd
	v_add_co_ci_u32_e64 v49, null, s27, v49, vcc_lo
	s_wait_loadcnt_dscnt 0xd02
	v_add_f64_e64 v[76:77], v[82:83], -v[76:77]
	ds_bpermute_b32 v82, v31, v6
	ds_bpermute_b32 v83, v31, v7
	global_load_b64 v[60:61], v[48:49], off
	v_add_f64_e32 v[10:11], v[10:11], v[88:89]
	s_wait_dscnt 0x2
	v_fma_f64 v[12:13], v[66:67], v[80:81], v[12:13]
	s_wait_loadcnt 0xd
	v_mul_f64_e32 v[62:63], v[90:91], v[62:63]
	global_load_b64 v[66:67], v[64:65], off
	ds_bpermute_b32 v80, v33, v8
	ds_bpermute_b32 v81, v33, v9
	v_add_co_u32 v64, vcc_lo, v64, s26
	s_wait_alu 0xfffd
	v_add_co_ci_u32_e64 v65, null, s27, v65, vcc_lo
	v_add_co_u32 v48, vcc_lo, v48, s26
	s_wait_alu 0xfffd
	v_add_co_ci_u32_e64 v49, null, s27, v49, vcc_lo
	global_load_b64 v[88:89], v[48:49], off
	v_add_f64_e32 v[10:11], v[10:11], v[90:91]
	s_wait_loadcnt_dscnt 0xe00
	v_add_f64_e64 v[80:81], v[84:85], -v[80:81]
	s_wait_loadcnt 0xd
	v_mul_f64_e32 v[76:77], v[50:51], v[76:77]
	ds_bpermute_b32 v84, v34, v8
	ds_bpermute_b32 v85, v34, v9
	v_fma_f64 v[12:13], v[62:63], v[82:83], v[12:13]
	global_load_b64 v[62:63], v[64:65], off
	ds_bpermute_b32 v82, v32, v6
	ds_bpermute_b32 v83, v32, v7
	v_add_co_u32 v64, vcc_lo, v64, s26
	s_wait_alu 0xfffd
	v_add_co_ci_u32_e64 v65, null, s27, v65, vcc_lo
	v_add_co_u32 v48, vcc_lo, v48, s26
	s_wait_alu 0xfffd
	v_add_co_ci_u32_e64 v49, null, s27, v49, vcc_lo
	global_load_b64 v[90:91], v[48:49], off
	v_add_f64_e32 v[10:11], v[10:11], v[50:51]
	s_wait_loadcnt 0xe
	v_mul_f64_e32 v[80:81], v[52:53], v[80:81]
	s_wait_dscnt 0x0
	v_fma_f64 v[12:13], v[76:77], v[82:83], v[12:13]
	global_load_b64 v[76:77], v[64:65], off
	s_wait_loadcnt 0xe
	v_add_f64_e64 v[70:71], v[70:71], -v[84:85]
	ds_bpermute_b32 v82, v33, v6
	ds_bpermute_b32 v83, v33, v7
	v_add_co_u32 v64, vcc_lo, v64, s26
	s_wait_alu 0xfffd
	v_add_co_ci_u32_e64 v65, null, s27, v65, vcc_lo
	v_add_co_u32 v48, vcc_lo, v48, s26
	s_wait_alu 0xfffd
	v_add_co_ci_u32_e64 v49, null, s27, v49, vcc_lo
	ds_bpermute_b32 v84, v35, v8
	ds_bpermute_b32 v85, v35, v9
	global_load_b64 v[50:51], v[48:49], off
	v_add_co_u32 v48, vcc_lo, v48, s26
	s_wait_alu 0xfffd
	v_add_co_ci_u32_e64 v49, null, s27, v49, vcc_lo
	v_add_f64_e32 v[10:11], v[10:11], v[52:53]
	s_wait_dscnt 0x2
	v_fma_f64 v[12:13], v[80:81], v[82:83], v[12:13]
	global_load_b64 v[80:81], v[64:65], off
	s_wait_loadcnt 0xf
	v_mul_f64_e32 v[70:71], v[86:87], v[70:71]
	v_add_co_u32 v64, vcc_lo, v64, s26
	ds_bpermute_b32 v82, v34, v6
	ds_bpermute_b32 v83, v34, v7
	s_wait_alu 0xfffd
	v_add_co_ci_u32_e64 v65, null, s27, v65, vcc_lo
	global_load_b64 v[52:53], v[64:65], off
	s_wait_loadcnt_dscnt 0xf02
	v_add_f64_e64 v[54:55], v[54:55], -v[84:85]
	global_load_b64 v[84:85], v[48:49], off
	v_add_co_u32 v48, vcc_lo, v48, s26
	s_wait_alu 0xfffd
	v_add_co_ci_u32_e64 v49, null, s27, v49, vcc_lo
	v_add_co_u32 v64, vcc_lo, v64, s26
	s_wait_alu 0xfffd
	v_add_co_ci_u32_e64 v65, null, s27, v65, vcc_lo
	v_add_f64_e32 v[10:11], v[10:11], v[86:87]
	global_load_b64 v[86:87], v[64:65], off
	s_wait_dscnt 0x0
	v_fma_f64 v[12:13], v[70:71], v[82:83], v[12:13]
	ds_bpermute_b32 v70, v36, v8
	ds_bpermute_b32 v71, v36, v9
	;; [unrolled: 1-line block ×4, first 2 shown]
	s_wait_loadcnt 0x10
	v_mul_f64_e32 v[54:55], v[78:79], v[54:55]
	v_add_f64_e32 v[10:11], v[10:11], v[78:79]
	ds_bpermute_b32 v78, v36, v6
	s_wait_loadcnt_dscnt 0xf03
	v_add_f64_e64 v[56:57], v[56:57], -v[70:71]
	global_load_b64 v[70:71], v[48:49], off
	v_add_co_u32 v48, vcc_lo, v48, s26
	s_wait_alu 0xfffd
	v_add_co_ci_u32_e64 v49, null, s27, v49, vcc_lo
	v_add_co_u32 v64, vcc_lo, v64, s26
	s_wait_alu 0xfffd
	v_add_co_ci_u32_e64 v65, null, s27, v65, vcc_lo
	ds_bpermute_b32 v79, v36, v7
	s_wait_dscnt 0x2
	v_fma_f64 v[12:13], v[54:55], v[82:83], v[12:13]
	ds_bpermute_b32 v54, v37, v8
	ds_bpermute_b32 v55, v37, v9
	global_load_b64 v[82:83], v[48:49], off
	v_add_co_u32 v48, vcc_lo, v48, s26
	s_wait_alu 0xfffd
	v_add_co_ci_u32_e64 v49, null, s27, v49, vcc_lo
	s_wait_loadcnt 0xf
	v_add_f64_e32 v[10:11], v[10:11], v[68:69]
	v_mul_f64_e32 v[56:57], v[68:69], v[56:57]
	ds_bpermute_b32 v68, v37, v6
	ds_bpermute_b32 v69, v37, v7
	s_wait_dscnt 0x2
	v_add_f64_e64 v[54:55], v[74:75], -v[54:55]
	global_load_b64 v[74:75], v[64:65], off
	v_add_co_u32 v64, vcc_lo, v64, s26
	s_wait_alu 0xfffd
	v_add_co_ci_u32_e64 v65, null, s27, v65, vcc_lo
	v_fma_f64 v[12:13], v[56:57], v[78:79], v[12:13]
	ds_bpermute_b32 v56, v38, v8
	ds_bpermute_b32 v57, v38, v9
	global_load_b64 v[48:49], v[48:49], off
	global_load_b64 v[78:79], v[64:65], off
	v_add_co_u32 v64, vcc_lo, v64, s26
	s_wait_alu 0xfffd
	v_add_co_ci_u32_e64 v65, null, s27, v65, vcc_lo
	v_add_co_u32 v0, vcc_lo, v0, s22
	s_wait_alu 0xfffd
	v_add_co_ci_u32_e64 v47, null, s23, v47, vcc_lo
	global_load_b64 v[64:65], v[64:65], off
	v_add_co_u32 v4, vcc_lo, v4, s24
	s_wait_alu 0xfffd
	v_add_co_ci_u32_e64 v5, null, s25, v5, vcc_lo
	v_add_co_u32 v2, vcc_lo, v2, s20
	s_wait_alu 0xfffd
	v_add_co_ci_u32_e64 v3, null, 0, v3, vcc_lo
	s_and_b32 vcc_lo, exec_lo, s28
	s_wait_loadcnt_dscnt 0x1200
	v_add_f64_e64 v[56:57], v[58:59], -v[56:57]
	s_wait_loadcnt 0x11
	v_mul_f64_e32 v[54:55], v[72:73], v[54:55]
	ds_bpermute_b32 v58, v39, v8
	ds_bpermute_b32 v59, v39, v9
	v_add_f64_e32 v[10:11], v[10:11], v[72:73]
	s_wait_loadcnt_dscnt 0x1000
	v_add_f64_e64 v[58:59], v[60:61], -v[58:59]
	ds_bpermute_b32 v60, v38, v6
	ds_bpermute_b32 v61, v38, v7
	v_fma_f64 v[12:13], v[54:55], v[68:69], v[12:13]
	s_wait_loadcnt 0xf
	v_mul_f64_e32 v[56:57], v[66:67], v[56:57]
	ds_bpermute_b32 v54, v40, v8
	ds_bpermute_b32 v55, v40, v9
	v_add_f64_e32 v[10:11], v[10:11], v[66:67]
	s_wait_loadcnt_dscnt 0xe00
	v_add_f64_e64 v[54:55], v[88:89], -v[54:55]
	v_fma_f64 v[12:13], v[56:57], v[60:61], v[12:13]
	s_wait_loadcnt 0xd
	v_mul_f64_e32 v[58:59], v[62:63], v[58:59]
	ds_bpermute_b32 v56, v41, v8
	ds_bpermute_b32 v57, v41, v9
	;; [unrolled: 1-line block ×4, first 2 shown]
	v_add_f64_e32 v[10:11], v[10:11], v[62:63]
	s_wait_loadcnt_dscnt 0xc02
	v_add_f64_e64 v[56:57], v[90:91], -v[56:57]
	s_wait_loadcnt 0xb
	v_mul_f64_e32 v[54:55], v[76:77], v[54:55]
	s_wait_dscnt 0x0
	v_fma_f64 v[12:13], v[58:59], v[60:61], v[12:13]
	ds_bpermute_b32 v58, v42, v8
	ds_bpermute_b32 v59, v42, v9
	;; [unrolled: 1-line block ×4, first 2 shown]
	v_add_f64_e32 v[10:11], v[10:11], v[76:77]
	s_wait_loadcnt_dscnt 0xa02
	v_add_f64_e64 v[50:51], v[50:51], -v[58:59]
	ds_bpermute_b32 v58, v41, v6
	ds_bpermute_b32 v59, v41, v7
	s_wait_loadcnt 0x9
	v_mul_f64_e32 v[56:57], v[80:81], v[56:57]
	s_wait_dscnt 0x2
	v_fma_f64 v[12:13], v[54:55], v[60:61], v[12:13]
	ds_bpermute_b32 v54, v43, v8
	ds_bpermute_b32 v55, v43, v9
	v_add_f64_e32 v[10:11], v[10:11], v[80:81]
	s_wait_loadcnt_dscnt 0x700
	v_add_f64_e64 v[54:55], v[84:85], -v[54:55]
	v_mul_f64_e32 v[50:51], v[52:53], v[50:51]
	v_fma_f64 v[12:13], v[56:57], v[58:59], v[12:13]
	ds_bpermute_b32 v56, v44, v8
	ds_bpermute_b32 v57, v44, v9
	;; [unrolled: 1-line block ×4, first 2 shown]
	v_add_f64_e32 v[10:11], v[10:11], v[52:53]
	ds_bpermute_b32 v52, v43, v6
	ds_bpermute_b32 v53, v43, v7
	s_wait_loadcnt 0x6
	v_mul_f64_e32 v[54:55], v[86:87], v[54:55]
	s_wait_loadcnt_dscnt 0x504
	v_add_f64_e64 v[56:57], v[70:71], -v[56:57]
	s_wait_dscnt 0x2
	v_fma_f64 v[12:13], v[50:51], v[58:59], v[12:13]
	ds_bpermute_b32 v50, v45, v8
	ds_bpermute_b32 v51, v45, v9
	;; [unrolled: 1-line block ×4, first 2 shown]
	v_add_f64_e32 v[10:11], v[10:11], v[86:87]
	s_wait_loadcnt_dscnt 0x402
	v_add_f64_e64 v[50:51], v[82:83], -v[50:51]
	v_fma_f64 v[12:13], v[54:55], v[52:53], v[12:13]
	s_wait_loadcnt 0x3
	v_mul_f64_e32 v[56:57], v[74:75], v[56:57]
	ds_bpermute_b32 v52, v44, v6
	ds_bpermute_b32 v53, v44, v7
	v_add_f64_e32 v[10:11], v[10:11], v[74:75]
	s_wait_loadcnt_dscnt 0x202
	v_add_f64_e64 v[8:9], v[48:49], -v[8:9]
	s_wait_loadcnt 0x1
	v_mul_f64_e32 v[48:49], v[78:79], v[50:51]
	ds_bpermute_b32 v50, v45, v6
	ds_bpermute_b32 v51, v45, v7
	;; [unrolled: 1-line block ×4, first 2 shown]
	s_wait_dscnt 0x4
	v_fma_f64 v[12:13], v[56:57], v[52:53], v[12:13]
	v_add_f64_e32 v[10:11], v[10:11], v[78:79]
	s_wait_loadcnt 0x0
	v_mul_f64_e32 v[8:9], v[64:65], v[8:9]
	s_wait_dscnt 0x2
	s_delay_alu instid0(VALU_DEP_3) | instskip(NEXT) | instid1(VALU_DEP_3)
	v_fma_f64 v[12:13], v[48:49], v[50:51], v[12:13]
	v_add_f64_e32 v[10:11], v[10:11], v[64:65]
	s_wait_dscnt 0x0
	s_delay_alu instid0(VALU_DEP_2)
	v_fma_f64 v[12:13], v[8:9], v[6:7], v[12:13]
	s_wait_alu 0xfffe
	s_cbranch_vccz .LBB27_8
.LBB27_6:                               ; =>This Inner Loop Header: Depth=1
	v_mov_b32_e32 v6, 0
	v_dual_mov_b32 v7, 0 :: v_dual_mov_b32 v8, 0
	v_mov_b32_e32 v9, 0
	s_mov_b32 s28, exec_lo
	v_cmpx_gt_i64_e64 s[8:9], v[2:3]
	s_cbranch_execz .LBB27_5
; %bb.7:                                ;   in Loop: Header=BB27_6 Depth=1
	v_add_co_u32 v6, vcc_lo, s4, v4
	s_wait_alu 0xfffd
	v_add_co_ci_u32_e64 v7, null, s5, v5, vcc_lo
	v_add_co_u32 v48, vcc_lo, s6, v4
	s_wait_alu 0xfffd
	v_add_co_ci_u32_e64 v49, null, s7, v5, vcc_lo
	global_load_b64 v[8:9], v[6:7], off
	global_load_b64 v[6:7], v[48:49], off
	s_branch .LBB27_5
.LBB27_8:
	v_mov_b32_e32 v1, v14
	s_mov_b64 s[2:3], s[18:19]
.LBB27_9:
	s_load_u16 s2, s[2:3], 0xe
	v_mov_b32_e32 v2, 0
	s_mov_b32 s0, ttmp9
	s_mov_b32 s1, 0
	s_wait_alu 0xfffe
	s_lshl_b64 s[0:1], s[0:1], 6
	s_wait_kmcnt 0x0
	s_cmp_eq_u64 s[12:13], 0
	s_wait_alu 0xfffe
	v_add_co_u32 v0, s0, s0, v15
	s_wait_alu 0xf1ff
	v_mad_co_u64_u32 v[2:3], null, s2, ttmp7, v[1:2]
	v_add_co_ci_u32_e64 v1, null, s1, 0, s0
	s_delay_alu instid0(VALU_DEP_1) | instskip(NEXT) | instid1(VALU_DEP_3)
	v_lshlrev_b64_e32 v[0:1], 3, v[0:1]
	v_mul_lo_u32 v3, v3, s10
	s_delay_alu instid0(VALU_DEP_4)
	v_mul_lo_u32 v4, v2, s11
	s_cbranch_scc1 .LBB27_11
; %bb.10:
	v_mad_co_u64_u32 v[5:6], null, v2, s10, 0
	s_delay_alu instid0(VALU_DEP_1) | instskip(NEXT) | instid1(VALU_DEP_1)
	v_add3_u32 v6, v6, v4, v3
	v_lshlrev_b64_e32 v[5:6], 3, v[5:6]
	s_delay_alu instid0(VALU_DEP_1) | instskip(SKIP_1) | instid1(VALU_DEP_2)
	v_add_co_u32 v5, vcc_lo, s12, v5
	s_wait_alu 0xfffd
	v_add_co_ci_u32_e64 v6, null, s13, v6, vcc_lo
	s_delay_alu instid0(VALU_DEP_2) | instskip(SKIP_1) | instid1(VALU_DEP_2)
	v_add_co_u32 v5, vcc_lo, v5, v0
	s_wait_alu 0xfffd
	v_add_co_ci_u32_e64 v6, null, v6, v1, vcc_lo
	global_store_b64 v[5:6], v[12:13], off
.LBB27_11:
	s_cmp_eq_u64 s[14:15], 0
	s_cbranch_scc1 .LBB27_13
; %bb.12:
	v_mad_co_u64_u32 v[5:6], null, v2, s10, 0
	s_delay_alu instid0(VALU_DEP_1) | instskip(NEXT) | instid1(VALU_DEP_1)
	v_add3_u32 v6, v6, v4, v3
	v_lshlrev_b64_e32 v[2:3], 3, v[5:6]
	s_delay_alu instid0(VALU_DEP_1) | instskip(SKIP_1) | instid1(VALU_DEP_2)
	v_add_co_u32 v2, vcc_lo, s14, v2
	s_wait_alu 0xfffd
	v_add_co_ci_u32_e64 v3, null, s15, v3, vcc_lo
	s_delay_alu instid0(VALU_DEP_2) | instskip(SKIP_1) | instid1(VALU_DEP_2)
	v_add_co_u32 v0, vcc_lo, v2, v0
	s_wait_alu 0xfffd
	v_add_co_ci_u32_e64 v1, null, v3, v1, vcc_lo
	global_store_b64 v[0:1], v[10:11], off
.LBB27_13:
	s_endpgm
	.section	.rodata,"a",@progbits
	.p2align	6, 0x0
	.amdhsa_kernel _ZN2at6native12_GLOBAL__N_135GammaBetaBackwardCUDAKernelTemplateIddLj64ELj1ELj32ELb1ELb1ELb0EEEvllPKT_S5_PKT0_S8_PS3_S9_
		.amdhsa_group_segment_fixed_size 0
		.amdhsa_private_segment_fixed_size 0
		.amdhsa_kernarg_size 320
		.amdhsa_user_sgpr_count 2
		.amdhsa_user_sgpr_dispatch_ptr 0
		.amdhsa_user_sgpr_queue_ptr 0
		.amdhsa_user_sgpr_kernarg_segment_ptr 1
		.amdhsa_user_sgpr_dispatch_id 0
		.amdhsa_user_sgpr_private_segment_size 0
		.amdhsa_wavefront_size32 1
		.amdhsa_uses_dynamic_stack 0
		.amdhsa_enable_private_segment 0
		.amdhsa_system_sgpr_workgroup_id_x 1
		.amdhsa_system_sgpr_workgroup_id_y 1
		.amdhsa_system_sgpr_workgroup_id_z 0
		.amdhsa_system_sgpr_workgroup_info 0
		.amdhsa_system_vgpr_workitem_id 1
		.amdhsa_next_free_vgpr 92
		.amdhsa_next_free_sgpr 29
		.amdhsa_reserve_vcc 1
		.amdhsa_float_round_mode_32 0
		.amdhsa_float_round_mode_16_64 0
		.amdhsa_float_denorm_mode_32 3
		.amdhsa_float_denorm_mode_16_64 3
		.amdhsa_fp16_overflow 0
		.amdhsa_workgroup_processor_mode 1
		.amdhsa_memory_ordered 1
		.amdhsa_forward_progress 1
		.amdhsa_inst_pref_size 41
		.amdhsa_round_robin_scheduling 0
		.amdhsa_exception_fp_ieee_invalid_op 0
		.amdhsa_exception_fp_denorm_src 0
		.amdhsa_exception_fp_ieee_div_zero 0
		.amdhsa_exception_fp_ieee_overflow 0
		.amdhsa_exception_fp_ieee_underflow 0
		.amdhsa_exception_fp_ieee_inexact 0
		.amdhsa_exception_int_div_zero 0
	.end_amdhsa_kernel
	.section	.text._ZN2at6native12_GLOBAL__N_135GammaBetaBackwardCUDAKernelTemplateIddLj64ELj1ELj32ELb1ELb1ELb0EEEvllPKT_S5_PKT0_S8_PS3_S9_,"axG",@progbits,_ZN2at6native12_GLOBAL__N_135GammaBetaBackwardCUDAKernelTemplateIddLj64ELj1ELj32ELb1ELb1ELb0EEEvllPKT_S5_PKT0_S8_PS3_S9_,comdat
.Lfunc_end27:
	.size	_ZN2at6native12_GLOBAL__N_135GammaBetaBackwardCUDAKernelTemplateIddLj64ELj1ELj32ELb1ELb1ELb0EEEvllPKT_S5_PKT0_S8_PS3_S9_, .Lfunc_end27-_ZN2at6native12_GLOBAL__N_135GammaBetaBackwardCUDAKernelTemplateIddLj64ELj1ELj32ELb1ELb1ELb0EEEvllPKT_S5_PKT0_S8_PS3_S9_
                                        ; -- End function
	.set _ZN2at6native12_GLOBAL__N_135GammaBetaBackwardCUDAKernelTemplateIddLj64ELj1ELj32ELb1ELb1ELb0EEEvllPKT_S5_PKT0_S8_PS3_S9_.num_vgpr, 92
	.set _ZN2at6native12_GLOBAL__N_135GammaBetaBackwardCUDAKernelTemplateIddLj64ELj1ELj32ELb1ELb1ELb0EEEvllPKT_S5_PKT0_S8_PS3_S9_.num_agpr, 0
	.set _ZN2at6native12_GLOBAL__N_135GammaBetaBackwardCUDAKernelTemplateIddLj64ELj1ELj32ELb1ELb1ELb0EEEvllPKT_S5_PKT0_S8_PS3_S9_.numbered_sgpr, 29
	.set _ZN2at6native12_GLOBAL__N_135GammaBetaBackwardCUDAKernelTemplateIddLj64ELj1ELj32ELb1ELb1ELb0EEEvllPKT_S5_PKT0_S8_PS3_S9_.num_named_barrier, 0
	.set _ZN2at6native12_GLOBAL__N_135GammaBetaBackwardCUDAKernelTemplateIddLj64ELj1ELj32ELb1ELb1ELb0EEEvllPKT_S5_PKT0_S8_PS3_S9_.private_seg_size, 0
	.set _ZN2at6native12_GLOBAL__N_135GammaBetaBackwardCUDAKernelTemplateIddLj64ELj1ELj32ELb1ELb1ELb0EEEvllPKT_S5_PKT0_S8_PS3_S9_.uses_vcc, 1
	.set _ZN2at6native12_GLOBAL__N_135GammaBetaBackwardCUDAKernelTemplateIddLj64ELj1ELj32ELb1ELb1ELb0EEEvllPKT_S5_PKT0_S8_PS3_S9_.uses_flat_scratch, 0
	.set _ZN2at6native12_GLOBAL__N_135GammaBetaBackwardCUDAKernelTemplateIddLj64ELj1ELj32ELb1ELb1ELb0EEEvllPKT_S5_PKT0_S8_PS3_S9_.has_dyn_sized_stack, 0
	.set _ZN2at6native12_GLOBAL__N_135GammaBetaBackwardCUDAKernelTemplateIddLj64ELj1ELj32ELb1ELb1ELb0EEEvllPKT_S5_PKT0_S8_PS3_S9_.has_recursion, 0
	.set _ZN2at6native12_GLOBAL__N_135GammaBetaBackwardCUDAKernelTemplateIddLj64ELj1ELj32ELb1ELb1ELb0EEEvllPKT_S5_PKT0_S8_PS3_S9_.has_indirect_call, 0
	.section	.AMDGPU.csdata,"",@progbits
; Kernel info:
; codeLenInByte = 5176
; TotalNumSgprs: 31
; NumVgprs: 92
; ScratchSize: 0
; MemoryBound: 0
; FloatMode: 240
; IeeeMode: 1
; LDSByteSize: 0 bytes/workgroup (compile time only)
; SGPRBlocks: 0
; VGPRBlocks: 11
; NumSGPRsForWavesPerEU: 31
; NumVGPRsForWavesPerEU: 92
; Occupancy: 16
; WaveLimiterHint : 0
; COMPUTE_PGM_RSRC2:SCRATCH_EN: 0
; COMPUTE_PGM_RSRC2:USER_SGPR: 2
; COMPUTE_PGM_RSRC2:TRAP_HANDLER: 0
; COMPUTE_PGM_RSRC2:TGID_X_EN: 1
; COMPUTE_PGM_RSRC2:TGID_Y_EN: 1
; COMPUTE_PGM_RSRC2:TGID_Z_EN: 0
; COMPUTE_PGM_RSRC2:TIDIG_COMP_CNT: 1
	.section	.text._ZN2at6native12_GLOBAL__N_135GammaBetaBackwardCUDAKernelTemplateIddLj64ELj1ELj32ELb1ELb0ELb0EEEvllPKT_S5_PKT0_S8_PS3_S9_,"axG",@progbits,_ZN2at6native12_GLOBAL__N_135GammaBetaBackwardCUDAKernelTemplateIddLj64ELj1ELj32ELb1ELb0ELb0EEEvllPKT_S5_PKT0_S8_PS3_S9_,comdat
	.globl	_ZN2at6native12_GLOBAL__N_135GammaBetaBackwardCUDAKernelTemplateIddLj64ELj1ELj32ELb1ELb0ELb0EEEvllPKT_S5_PKT0_S8_PS3_S9_ ; -- Begin function _ZN2at6native12_GLOBAL__N_135GammaBetaBackwardCUDAKernelTemplateIddLj64ELj1ELj32ELb1ELb0ELb0EEEvllPKT_S5_PKT0_S8_PS3_S9_
	.p2align	8
	.type	_ZN2at6native12_GLOBAL__N_135GammaBetaBackwardCUDAKernelTemplateIddLj64ELj1ELj32ELb1ELb0ELb0EEEvllPKT_S5_PKT0_S8_PS3_S9_,@function
_ZN2at6native12_GLOBAL__N_135GammaBetaBackwardCUDAKernelTemplateIddLj64ELj1ELj32ELb1ELb0ELb0EEEvllPKT_S5_PKT0_S8_PS3_S9_: ; @_ZN2at6native12_GLOBAL__N_135GammaBetaBackwardCUDAKernelTemplateIddLj64ELj1ELj32ELb1ELb0ELb0EEEvllPKT_S5_PKT0_S8_PS3_S9_
; %bb.0:
	s_clause 0x1
	s_load_b256 s[4:11], s[0:1], 0x0
	s_load_b128 s[12:15], s[0:1], 0x20
	s_lshl_b32 s30, ttmp9, 6
	s_mov_b32 s17, 0
	s_or_b32 s16, s30, 63
	s_wait_kmcnt 0x0
	v_cmp_le_i64_e64 s2, s[6:7], s[16:17]
	s_lshl_b32 s16, ttmp7, 5
	s_wait_alu 0xfffe
	v_cmp_gt_i64_e64 s31, s[4:5], s[16:17]
	s_and_b32 vcc_lo, exec_lo, s2
	v_cndmask_b32_e64 v1, 0, 1, s31
	s_delay_alu instid0(VALU_DEP_1)
	v_cmp_ne_u32_e64 s2, 1, v1
	s_cbranch_vccz .LBB28_140
; %bb.1:
	v_mov_b32_e32 v1, 0
	v_mov_b32_e32 v2, 0
	s_and_b32 vcc_lo, exec_lo, s2
	scratch_store_b64 off, v[1:2], off      ; 8-byte Folded Spill
	v_mov_b32_e32 v1, 0
	v_mov_b32_e32 v2, 0
	scratch_store_b64 off, v[1:2], off offset:8 ; 8-byte Folded Spill
	s_cbranch_vccnz .LBB28_142
; %bb.2:
	v_bfe_u32 v1, v0, 10, 10
	s_load_b32 s3, s[0:1], 0x44
	s_mov_b32 s19, 0
	s_add_nc_u64 s[20:21], s[0:1], 64
	s_mov_b32 s23, s19
	v_dual_mov_b32 v5, 0 :: v_dual_lshlrev_b32 v140, 5, v1
	s_clause 0x1
	scratch_store_b32 off, v1, off offset:76
	scratch_store_b32 off, v0, off offset:604
	v_and_b32_e32 v1, 0x3ff, v0
	v_add_co_u32 v0, s2, v140, s16
	s_delay_alu instid0(VALU_DEP_1)
	v_add_co_ci_u32_e64 v8, null, 0, 0, s2
	v_mov_b32_e32 v142, v5
	scratch_store_b32 off, v1, off offset:80 ; 4-byte Folded Spill
	v_add_nc_u32_e32 v4, s30, v1
	v_mul_lo_u32 v3, s7, v0
	v_mul_lo_u32 v6, s6, v8
	v_mad_co_u64_u32 v[1:2], null, s6, v0, 0
	s_delay_alu instid0(VALU_DEP_4) | instskip(SKIP_1) | instid1(VALU_DEP_1)
	v_cmp_gt_i64_e64 s2, s[6:7], v[4:5]
	v_add_co_u32 v9, vcc_lo, v0, 31
	v_add_co_ci_u32_e64 v10, null, 0, v8, vcc_lo
	v_add_co_u32 v11, vcc_lo, v0, 30
	v_add3_u32 v2, v2, v6, v3
	v_lshlrev_b64_e32 v[6:7], 3, v[4:5]
	s_wait_alu 0xfffd
	v_add_co_ci_u32_e64 v12, null, 0, v8, vcc_lo
	v_mul_lo_u32 v13, s7, v9
	v_lshlrev_b64_e32 v[3:4], 3, v[1:2]
	v_mul_lo_u32 v14, s6, v10
	v_mad_co_u64_u32 v[9:10], null, s6, v9, 0
	v_mul_lo_u32 v16, s6, v12
	s_wait_kmcnt 0x0
	s_lshl_b32 s22, s3, 5
	v_add_co_u32 v15, vcc_lo, s8, v3
	s_mul_u64 s[24:25], s[6:7], s[22:23]
	s_mov_b64 s[26:27], 31
	v_add3_u32 v10, v10, v14, v13
	scratch_store_b32 off, v15, off offset:16 ; 4-byte Folded Spill
	s_wait_alu 0xfffd
	v_add_co_ci_u32_e64 v15, null, s9, v4, vcc_lo
	v_add_co_u32 v3, vcc_lo, s10, v3
	s_lshl_b64 s[24:25], s[24:25], 3
	scratch_store_b32 off, v15, off offset:20 ; 4-byte Folded Spill
	v_mul_lo_u32 v15, s7, v11
	scratch_store_b32 off, v3, off offset:24 ; 4-byte Folded Spill
	s_wait_alu 0xfffd
	v_add_co_ci_u32_e64 v3, null, s11, v4, vcc_lo
	v_mad_co_u64_u32 v[11:12], null, s6, v11, 0
	v_add_co_u32 v13, vcc_lo, v0, 29
	scratch_store_b32 off, v3, off offset:28 ; 4-byte Folded Spill
	v_lshlrev_b64_e32 v[3:4], 3, v[9:10]
	s_wait_alu 0xfffd
	v_add_co_ci_u32_e64 v14, null, 0, v8, vcc_lo
	v_add3_u32 v12, v12, v16, v15
	v_mul_lo_u32 v15, s7, v13
	s_mov_b64 s[28:29], s[16:17]
	v_add_co_u32 v9, vcc_lo, s8, v3
	v_mul_lo_u32 v14, s6, v14
	scratch_store_b32 off, v9, off offset:32 ; 4-byte Folded Spill
	s_wait_alu 0xfffd
	v_add_co_ci_u32_e64 v9, null, s9, v4, vcc_lo
	v_add_co_u32 v3, vcc_lo, s10, v3
	scratch_store_b32 off, v9, off offset:36 ; 4-byte Folded Spill
	v_lshlrev_b64_e32 v[9:10], 3, v[11:12]
	scratch_store_b32 off, v3, off offset:40 ; 4-byte Folded Spill
	s_wait_alu 0xfffd
	v_add_co_ci_u32_e64 v3, null, s11, v4, vcc_lo
	v_mad_co_u64_u32 v[11:12], null, s6, v13, 0
	scratch_store_b32 off, v3, off offset:44 ; 4-byte Folded Spill
	v_add_co_u32 v3, vcc_lo, s8, v9
	v_add3_u32 v12, v12, v14, v15
	scratch_store_b32 off, v3, off offset:48 ; 4-byte Folded Spill
	s_wait_alu 0xfffd
	v_add_co_ci_u32_e64 v3, null, s9, v10, vcc_lo
	v_add_co_u32 v13, vcc_lo, v0, 28
	scratch_store_b32 off, v3, off offset:52 ; 4-byte Folded Spill
	v_add_co_u32 v3, s3, s10, v9
	s_wait_alu 0xfffd
	v_add_co_ci_u32_e64 v9, null, 0, v8, vcc_lo
	v_mul_lo_u32 v14, s7, v13
	scratch_store_b32 off, v3, off offset:56 ; 4-byte Folded Spill
	s_wait_alu 0xf1ff
	v_add_co_ci_u32_e64 v3, null, s11, v10, s3
	v_mul_lo_u32 v15, s6, v9
	v_mad_co_u64_u32 v[9:10], null, s6, v13, 0
	scratch_store_b32 off, v3, off offset:60 ; 4-byte Folded Spill
	v_lshlrev_b64_e32 v[3:4], 3, v[11:12]
	v_add_co_u32 v11, vcc_lo, v0, 27
	s_wait_alu 0xfffd
	v_add_co_ci_u32_e64 v12, null, 0, v8, vcc_lo
	v_add3_u32 v10, v10, v15, v14
	s_delay_alu instid0(VALU_DEP_3) | instskip(SKIP_1) | instid1(VALU_DEP_4)
	v_mul_lo_u32 v13, s7, v11
	v_add_co_u32 v17, vcc_lo, s8, v3
	v_mul_lo_u32 v16, s6, v12
	v_mad_co_u64_u32 v[11:12], null, s6, v11, 0
	s_wait_alu 0xfffd
	v_add_co_ci_u32_e64 v156, null, s9, v4, vcc_lo
	v_add_co_u32 v157, vcc_lo, s10, v3
	s_wait_alu 0xfffd
	v_add_co_ci_u32_e64 v158, null, s11, v4, vcc_lo
	s_delay_alu instid0(VALU_DEP_4)
	v_add3_u32 v12, v12, v16, v13
	v_add_co_u32 v13, vcc_lo, v0, 26
	s_wait_alu 0xfffd
	v_add_co_ci_u32_e64 v14, null, 0, v8, vcc_lo
	v_lshlrev_b64_e32 v[3:4], 3, v[9:10]
	v_lshlrev_b64_e32 v[9:10], 3, v[11:12]
	v_mul_lo_u32 v15, s7, v13
	s_delay_alu instid0(VALU_DEP_4)
	v_mul_lo_u32 v14, s6, v14
	v_mad_co_u64_u32 v[11:12], null, s6, v13, 0
	v_add_co_u32 v159, vcc_lo, s8, v3
	s_wait_alu 0xfffd
	v_add_co_ci_u32_e64 v160, null, s9, v4, vcc_lo
	v_add_co_u32 v161, vcc_lo, s10, v3
	s_delay_alu instid0(VALU_DEP_4)
	v_add3_u32 v12, v12, v14, v15
	s_wait_alu 0xfffd
	v_add_co_ci_u32_e64 v162, null, s11, v4, vcc_lo
	v_add_co_u32 v163, vcc_lo, s8, v9
	s_wait_alu 0xfffd
	v_add_co_ci_u32_e64 v164, null, s9, v10, vcc_lo
	v_add_co_u32 v13, vcc_lo, v0, 25
	v_add_co_u32 v165, s3, s10, v9
	v_lshlrev_b64_e32 v[3:4], 3, v[11:12]
	s_wait_alu 0xfffd
	v_add_co_ci_u32_e64 v9, null, 0, v8, vcc_lo
	v_add_co_u32 v11, vcc_lo, v0, 24
	s_wait_alu 0xfffd
	v_add_co_ci_u32_e64 v12, null, 0, v8, vcc_lo
	s_wait_alu 0xf1ff
	v_add_co_ci_u32_e64 v166, null, s11, v10, s3
	v_mul_lo_u32 v14, s7, v13
	v_mul_lo_u32 v15, s6, v9
	v_mad_co_u64_u32 v[9:10], null, s6, v13, 0
	v_mul_lo_u32 v13, s7, v11
	v_mul_lo_u32 v16, s6, v12
	v_mad_co_u64_u32 v[11:12], null, s6, v11, 0
	v_add_co_u32 v167, vcc_lo, s8, v3
	s_wait_alu 0xfffd
	v_add_co_ci_u32_e64 v168, null, s9, v4, vcc_lo
	v_add3_u32 v10, v10, v15, v14
	v_add_co_u32 v169, vcc_lo, s10, v3
	s_wait_alu 0xfffd
	v_add_co_ci_u32_e64 v170, null, s11, v4, vcc_lo
	v_add3_u32 v12, v12, v16, v13
	v_add_co_u32 v13, vcc_lo, v0, 23
	s_wait_alu 0xfffd
	v_add_co_ci_u32_e64 v14, null, 0, v8, vcc_lo
	v_lshlrev_b64_e32 v[3:4], 3, v[9:10]
	v_lshlrev_b64_e32 v[9:10], 3, v[11:12]
	v_mul_lo_u32 v15, s7, v13
	s_delay_alu instid0(VALU_DEP_4)
	v_mul_lo_u32 v14, s6, v14
	v_mad_co_u64_u32 v[11:12], null, s6, v13, 0
	v_add_co_u32 v171, vcc_lo, s8, v3
	s_wait_alu 0xfffd
	v_add_co_ci_u32_e64 v172, null, s9, v4, vcc_lo
	v_add_co_u32 v173, vcc_lo, s10, v3
	s_wait_alu 0xfffd
	v_add_co_ci_u32_e64 v174, null, s11, v4, vcc_lo
	;; [unrolled: 3-line block ×3, first 2 shown]
	v_add3_u32 v12, v12, v14, v15
	v_add_co_u32 v3, vcc_lo, v0, 22
	s_wait_alu 0xfffd
	v_add_co_ci_u32_e64 v4, null, 0, v8, vcc_lo
	v_add_co_u32 v13, vcc_lo, v0, 21
	v_add_co_u32 v177, s3, s10, v9
	s_wait_alu 0xfffd
	v_add_co_ci_u32_e64 v14, null, 0, v8, vcc_lo
	s_wait_alu 0xf1ff
	v_add_co_ci_u32_e64 v178, null, s11, v10, s3
	v_lshlrev_b64_e32 v[9:10], 3, v[11:12]
	v_mul_lo_u32 v15, s7, v3
	v_mul_lo_u32 v16, s6, v4
	v_mad_co_u64_u32 v[11:12], null, s6, v3, 0
	scratch_store_b32 off, v17, off offset:64 ; 4-byte Folded Spill
	v_mul_lo_u32 v17, s7, v13
	v_mul_lo_u32 v18, s6, v14
	v_mad_co_u64_u32 v[13:14], null, s6, v13, 0
	v_add_co_u32 v3, vcc_lo, s8, v9
	s_wait_alu 0xfffd
	v_add_co_ci_u32_e64 v4, null, s9, v10, vcc_lo
	v_add_co_u32 v179, vcc_lo, s10, v9
	v_add3_u32 v12, v12, v16, v15
	s_wait_alu 0xfffd
	v_add_co_ci_u32_e64 v180, null, s11, v10, vcc_lo
	v_add_co_u32 v15, vcc_lo, v0, 20
	v_add3_u32 v14, v14, v18, v17
	s_wait_alu 0xfffd
	v_add_co_ci_u32_e64 v16, null, 0, v8, vcc_lo
	v_lshlrev_b64_e32 v[9:10], 3, v[11:12]
	v_mul_lo_u32 v17, s7, v15
	v_lshlrev_b64_e32 v[11:12], 3, v[13:14]
	s_delay_alu instid0(VALU_DEP_4)
	v_mul_lo_u32 v16, s6, v16
	v_mad_co_u64_u32 v[13:14], null, s6, v15, 0
	v_add_co_u32 v181, vcc_lo, s8, v9
	s_wait_alu 0xfffd
	v_add_co_ci_u32_e64 v182, null, s9, v10, vcc_lo
	v_add_co_u32 v183, vcc_lo, s10, v9
	s_delay_alu instid0(VALU_DEP_4)
	v_add3_u32 v14, v14, v16, v17
	s_wait_alu 0xfffd
	v_add_co_ci_u32_e64 v184, null, s11, v10, vcc_lo
	v_add_co_u32 v185, vcc_lo, s8, v11
	s_wait_alu 0xfffd
	v_add_co_ci_u32_e64 v186, null, s9, v12, vcc_lo
	v_add_co_u32 v15, vcc_lo, v0, 19
	v_add_co_u32 v187, s3, s10, v11
	v_lshlrev_b64_e32 v[9:10], 3, v[13:14]
	s_wait_alu 0xfffd
	v_add_co_ci_u32_e64 v11, null, 0, v8, vcc_lo
	v_add_co_u32 v13, vcc_lo, v0, 18
	s_wait_alu 0xfffd
	v_add_co_ci_u32_e64 v14, null, 0, v8, vcc_lo
	s_wait_alu 0xf1ff
	v_add_co_ci_u32_e64 v188, null, s11, v12, s3
	v_mul_lo_u32 v16, s7, v15
	v_mul_lo_u32 v17, s6, v11
	v_mad_co_u64_u32 v[11:12], null, s6, v15, 0
	v_mul_lo_u32 v15, s7, v13
	v_mul_lo_u32 v18, s6, v14
	v_mad_co_u64_u32 v[13:14], null, s6, v13, 0
	v_add_co_u32 v189, vcc_lo, s8, v9
	s_wait_alu 0xfffd
	v_add_co_ci_u32_e64 v190, null, s9, v10, vcc_lo
	v_add_co_u32 v191, vcc_lo, s10, v9
	s_wait_alu 0xfffd
	v_add_co_ci_u32_e64 v192, null, s11, v10, vcc_lo
	v_add3_u32 v14, v14, v18, v15
	v_add_co_u32 v15, vcc_lo, v0, 17
	v_add3_u32 v12, v12, v17, v16
	s_wait_alu 0xfffd
	v_add_co_ci_u32_e64 v16, null, 0, v8, vcc_lo
	s_delay_alu instid0(VALU_DEP_3) | instskip(NEXT) | instid1(VALU_DEP_3)
	v_mul_lo_u32 v17, s7, v15
	v_lshlrev_b64_e32 v[9:10], 3, v[11:12]
	v_lshlrev_b64_e32 v[11:12], 3, v[13:14]
	s_delay_alu instid0(VALU_DEP_4) | instskip(SKIP_1) | instid1(VALU_DEP_4)
	v_mul_lo_u32 v16, s6, v16
	v_mad_co_u64_u32 v[13:14], null, s6, v15, 0
	v_add_co_u32 v193, vcc_lo, s8, v9
	s_wait_alu 0xfffd
	v_add_co_ci_u32_e64 v194, null, s9, v10, vcc_lo
	v_add_co_u32 v195, vcc_lo, s10, v9
	s_delay_alu instid0(VALU_DEP_4)
	v_add3_u32 v14, v14, v16, v17
	s_wait_alu 0xfffd
	v_add_co_ci_u32_e64 v196, null, s11, v10, vcc_lo
	v_add_co_u32 v197, vcc_lo, s8, v11
	s_wait_alu 0xfffd
	v_add_co_ci_u32_e64 v198, null, s9, v12, vcc_lo
	v_add_co_u32 v15, vcc_lo, v0, 16
	v_add_co_u32 v199, s3, s10, v11
	v_lshlrev_b64_e32 v[9:10], 3, v[13:14]
	s_wait_alu 0xfffd
	v_add_co_ci_u32_e64 v11, null, 0, v8, vcc_lo
	v_add_co_u32 v13, vcc_lo, v0, 15
	s_wait_alu 0xfffd
	v_add_co_ci_u32_e64 v14, null, 0, v8, vcc_lo
	s_wait_alu 0xf1ff
	v_add_co_ci_u32_e64 v200, null, s11, v12, s3
	v_mul_lo_u32 v16, s7, v15
	v_mul_lo_u32 v17, s6, v11
	v_mad_co_u64_u32 v[11:12], null, s6, v15, 0
	v_mul_lo_u32 v15, s7, v13
	v_mul_lo_u32 v18, s6, v14
	v_mad_co_u64_u32 v[13:14], null, s6, v13, 0
	v_add_co_u32 v201, vcc_lo, s8, v9
	s_wait_alu 0xfffd
	v_add_co_ci_u32_e64 v202, null, s9, v10, vcc_lo
	v_add_co_u32 v203, vcc_lo, s10, v9
	s_wait_alu 0xfffd
	v_add_co_ci_u32_e64 v204, null, s11, v10, vcc_lo
	v_add3_u32 v14, v14, v18, v15
	v_add_co_u32 v15, vcc_lo, v0, 14
	v_add3_u32 v12, v12, v17, v16
	s_wait_alu 0xfffd
	v_add_co_ci_u32_e64 v16, null, 0, v8, vcc_lo
	s_delay_alu instid0(VALU_DEP_3) | instskip(NEXT) | instid1(VALU_DEP_3)
	v_mul_lo_u32 v17, s7, v15
	v_lshlrev_b64_e32 v[9:10], 3, v[11:12]
	v_lshlrev_b64_e32 v[11:12], 3, v[13:14]
	s_delay_alu instid0(VALU_DEP_4) | instskip(SKIP_1) | instid1(VALU_DEP_4)
	;; [unrolled: 45-line block ×5, first 2 shown]
	v_mul_lo_u32 v16, s6, v16
	v_mad_co_u64_u32 v[13:14], null, s6, v15, 0
	v_add_co_u32 v241, vcc_lo, s8, v9
	s_wait_alu 0xfffd
	v_add_co_ci_u32_e64 v242, null, s9, v10, vcc_lo
	v_add_co_u32 v243, vcc_lo, s10, v9
	s_delay_alu instid0(VALU_DEP_4)
	v_add3_u32 v14, v14, v16, v17
	s_wait_alu 0xfffd
	v_add_co_ci_u32_e64 v244, null, s11, v10, vcc_lo
	v_add_co_u32 v245, vcc_lo, s8, v11
	s_wait_alu 0xfffd
	v_add_co_ci_u32_e64 v246, null, s9, v12, vcc_lo
	v_add_co_u32 v15, vcc_lo, v0, 4
	v_add_co_u32 v247, s3, s10, v11
	v_lshlrev_b64_e32 v[9:10], 3, v[13:14]
	s_wait_alu 0xfffd
	v_add_co_ci_u32_e64 v11, null, 0, v8, vcc_lo
	v_add_co_u32 v13, vcc_lo, v0, 3
	s_wait_alu 0xfffd
	v_add_co_ci_u32_e64 v14, null, 0, v8, vcc_lo
	s_wait_alu 0xf1ff
	v_add_co_ci_u32_e64 v248, null, s11, v12, s3
	v_mul_lo_u32 v16, s7, v15
	v_mul_lo_u32 v17, s6, v11
	v_mad_co_u64_u32 v[11:12], null, s6, v15, 0
	v_mul_lo_u32 v15, s7, v13
	v_mul_lo_u32 v18, s6, v14
	v_mad_co_u64_u32 v[13:14], null, s6, v13, 0
	v_add_co_u32 v249, vcc_lo, s8, v9
	s_wait_alu 0xfffd
	v_add_co_ci_u32_e64 v250, null, s9, v10, vcc_lo
	v_add_co_u32 v251, vcc_lo, s10, v9
	s_wait_alu 0xfffd
	v_add_co_ci_u32_e64 v252, null, s11, v10, vcc_lo
	v_add_co_u32 v0, vcc_lo, v0, 2
	v_add3_u32 v12, v12, v17, v16
	v_add3_u32 v14, v14, v18, v15
	s_wait_alu 0xfffd
	v_add_co_ci_u32_e64 v8, null, 0, v8, vcc_lo
	v_mul_lo_u32 v15, s7, v0
	v_lshlrev_b64_e32 v[9:10], 3, v[11:12]
	v_lshlrev_b64_e32 v[11:12], 3, v[13:14]
	s_delay_alu instid0(VALU_DEP_4) | instskip(SKIP_1) | instid1(VALU_DEP_4)
	v_mul_lo_u32 v8, s6, v8
	v_mad_co_u64_u32 v[13:14], null, s6, v0, 0
	v_add_co_u32 v253, vcc_lo, s8, v9
	s_wait_alu 0xfffd
	v_add_co_ci_u32_e64 v254, null, s9, v10, vcc_lo
	v_add_co_u32 v255, vcc_lo, s10, v9
	s_delay_alu instid0(VALU_DEP_4)
	v_add3_u32 v14, v14, v8, v15
	s_wait_alu 0xfffd
	v_add_co_ci_u32_e64 v0, null, s11, v10, vcc_lo
	v_add_co_u32 v141, vcc_lo, s8, v11
	s_wait_alu 0xfffd
	v_add_co_ci_u32_e64 v143, null, s9, v12, vcc_lo
	v_add_co_u32 v144, vcc_lo, s10, v11
	s_wait_alu 0xfffd
	v_add_co_ci_u32_e64 v145, null, s11, v12, vcc_lo
	v_lshlrev_b64_e32 v[8:9], 3, v[13:14]
	v_add_co_u32 v1, vcc_lo, v1, s6
	s_wait_alu 0xfffd
	v_add_co_ci_u32_e64 v2, null, s7, v2, vcc_lo
	s_delay_alu instid0(VALU_DEP_3) | instskip(NEXT) | instid1(VALU_DEP_2)
	v_add_co_u32 v146, vcc_lo, s8, v8
	v_lshlrev_b64_e32 v[1:2], 3, v[1:2]
	s_wait_alu 0xfffd
	v_add_co_ci_u32_e64 v147, null, s9, v9, vcc_lo
	v_add_co_u32 v148, vcc_lo, s10, v8
	s_wait_alu 0xfffd
	v_add_co_ci_u32_e64 v149, null, s11, v9, vcc_lo
	v_mov_b32_e32 v8, 0
	v_mov_b32_e32 v9, 0
	v_add_co_u32 v150, vcc_lo, s8, v1
	s_wait_alu 0xfffd
	v_add_co_ci_u32_e64 v151, null, s9, v2, vcc_lo
	v_add_co_u32 v152, vcc_lo, s10, v1
	scratch_store_b64 off, v[8:9], off offset:8 ; 8-byte Folded Spill
	v_mov_b32_e32 v8, 0
	v_mov_b32_e32 v9, 0
	s_wait_alu 0xfffd
	v_add_co_ci_u32_e64 v153, null, s11, v2, vcc_lo
	scratch_store_b64 off, v[8:9], off      ; 8-byte Folded Spill
	s_branch .LBB28_5
.LBB28_3:                               ;   in Loop: Header=BB28_5 Depth=1
	s_wait_alu 0xfffe
	s_or_b32 exec_lo, exec_lo, s3
	v_mov_b32_e32 v15, v14
	v_mov_b32_e32 v14, v13
	scratch_load_b64 v[12:13], off, off offset:8 th:TH_LOAD_LU ; 8-byte Folded Reload
	ds_bpermute_b32 v138, v5, v8
	ds_bpermute_b32 v139, v5, v9
	s_wait_loadcnt_dscnt 0x100
	v_add_f64_e64 v[60:61], v[60:61], -v[138:139]
	ds_bpermute_b32 v138, v5, v10
	ds_bpermute_b32 v139, v5, v11
	v_mul_f64_e32 v[60:61], v[14:15], v[60:61]
	s_wait_loadcnt_dscnt 0x0
	s_delay_alu instid0(VALU_DEP_1)
	v_fma_f64 v[60:61], v[60:61], v[138:139], v[12:13]
	ds_bpermute_b32 v138, v5, v8 offset:4
	ds_bpermute_b32 v139, v5, v9 offset:4
	s_wait_dscnt 0x0
	v_add_f64_e64 v[56:57], v[56:57], -v[138:139]
	ds_bpermute_b32 v138, v5, v10 offset:4
	ds_bpermute_b32 v139, v5, v11 offset:4
	v_mul_f64_e32 v[56:57], v[154:155], v[56:57]
	s_wait_dscnt 0x0
	s_delay_alu instid0(VALU_DEP_1)
	v_fma_f64 v[56:57], v[56:57], v[138:139], v[60:61]
	ds_bpermute_b32 v60, v5, v8 offset:8
	ds_bpermute_b32 v61, v5, v9 offset:8
	s_wait_dscnt 0x0
	v_add_f64_e64 v[58:59], v[58:59], -v[60:61]
	ds_bpermute_b32 v60, v5, v10 offset:8
	ds_bpermute_b32 v61, v5, v11 offset:8
	v_mul_f64_e32 v[58:59], v[18:19], v[58:59]
	s_wait_dscnt 0x0
	s_delay_alu instid0(VALU_DEP_1)
	v_fma_f64 v[56:57], v[58:59], v[60:61], v[56:57]
	ds_bpermute_b32 v58, v5, v8 offset:12
	ds_bpermute_b32 v59, v5, v9 offset:12
	ds_bpermute_b32 v60, v5, v10 offset:12
	ds_bpermute_b32 v61, v5, v11 offset:12
	s_wait_dscnt 0x2
	v_add_f64_e64 v[58:59], v[62:63], -v[58:59]
	s_delay_alu instid0(VALU_DEP_1) | instskip(SKIP_1) | instid1(VALU_DEP_1)
	v_mul_f64_e32 v[58:59], v[24:25], v[58:59]
	s_wait_dscnt 0x0
	v_fma_f64 v[56:57], v[58:59], v[60:61], v[56:57]
	ds_bpermute_b32 v58, v5, v8 offset:16
	ds_bpermute_b32 v59, v5, v9 offset:16
	ds_bpermute_b32 v60, v5, v10 offset:16
	ds_bpermute_b32 v61, v5, v11 offset:16
	s_wait_dscnt 0x2
	v_add_f64_e64 v[58:59], v[64:65], -v[58:59]
	s_delay_alu instid0(VALU_DEP_1) | instskip(SKIP_1) | instid1(VALU_DEP_1)
	v_mul_f64_e32 v[58:59], v[20:21], v[58:59]
	s_wait_dscnt 0x0
	;; [unrolled: 10-line block ×14, first 2 shown]
	v_fma_f64 v[56:57], v[58:59], v[60:61], v[56:57]
	scratch_load_b64 v[58:59], off, off th:TH_LOAD_LU ; 8-byte Folded Reload
	s_wait_loadcnt 0x0
	v_add_f64_e32 v[12:13], v[58:59], v[14:15]
	ds_bpermute_b32 v14, v5, v8 offset:68
	ds_bpermute_b32 v15, v5, v9 offset:68
	s_wait_dscnt 0x0
	v_add_f64_e64 v[14:15], v[66:67], -v[14:15]
	v_add_f64_e32 v[12:13], v[12:13], v[154:155]
	s_delay_alu instid0(VALU_DEP_2) | instskip(NEXT) | instid1(VALU_DEP_2)
	v_mul_f64_e32 v[14:15], v[52:53], v[14:15]
	v_add_f64_e32 v[12:13], v[12:13], v[18:19]
	ds_bpermute_b32 v18, v5, v8 offset:72
	ds_bpermute_b32 v19, v5, v9 offset:72
	s_wait_dscnt 0x0
	v_add_f64_e64 v[18:19], v[86:87], -v[18:19]
	v_add_f64_e32 v[12:13], v[12:13], v[24:25]
	ds_bpermute_b32 v24, v5, v10 offset:68
	ds_bpermute_b32 v25, v5, v11 offset:68
	v_mul_f64_e32 v[18:19], v[50:51], v[18:19]
	s_wait_dscnt 0x0
	v_fma_f64 v[14:15], v[14:15], v[24:25], v[56:57]
	ds_bpermute_b32 v24, v5, v8 offset:80
	ds_bpermute_b32 v25, v5, v9 offset:80
	v_add_f64_e32 v[12:13], v[12:13], v[20:21]
	ds_bpermute_b32 v20, v5, v8 offset:76
	ds_bpermute_b32 v21, v5, v9 offset:76
	s_wait_dscnt 0x2
	v_add_f64_e64 v[24:25], v[112:113], -v[24:25]
	s_wait_dscnt 0x0
	v_add_f64_e64 v[20:21], v[100:101], -v[20:21]
	v_add_f64_e32 v[12:13], v[12:13], v[28:29]
	s_delay_alu instid0(VALU_DEP_3) | instskip(NEXT) | instid1(VALU_DEP_3)
	v_mul_f64_e32 v[24:25], v[54:55], v[24:25]
	v_mul_f64_e32 v[20:21], v[70:71], v[20:21]
	s_delay_alu instid0(VALU_DEP_3)
	v_add_f64_e32 v[12:13], v[12:13], v[26:27]
	ds_bpermute_b32 v26, v5, v10 offset:72
	ds_bpermute_b32 v27, v5, v11 offset:72
	s_wait_dscnt 0x0
	v_fma_f64 v[14:15], v[18:19], v[26:27], v[14:15]
	ds_bpermute_b32 v18, v5, v8 offset:84
	ds_bpermute_b32 v19, v5, v9 offset:84
	;; [unrolled: 1-line block ×4, first 2 shown]
	v_add_f64_e32 v[12:13], v[12:13], v[32:33]
	s_wait_dscnt 0x2
	v_add_f64_e64 v[18:19], v[114:115], -v[18:19]
	s_wait_dscnt 0x0
	v_fma_f64 v[14:15], v[20:21], v[26:27], v[14:15]
	ds_bpermute_b32 v20, v5, v8 offset:88
	ds_bpermute_b32 v21, v5, v9 offset:88
	ds_bpermute_b32 v26, v5, v10 offset:80
	ds_bpermute_b32 v27, v5, v11 offset:80
	v_add_f64_e32 v[12:13], v[12:13], v[30:31]
	s_wait_dscnt 0x2
	v_add_f64_e64 v[20:21], v[116:117], -v[20:21]
	v_mul_f64_e32 v[18:19], v[82:83], v[18:19]
	s_wait_dscnt 0x0
	v_fma_f64 v[14:15], v[24:25], v[26:27], v[14:15]
	ds_bpermute_b32 v24, v5, v8 offset:92
	ds_bpermute_b32 v25, v5, v9 offset:92
	ds_bpermute_b32 v26, v5, v10 offset:84
	ds_bpermute_b32 v27, v5, v11 offset:84
	v_add_f64_e32 v[12:13], v[12:13], v[36:37]
	s_wait_dscnt 0x2
	v_add_f64_e64 v[24:25], v[120:121], -v[24:25]
	v_mul_f64_e32 v[20:21], v[68:69], v[20:21]
	s_wait_dscnt 0x0
	v_fma_f64 v[14:15], v[18:19], v[26:27], v[14:15]
	ds_bpermute_b32 v18, v5, v8 offset:96
	ds_bpermute_b32 v19, v5, v9 offset:96
	ds_bpermute_b32 v26, v5, v10 offset:88
	ds_bpermute_b32 v27, v5, v11 offset:88
	v_add_f64_e32 v[12:13], v[12:13], v[34:35]
	s_wait_dscnt 0x2
	v_add_f64_e64 v[1:2], v[1:2], -v[18:19]
	v_mul_f64_e32 v[18:19], v[96:97], v[24:25]
	ds_bpermute_b32 v24, v5, v10 offset:92
	ds_bpermute_b32 v25, v5, v11 offset:92
	s_wait_dscnt 0x2
	v_fma_f64 v[14:15], v[20:21], v[26:27], v[14:15]
	ds_bpermute_b32 v20, v5, v8 offset:100
	ds_bpermute_b32 v21, v5, v9 offset:100
	v_add_f64_e32 v[12:13], v[12:13], v[40:41]
	s_wait_dscnt 0x0
	v_add_f64_e64 v[20:21], v[122:123], -v[20:21]
	v_mul_f64_e32 v[1:2], v[80:81], v[1:2]
	v_fma_f64 v[14:15], v[18:19], v[24:25], v[14:15]
	ds_bpermute_b32 v18, v5, v8 offset:104
	ds_bpermute_b32 v19, v5, v9 offset:104
	ds_bpermute_b32 v24, v5, v10 offset:96
	ds_bpermute_b32 v25, v5, v11 offset:96
	v_add_f64_e32 v[12:13], v[12:13], v[38:39]
	s_wait_dscnt 0x2
	v_add_f64_e64 v[18:19], v[128:129], -v[18:19]
	v_mul_f64_e32 v[20:21], v[110:111], v[20:21]
	s_wait_dscnt 0x0
	v_fma_f64 v[1:2], v[1:2], v[24:25], v[14:15]
	ds_bpermute_b32 v14, v5, v8 offset:108
	ds_bpermute_b32 v15, v5, v9 offset:108
	ds_bpermute_b32 v24, v5, v10 offset:100
	ds_bpermute_b32 v25, v5, v11 offset:100
	v_add_f64_e32 v[12:13], v[12:13], v[44:45]
	s_wait_dscnt 0x2
	v_add_f64_e64 v[14:15], v[130:131], -v[14:15]
	v_mul_f64_e32 v[18:19], v[94:95], v[18:19]
	s_wait_dscnt 0x0
	v_fma_f64 v[1:2], v[20:21], v[24:25], v[1:2]
	ds_bpermute_b32 v20, v5, v8 offset:112
	ds_bpermute_b32 v21, v5, v9 offset:112
	ds_bpermute_b32 v24, v5, v10 offset:104
	ds_bpermute_b32 v25, v5, v11 offset:104
	v_add_f64_e32 v[12:13], v[12:13], v[42:43]
	s_wait_dscnt 0x2
	v_add_f64_e64 v[20:21], v[132:133], -v[20:21]
	v_mul_f64_e32 v[14:15], v[118:119], v[14:15]
	s_wait_dscnt 0x0
	v_fma_f64 v[1:2], v[18:19], v[24:25], v[1:2]
	ds_bpermute_b32 v18, v5, v8 offset:116
	ds_bpermute_b32 v19, v5, v9 offset:116
	ds_bpermute_b32 v24, v5, v10 offset:108
	ds_bpermute_b32 v25, v5, v11 offset:108
	v_add_f64_e32 v[12:13], v[12:13], v[48:49]
	s_wait_dscnt 0x2
	v_add_f64_e64 v[18:19], v[134:135], -v[18:19]
	v_mul_f64_e32 v[20:21], v[106:107], v[20:21]
	s_wait_dscnt 0x0
	v_fma_f64 v[1:2], v[14:15], v[24:25], v[1:2]
	ds_bpermute_b32 v14, v5, v8 offset:120
	ds_bpermute_b32 v15, v5, v9 offset:120
	ds_bpermute_b32 v24, v5, v10 offset:112
	ds_bpermute_b32 v25, v5, v11 offset:112
	v_add_f64_e32 v[12:13], v[12:13], v[46:47]
	s_wait_dscnt 0x2
	v_add_f64_e64 v[14:15], v[136:137], -v[14:15]
	v_mul_f64_e32 v[18:19], v[126:127], v[18:19]
	s_wait_dscnt 0x0
	v_fma_f64 v[1:2], v[20:21], v[24:25], v[1:2]
	ds_bpermute_b32 v20, v5, v10 offset:116
	ds_bpermute_b32 v21, v5, v11 offset:116
	v_add_f64_e32 v[12:13], v[12:13], v[52:53]
	v_mul_f64_e32 v[14:15], v[124:125], v[14:15]
	s_wait_dscnt 0x0
	v_fma_f64 v[1:2], v[18:19], v[20:21], v[1:2]
	ds_bpermute_b32 v18, v5, v10 offset:120
	ds_bpermute_b32 v19, v5, v11 offset:120
	v_add_f64_e32 v[12:13], v[12:13], v[50:51]
	s_wait_dscnt 0x0
	v_fma_f64 v[14:15], v[14:15], v[18:19], v[1:2]
	ds_bpermute_b32 v1, v5, v10 offset:124
	ds_bpermute_b32 v2, v5, v11 offset:124
	;; [unrolled: 1-line block ×4, first 2 shown]
	v_add_f64_e32 v[12:13], v[12:13], v[70:71]
	s_delay_alu instid0(VALU_DEP_1) | instskip(NEXT) | instid1(VALU_DEP_1)
	v_add_f64_e32 v[12:13], v[12:13], v[54:55]
	v_add_f64_e32 v[12:13], v[12:13], v[82:83]
	s_delay_alu instid0(VALU_DEP_1) | instskip(NEXT) | instid1(VALU_DEP_1)
	v_add_f64_e32 v[12:13], v[12:13], v[68:69]
	;; [unrolled: 3-line block ×5, first 2 shown]
	v_add_f64_e32 v[12:13], v[12:13], v[126:127]
	s_delay_alu instid0(VALU_DEP_1)
	v_add_f64_e32 v[18:19], v[12:13], v[124:125]
.LBB28_4:                               ;   in Loop: Header=BB28_5 Depth=1
	s_wait_dscnt 0x0
	v_add_f64_e64 v[8:9], v[22:23], -v[10:11]
	s_delay_alu instid0(VALU_DEP_2) | instskip(SKIP_4) | instid1(VALU_DEP_3)
	v_add_f64_e32 v[10:11], v[18:19], v[16:17]
	s_add_nc_u64 s[28:29], s[28:29], s[22:23]
	s_add_nc_u64 s[26:27], s[26:27], s[22:23]
	s_wait_alu 0xfffe
	v_cmp_lt_i64_e64 s3, s[28:29], s[4:5]
	v_mul_f64_e32 v[8:9], v[16:17], v[8:9]
	s_delay_alu instid0(VALU_DEP_1)
	v_fma_f64 v[1:2], v[8:9], v[1:2], v[14:15]
	scratch_store_b64 off, v[10:11], off    ; 8-byte Folded Spill
	scratch_load_b32 v10, off, off offset:16 ; 4-byte Folded Reload
	scratch_store_b64 off, v[1:2], off offset:8 ; 8-byte Folded Spill
	s_wait_loadcnt 0x0
	v_add_co_u32 v10, vcc_lo, v10, s24
	scratch_store_b32 off, v10, off offset:16 ; 4-byte Folded Spill
	scratch_load_b32 v10, off, off offset:20 ; 4-byte Folded Reload
	s_wait_loadcnt 0x0
	s_wait_alu 0xfffd
	v_add_co_ci_u32_e64 v10, null, s25, v10, vcc_lo
	scratch_store_b32 off, v10, off offset:20 ; 4-byte Folded Spill
	scratch_load_b32 v10, off, off offset:24 ; 4-byte Folded Reload
	s_wait_loadcnt 0x0
	v_add_co_u32 v10, vcc_lo, v10, s24
	scratch_store_b32 off, v10, off offset:24 ; 4-byte Folded Spill
	scratch_load_b32 v10, off, off offset:28 ; 4-byte Folded Reload
	s_wait_loadcnt 0x0
	s_wait_alu 0xfffd
	v_add_co_ci_u32_e64 v10, null, s25, v10, vcc_lo
	scratch_store_b32 off, v10, off offset:28 ; 4-byte Folded Spill
	scratch_load_b32 v10, off, off offset:32 ; 4-byte Folded Reload
	;; [unrolled: 9-line block ×6, first 2 shown]
	s_wait_loadcnt 0x0
	v_add_co_u32 v10, vcc_lo, v10, s24
	s_wait_alu 0xfffd
	v_add_co_ci_u32_e64 v156, null, s25, v156, vcc_lo
	v_add_co_u32 v157, vcc_lo, v157, s24
	s_wait_alu 0xfffd
	v_add_co_ci_u32_e64 v158, null, s25, v158, vcc_lo
	;; [unrolled: 3-line block ×59, first 2 shown]
	s_and_b32 vcc_lo, exec_lo, s3
	scratch_store_b32 off, v10, off offset:64 ; 4-byte Folded Spill
	s_wait_alu 0xfffe
	s_cbranch_vccz .LBB28_141
.LBB28_5:                               ; =>This Inner Loop Header: Depth=1
	s_add_nc_u64 s[34:35], s[16:17], s[26:27]
	v_add_co_u32 v8, vcc_lo, s16, v140
	s_wait_alu 0xfffe
	v_cmp_ge_i64_e64 s3, s[34:35], s[4:5]
	s_wait_alu 0xfffd
	v_add_co_ci_u32_e64 v9, null, 0, v142, vcc_lo
                                        ; implicit-def: $vgpr1_vgpr2
                                        ; implicit-def: $vgpr16_vgpr17
                                        ; implicit-def: $vgpr22_vgpr23
                                        ; implicit-def: $vgpr10
                                        ; implicit-def: $vgpr18_vgpr19
                                        ; implicit-def: $vgpr14_vgpr15
	s_and_b32 vcc_lo, exec_lo, s3
	s_mov_b32 s3, -1
	s_wait_alu 0xfffe
	s_cbranch_vccz .LBB28_73
; %bb.6:                                ;   in Loop: Header=BB28_5 Depth=1
	s_load_b32 s3, s[20:21], 0xc
	s_clause 0x1
	scratch_load_b32 v1, off, off offset:76
	scratch_load_b32 v2, off, off offset:80
	v_mov_b32_e32 v50, 0
	v_dual_mov_b32 v51, 0 :: v_dual_mov_b32 v12, 0
	v_dual_mov_b32 v13, 0 :: v_dual_mov_b32 v10, 0
	v_mov_b32_e32 v11, 0
	s_wait_kmcnt 0x0
	s_and_b32 s3, s3, 0xffff
	s_wait_loadcnt 0x0
	s_wait_alu 0xfffe
	v_mad_u32_u24 v1, v1, s3, v2
	s_mov_b32 s3, exec_lo
	s_delay_alu instid0(VALU_DEP_1) | instskip(NEXT) | instid1(VALU_DEP_1)
	v_and_b32_e32 v1, 31, v1
	v_add_co_u32 v1, vcc_lo, v8, v1
	s_wait_alu 0xfffd
	v_add_co_ci_u32_e64 v2, null, 0, v9, vcc_lo
	s_delay_alu instid0(VALU_DEP_1)
	v_cmpx_gt_i64_e64 s[4:5], v[1:2]
	s_cbranch_execz .LBB28_8
; %bb.7:                                ;   in Loop: Header=BB28_5 Depth=1
	v_lshlrev_b64_e32 v[1:2], 3, v[1:2]
	s_delay_alu instid0(VALU_DEP_1) | instskip(SKIP_1) | instid1(VALU_DEP_2)
	v_add_co_u32 v10, vcc_lo, s12, v1
	s_wait_alu 0xfffd
	v_add_co_ci_u32_e64 v11, null, s13, v2, vcc_lo
	v_add_co_u32 v1, vcc_lo, s14, v1
	s_wait_alu 0xfffd
	v_add_co_ci_u32_e64 v2, null, s15, v2, vcc_lo
	global_load_b64 v[10:11], v[10:11], off
	global_load_b64 v[12:13], v[1:2], off
.LBB28_8:                               ;   in Loop: Header=BB28_5 Depth=1
	s_wait_alu 0xfffe
	s_or_b32 exec_lo, exec_lo, s3
	v_cmp_gt_i64_e32 vcc_lo, s[4:5], v[8:9]
	v_mov_b32_e32 v48, 0
	v_mov_b32_e32 v49, 0
	s_and_b32 s18, s2, vcc_lo
	s_delay_alu instid0(SALU_CYCLE_1)
	s_and_saveexec_b32 s3, s18
	s_cbranch_execz .LBB28_10
; %bb.9:                                ;   in Loop: Header=BB28_5 Depth=1
	s_clause 0x2
	scratch_load_b32 v1, off, off offset:16
	scratch_load_b32 v2, off, off offset:20
	;; [unrolled: 1-line block ×3, first 2 shown]
	s_wait_loadcnt 0x2
	v_add_co_u32 v1, vcc_lo, v1, v6
	s_wait_loadcnt 0x1
	s_wait_alu 0xfffd
	v_add_co_ci_u32_e64 v2, null, v2, v7, vcc_lo
	s_wait_loadcnt 0x0
	v_add_co_u32 v16, vcc_lo, v14, v6
	scratch_load_b32 v14, off, off offset:28 ; 4-byte Folded Reload
	s_wait_loadcnt 0x0
	s_wait_alu 0xfffd
	v_add_co_ci_u32_e64 v17, null, v14, v7, vcc_lo
	global_load_b64 v[50:51], v[1:2], off
	global_load_b64 v[48:49], v[16:17], off
.LBB28_10:                              ;   in Loop: Header=BB28_5 Depth=1
	s_wait_alu 0xfffe
	s_or_b32 exec_lo, exec_lo, s3
	v_add_co_u32 v1, vcc_lo, v8, 1
	s_wait_alu 0xfffd
	v_add_co_ci_u32_e64 v2, null, 0, v9, vcc_lo
	v_mov_b32_e32 v20, 0
	v_dual_mov_b32 v21, 0 :: v_dual_mov_b32 v18, 0
	s_delay_alu instid0(VALU_DEP_3) | instskip(SKIP_3) | instid1(SALU_CYCLE_1)
	v_cmp_gt_i64_e32 vcc_lo, s[4:5], v[1:2]
	v_dual_mov_b32 v52, 0 :: v_dual_mov_b32 v19, 0
	v_mov_b32_e32 v53, 0
	s_and_b32 s18, s2, vcc_lo
	s_and_saveexec_b32 s3, s18
	s_cbranch_execz .LBB28_12
; %bb.11:                               ;   in Loop: Header=BB28_5 Depth=1
	v_add_co_u32 v1, vcc_lo, v150, v6
	s_wait_alu 0xfffd
	v_add_co_ci_u32_e64 v2, null, v151, v7, vcc_lo
	v_add_co_u32 v16, vcc_lo, v152, v6
	s_wait_alu 0xfffd
	v_add_co_ci_u32_e64 v17, null, v153, v7, vcc_lo
	global_load_b64 v[18:19], v[1:2], off
	global_load_b64 v[52:53], v[16:17], off
.LBB28_12:                              ;   in Loop: Header=BB28_5 Depth=1
	s_wait_alu 0xfffe
	s_or_b32 exec_lo, exec_lo, s3
	v_add_co_u32 v1, vcc_lo, v8, 2
	s_wait_alu 0xfffd
	v_add_co_ci_u32_e64 v2, null, 0, v9, vcc_lo
	v_mov_b32_e32 v154, 0
	v_mov_b32_e32 v155, 0
	s_delay_alu instid0(VALU_DEP_3) | instskip(SKIP_1) | instid1(SALU_CYCLE_1)
	v_cmp_gt_i64_e32 vcc_lo, s[4:5], v[1:2]
	s_and_b32 s18, s2, vcc_lo
	s_and_saveexec_b32 s3, s18
	s_cbranch_execz .LBB28_14
; %bb.13:                               ;   in Loop: Header=BB28_5 Depth=1
	v_add_co_u32 v1, vcc_lo, v146, v6
	s_wait_alu 0xfffd
	v_add_co_ci_u32_e64 v2, null, v147, v7, vcc_lo
	v_add_co_u32 v16, vcc_lo, v148, v6
	s_wait_alu 0xfffd
	v_add_co_ci_u32_e64 v17, null, v149, v7, vcc_lo
	global_load_b64 v[20:21], v[1:2], off
	global_load_b64 v[154:155], v[16:17], off
.LBB28_14:                              ;   in Loop: Header=BB28_5 Depth=1
	s_wait_alu 0xfffe
	s_or_b32 exec_lo, exec_lo, s3
	v_add_co_u32 v1, vcc_lo, v8, 3
	s_wait_alu 0xfffd
	v_add_co_ci_u32_e64 v2, null, 0, v9, vcc_lo
	v_mov_b32_e32 v24, 0
	v_dual_mov_b32 v25, 0 :: v_dual_mov_b32 v26, 0
	s_delay_alu instid0(VALU_DEP_3) | instskip(SKIP_3) | instid1(SALU_CYCLE_1)
	v_cmp_gt_i64_e32 vcc_lo, s[4:5], v[1:2]
	v_dual_mov_b32 v54, 0 :: v_dual_mov_b32 v27, 0
	v_mov_b32_e32 v55, 0
	s_and_b32 s18, s2, vcc_lo
	s_and_saveexec_b32 s3, s18
	s_cbranch_execz .LBB28_16
; %bb.15:                               ;   in Loop: Header=BB28_5 Depth=1
	v_add_co_u32 v1, vcc_lo, v141, v6
	s_wait_alu 0xfffd
	v_add_co_ci_u32_e64 v2, null, v143, v7, vcc_lo
	v_add_co_u32 v16, vcc_lo, v144, v6
	s_wait_alu 0xfffd
	v_add_co_ci_u32_e64 v17, null, v145, v7, vcc_lo
	global_load_b64 v[26:27], v[1:2], off
	global_load_b64 v[54:55], v[16:17], off
.LBB28_16:                              ;   in Loop: Header=BB28_5 Depth=1
	s_wait_alu 0xfffe
	s_or_b32 exec_lo, exec_lo, s3
	v_add_co_u32 v1, vcc_lo, v8, 4
	s_wait_alu 0xfffd
	v_add_co_ci_u32_e64 v2, null, 0, v9, vcc_lo
	v_mov_b32_e32 v56, 0
	v_mov_b32_e32 v57, 0
	s_delay_alu instid0(VALU_DEP_3) | instskip(SKIP_1) | instid1(SALU_CYCLE_1)
	v_cmp_gt_i64_e32 vcc_lo, s[4:5], v[1:2]
	s_and_b32 s18, s2, vcc_lo
	s_and_saveexec_b32 s3, s18
	s_cbranch_execz .LBB28_18
; %bb.17:                               ;   in Loop: Header=BB28_5 Depth=1
	v_add_co_u32 v1, vcc_lo, v253, v6
	s_wait_alu 0xfffd
	v_add_co_ci_u32_e64 v2, null, v254, v7, vcc_lo
	v_add_co_u32 v16, vcc_lo, v255, v6
	s_wait_alu 0xfffd
	v_add_co_ci_u32_e64 v17, null, v0, v7, vcc_lo
	global_load_b64 v[24:25], v[1:2], off
	global_load_b64 v[56:57], v[16:17], off
.LBB28_18:                              ;   in Loop: Header=BB28_5 Depth=1
	;; [unrolled: 46-line block ×4, first 2 shown]
	s_wait_alu 0xfffe
	s_or_b32 exec_lo, exec_lo, s3
	v_add_co_u32 v1, vcc_lo, v8, 9
	s_wait_alu 0xfffd
	v_add_co_ci_u32_e64 v2, null, 0, v9, vcc_lo
	v_mov_b32_e32 v72, 0
	v_dual_mov_b32 v73, 0 :: v_dual_mov_b32 v38, 0
	s_delay_alu instid0(VALU_DEP_3)
	v_cmp_gt_i64_e32 vcc_lo, s[4:5], v[1:2]
	v_mov_b32_e32 v1, 0
	v_dual_mov_b32 v2, 0 :: v_dual_mov_b32 v39, 0
	s_and_b32 s18, s2, vcc_lo
	scratch_store_b64 off, v[1:2], off offset:68 ; 8-byte Folded Spill
	s_and_saveexec_b32 s3, s18
	s_cbranch_execz .LBB28_28
; %bb.27:                               ;   in Loop: Header=BB28_5 Depth=1
	v_add_co_u32 v1, vcc_lo, v233, v6
	s_wait_alu 0xfffd
	v_add_co_ci_u32_e64 v2, null, v234, v7, vcc_lo
	v_add_co_u32 v16, vcc_lo, v235, v6
	s_wait_alu 0xfffd
	v_add_co_ci_u32_e64 v17, null, v236, v7, vcc_lo
	global_load_b64 v[38:39], v[1:2], off
	global_load_b64 v[72:73], v[16:17], off
.LBB28_28:                              ;   in Loop: Header=BB28_5 Depth=1
	s_wait_alu 0xfffe
	s_or_b32 exec_lo, exec_lo, s3
	v_add_co_u32 v1, vcc_lo, v8, 10
	s_wait_alu 0xfffd
	v_add_co_ci_u32_e64 v2, null, 0, v9, vcc_lo
	v_mov_b32_e32 v76, 0
	v_mov_b32_e32 v77, 0
	s_delay_alu instid0(VALU_DEP_3) | instskip(SKIP_1) | instid1(SALU_CYCLE_1)
	v_cmp_gt_i64_e32 vcc_lo, s[4:5], v[1:2]
	s_and_b32 s18, s2, vcc_lo
	s_and_saveexec_b32 s3, s18
	s_cbranch_execz .LBB28_30
; %bb.29:                               ;   in Loop: Header=BB28_5 Depth=1
	v_add_co_u32 v1, vcc_lo, v229, v6
	s_wait_alu 0xfffd
	v_add_co_ci_u32_e64 v2, null, v230, v7, vcc_lo
	v_add_co_u32 v16, vcc_lo, v231, v6
	s_wait_alu 0xfffd
	v_add_co_ci_u32_e64 v17, null, v232, v7, vcc_lo
	global_load_b64 v[1:2], v[1:2], off
	global_load_b64 v[76:77], v[16:17], off
	s_wait_loadcnt 0x1
	scratch_store_b64 off, v[1:2], off offset:68 ; 8-byte Folded Spill
.LBB28_30:                              ;   in Loop: Header=BB28_5 Depth=1
	s_wait_alu 0xfffe
	s_or_b32 exec_lo, exec_lo, s3
	v_add_co_u32 v1, vcc_lo, v8, 11
	s_wait_alu 0xfffd
	v_add_co_ci_u32_e64 v2, null, 0, v9, vcc_lo
	v_mov_b32_e32 v40, 0
	v_dual_mov_b32 v41, 0 :: v_dual_mov_b32 v42, 0
	s_delay_alu instid0(VALU_DEP_3) | instskip(SKIP_3) | instid1(SALU_CYCLE_1)
	v_cmp_gt_i64_e32 vcc_lo, s[4:5], v[1:2]
	v_dual_mov_b32 v78, 0 :: v_dual_mov_b32 v43, 0
	v_mov_b32_e32 v79, 0
	s_and_b32 s18, s2, vcc_lo
	s_and_saveexec_b32 s3, s18
	s_cbranch_execz .LBB28_32
; %bb.31:                               ;   in Loop: Header=BB28_5 Depth=1
	v_add_co_u32 v1, vcc_lo, v225, v6
	s_wait_alu 0xfffd
	v_add_co_ci_u32_e64 v2, null, v226, v7, vcc_lo
	v_add_co_u32 v16, vcc_lo, v227, v6
	s_wait_alu 0xfffd
	v_add_co_ci_u32_e64 v17, null, v228, v7, vcc_lo
	global_load_b64 v[42:43], v[1:2], off
	global_load_b64 v[78:79], v[16:17], off
.LBB28_32:                              ;   in Loop: Header=BB28_5 Depth=1
	s_wait_alu 0xfffe
	s_or_b32 exec_lo, exec_lo, s3
	v_add_co_u32 v1, vcc_lo, v8, 12
	s_wait_alu 0xfffd
	v_add_co_ci_u32_e64 v2, null, 0, v9, vcc_lo
	v_mov_b32_e32 v82, 0
	v_mov_b32_e32 v83, 0
	s_delay_alu instid0(VALU_DEP_3) | instskip(SKIP_1) | instid1(SALU_CYCLE_1)
	v_cmp_gt_i64_e32 vcc_lo, s[4:5], v[1:2]
	s_and_b32 s18, s2, vcc_lo
	s_and_saveexec_b32 s3, s18
	s_cbranch_execz .LBB28_34
; %bb.33:                               ;   in Loop: Header=BB28_5 Depth=1
	v_add_co_u32 v1, vcc_lo, v221, v6
	s_wait_alu 0xfffd
	v_add_co_ci_u32_e64 v2, null, v222, v7, vcc_lo
	v_add_co_u32 v16, vcc_lo, v223, v6
	s_wait_alu 0xfffd
	v_add_co_ci_u32_e64 v17, null, v224, v7, vcc_lo
	global_load_b64 v[40:41], v[1:2], off
	global_load_b64 v[82:83], v[16:17], off
.LBB28_34:                              ;   in Loop: Header=BB28_5 Depth=1
	s_wait_alu 0xfffe
	s_or_b32 exec_lo, exec_lo, s3
	v_add_co_u32 v1, vcc_lo, v8, 13
	s_wait_alu 0xfffd
	v_add_co_ci_u32_e64 v2, null, 0, v9, vcc_lo
	v_mov_b32_e32 v44, 0
	v_dual_mov_b32 v45, 0 :: v_dual_mov_b32 v46, 0
	s_delay_alu instid0(VALU_DEP_3) | instskip(SKIP_3) | instid1(SALU_CYCLE_1)
	v_cmp_gt_i64_e32 vcc_lo, s[4:5], v[1:2]
	v_dual_mov_b32 v86, 0 :: v_dual_mov_b32 v47, 0
	v_mov_b32_e32 v87, 0
	s_and_b32 s18, s2, vcc_lo
	s_and_saveexec_b32 s3, s18
	s_cbranch_execz .LBB28_36
; %bb.35:                               ;   in Loop: Header=BB28_5 Depth=1
	v_add_co_u32 v1, vcc_lo, v217, v6
	s_wait_alu 0xfffd
	v_add_co_ci_u32_e64 v2, null, v218, v7, vcc_lo
	v_add_co_u32 v16, vcc_lo, v219, v6
	s_wait_alu 0xfffd
	v_add_co_ci_u32_e64 v17, null, v220, v7, vcc_lo
	global_load_b64 v[46:47], v[1:2], off
	global_load_b64 v[86:87], v[16:17], off
.LBB28_36:                              ;   in Loop: Header=BB28_5 Depth=1
	s_wait_alu 0xfffe
	s_or_b32 exec_lo, exec_lo, s3
	v_add_co_u32 v1, vcc_lo, v8, 14
	s_wait_alu 0xfffd
	v_add_co_ci_u32_e64 v2, null, 0, v9, vcc_lo
	v_mov_b32_e32 v90, 0
	v_mov_b32_e32 v91, 0
	s_delay_alu instid0(VALU_DEP_3) | instskip(SKIP_1) | instid1(SALU_CYCLE_1)
	v_cmp_gt_i64_e32 vcc_lo, s[4:5], v[1:2]
	s_and_b32 s18, s2, vcc_lo
	s_and_saveexec_b32 s3, s18
	s_cbranch_execz .LBB28_38
; %bb.37:                               ;   in Loop: Header=BB28_5 Depth=1
	v_add_co_u32 v1, vcc_lo, v213, v6
	s_wait_alu 0xfffd
	v_add_co_ci_u32_e64 v2, null, v214, v7, vcc_lo
	v_add_co_u32 v16, vcc_lo, v215, v6
	s_wait_alu 0xfffd
	v_add_co_ci_u32_e64 v17, null, v216, v7, vcc_lo
	global_load_b64 v[44:45], v[1:2], off
	global_load_b64 v[90:91], v[16:17], off
.LBB28_38:                              ;   in Loop: Header=BB28_5 Depth=1
	;; [unrolled: 46-line block ×9, first 2 shown]
	s_wait_alu 0xfffe
	s_or_b32 exec_lo, exec_lo, s3
	v_add_co_u32 v1, vcc_lo, v8, 29
	s_wait_alu 0xfffd
	v_add_co_ci_u32_e64 v2, null, 0, v9, vcc_lo
	v_mov_b32_e32 v130, 0
	v_dual_mov_b32 v136, 0 :: v_dual_mov_b32 v131, 0
	s_delay_alu instid0(VALU_DEP_3) | instskip(SKIP_3) | instid1(SALU_CYCLE_1)
	v_cmp_gt_i64_e32 vcc_lo, s[4:5], v[1:2]
	v_mov_b32_e32 v1, 0
	v_dual_mov_b32 v2, 0 :: v_dual_mov_b32 v137, 0
	s_and_b32 s18, s2, vcc_lo
	s_and_saveexec_b32 s3, s18
	s_cbranch_execz .LBB28_68
; %bb.67:                               ;   in Loop: Header=BB28_5 Depth=1
	scratch_load_b32 v1, off, off offset:64 ; 4-byte Folded Reload
	s_wait_loadcnt 0x0
	v_add_co_u32 v1, vcc_lo, v1, v6
	s_wait_alu 0xfffd
	v_add_co_ci_u32_e64 v2, null, v156, v7, vcc_lo
	v_add_co_u32 v16, vcc_lo, v157, v6
	s_wait_alu 0xfffd
	v_add_co_ci_u32_e64 v17, null, v158, v7, vcc_lo
	global_load_b64 v[1:2], v[1:2], off
	global_load_b64 v[136:137], v[16:17], off
.LBB28_68:                              ;   in Loop: Header=BB28_5 Depth=1
	s_wait_alu 0xfffe
	s_or_b32 exec_lo, exec_lo, s3
	v_add_co_u32 v16, vcc_lo, v8, 30
	s_wait_alu 0xfffd
	v_add_co_ci_u32_e64 v17, null, 0, v9, vcc_lo
	v_mov_b32_e32 v138, 0
	v_mov_b32_e32 v139, 0
	s_delay_alu instid0(VALU_DEP_3) | instskip(SKIP_1) | instid1(SALU_CYCLE_1)
	v_cmp_gt_i64_e32 vcc_lo, s[4:5], v[16:17]
	s_and_b32 s18, s2, vcc_lo
	s_and_saveexec_b32 s3, s18
	s_cbranch_execz .LBB28_70
; %bb.69:                               ;   in Loop: Header=BB28_5 Depth=1
	scratch_load_b32 v14, off, off offset:48 ; 4-byte Folded Reload
	s_wait_loadcnt 0x0
	v_add_co_u32 v16, vcc_lo, v14, v6
	scratch_load_b32 v14, off, off offset:52 ; 4-byte Folded Reload
	s_wait_loadcnt 0x0
	s_wait_alu 0xfffd
	v_add_co_ci_u32_e64 v17, null, v14, v7, vcc_lo
	scratch_load_b32 v14, off, off offset:56 ; 4-byte Folded Reload
	s_wait_loadcnt 0x0
	v_add_co_u32 v22, vcc_lo, v14, v6
	scratch_load_b32 v14, off, off offset:60 ; 4-byte Folded Reload
	s_wait_loadcnt 0x0
	s_wait_alu 0xfffd
	v_add_co_ci_u32_e64 v23, null, v14, v7, vcc_lo
	global_load_b64 v[130:131], v[16:17], off
	global_load_b64 v[138:139], v[22:23], off
.LBB28_70:                              ;   in Loop: Header=BB28_5 Depth=1
	s_wait_alu 0xfffe
	s_or_b32 exec_lo, exec_lo, s3
	v_add_co_u32 v16, vcc_lo, v8, 31
	s_wait_alu 0xfffd
	v_add_co_ci_u32_e64 v17, null, 0, v9, vcc_lo
	v_mov_b32_e32 v22, 0
	v_mov_b32_e32 v23, 0
	s_delay_alu instid0(VALU_DEP_3) | instskip(SKIP_3) | instid1(SALU_CYCLE_1)
	v_cmp_gt_i64_e32 vcc_lo, s[4:5], v[16:17]
	v_mov_b32_e32 v16, 0
	v_mov_b32_e32 v17, 0
	s_and_b32 s18, s2, vcc_lo
	s_and_saveexec_b32 s3, s18
	s_cbranch_execz .LBB28_72
; %bb.71:                               ;   in Loop: Header=BB28_5 Depth=1
	scratch_load_b32 v14, off, off offset:32 ; 4-byte Folded Reload
	s_wait_loadcnt 0x0
	v_add_co_u32 v16, vcc_lo, v14, v6
	scratch_load_b32 v14, off, off offset:36 ; 4-byte Folded Reload
	s_wait_loadcnt 0x0
	s_wait_alu 0xfffd
	v_add_co_ci_u32_e64 v17, null, v14, v7, vcc_lo
	scratch_load_b32 v14, off, off offset:40 ; 4-byte Folded Reload
	s_wait_loadcnt 0x0
	v_add_co_u32 v22, vcc_lo, v14, v6
	scratch_load_b32 v14, off, off offset:44 ; 4-byte Folded Reload
	s_wait_loadcnt 0x0
	s_wait_alu 0xfffd
	v_add_co_ci_u32_e64 v23, null, v14, v7, vcc_lo
	global_load_b64 v[16:17], v[16:17], off
	global_load_b64 v[22:23], v[22:23], off
.LBB28_72:                              ;   in Loop: Header=BB28_5 Depth=1
	s_wait_alu 0xfffe
	s_or_b32 exec_lo, exec_lo, s3
	s_wait_loadcnt 0x1
	ds_bpermute_b32 v14, v5, v10
	ds_bpermute_b32 v15, v5, v11
	v_dual_mov_b32 v105, v51 :: v_dual_mov_b32 v104, v50
	s_mov_b32 s3, 0
	s_wait_loadcnt_dscnt 0x0
	v_add_f64_e64 v[14:15], v[48:49], -v[14:15]
	ds_bpermute_b32 v48, v5, v10 offset:4
	ds_bpermute_b32 v49, v5, v11 offset:4
	s_wait_dscnt 0x0
	v_add_f64_e64 v[48:49], v[52:53], -v[48:49]
	ds_bpermute_b32 v52, v5, v12
	ds_bpermute_b32 v53, v5, v13
	v_mul_f64_e32 v[14:15], v[50:51], v[14:15]
	scratch_load_b64 v[50:51], off, off offset:8 ; 8-byte Folded Reload
	v_mul_f64_e32 v[48:49], v[18:19], v[48:49]
	s_wait_loadcnt_dscnt 0x0
	v_fma_f64 v[14:15], v[14:15], v[52:53], v[50:51]
	ds_bpermute_b32 v52, v5, v12 offset:4
	ds_bpermute_b32 v53, v5, v13 offset:4
	;; [unrolled: 1-line block ×4, first 2 shown]
	s_wait_dscnt 0x2
	v_fma_f64 v[14:15], v[48:49], v[52:53], v[14:15]
	ds_bpermute_b32 v48, v5, v10 offset:8
	ds_bpermute_b32 v49, v5, v11 offset:8
	v_dual_mov_b32 v53, v21 :: v_dual_mov_b32 v52, v20
	s_wait_dscnt 0x0
	v_add_f64_e64 v[48:49], v[154:155], -v[48:49]
	s_delay_alu instid0(VALU_DEP_1) | instskip(NEXT) | instid1(VALU_DEP_1)
	v_mul_f64_e32 v[48:49], v[52:53], v[48:49]
	v_fma_f64 v[14:15], v[48:49], v[50:51], v[14:15]
	ds_bpermute_b32 v48, v5, v10 offset:12
	ds_bpermute_b32 v49, v5, v11 offset:12
	;; [unrolled: 1-line block ×4, first 2 shown]
	s_wait_dscnt 0x2
	v_add_f64_e64 v[48:49], v[54:55], -v[48:49]
	scratch_load_b64 v[54:55], off, off offset:68 th:TH_LOAD_LU ; 8-byte Folded Reload
	v_mul_f64_e32 v[48:49], v[26:27], v[48:49]
	s_wait_dscnt 0x0
	s_delay_alu instid0(VALU_DEP_1)
	v_fma_f64 v[14:15], v[48:49], v[50:51], v[14:15]
	ds_bpermute_b32 v48, v5, v10 offset:16
	ds_bpermute_b32 v49, v5, v11 offset:16
	ds_bpermute_b32 v50, v5, v12 offset:16
	ds_bpermute_b32 v51, v5, v13 offset:16
	s_wait_dscnt 0x2
	v_add_f64_e64 v[48:49], v[56:57], -v[48:49]
	s_delay_alu instid0(VALU_DEP_1) | instskip(SKIP_1) | instid1(VALU_DEP_1)
	v_mul_f64_e32 v[48:49], v[24:25], v[48:49]
	s_wait_dscnt 0x0
	v_fma_f64 v[14:15], v[48:49], v[50:51], v[14:15]
	ds_bpermute_b32 v48, v5, v10 offset:20
	ds_bpermute_b32 v49, v5, v11 offset:20
	ds_bpermute_b32 v50, v5, v12 offset:20
	ds_bpermute_b32 v51, v5, v13 offset:20
	s_wait_dscnt 0x2
	v_add_f64_e64 v[48:49], v[62:63], -v[48:49]
	s_delay_alu instid0(VALU_DEP_1) | instskip(SKIP_1) | instid1(VALU_DEP_1)
	v_mul_f64_e32 v[48:49], v[30:31], v[48:49]
	s_wait_dscnt 0x0
	;; [unrolled: 10-line block ×6, first 2 shown]
	v_fma_f64 v[14:15], v[48:49], v[50:51], v[14:15]
	ds_bpermute_b32 v48, v5, v10 offset:40
	ds_bpermute_b32 v49, v5, v11 offset:40
	;; [unrolled: 1-line block ×4, first 2 shown]
	s_wait_dscnt 0x2
	v_add_f64_e64 v[48:49], v[76:77], -v[48:49]
	s_wait_loadcnt 0x0
	s_delay_alu instid0(VALU_DEP_1) | instskip(SKIP_1) | instid1(VALU_DEP_1)
	v_mul_f64_e32 v[48:49], v[54:55], v[48:49]
	s_wait_dscnt 0x0
	v_fma_f64 v[14:15], v[48:49], v[50:51], v[14:15]
	ds_bpermute_b32 v48, v5, v10 offset:44
	ds_bpermute_b32 v49, v5, v11 offset:44
	ds_bpermute_b32 v50, v5, v12 offset:44
	ds_bpermute_b32 v51, v5, v13 offset:44
	s_wait_dscnt 0x2
	v_add_f64_e64 v[48:49], v[78:79], -v[48:49]
	s_delay_alu instid0(VALU_DEP_1) | instskip(SKIP_1) | instid1(VALU_DEP_1)
	v_mul_f64_e32 v[48:49], v[42:43], v[48:49]
	s_wait_dscnt 0x0
	v_fma_f64 v[14:15], v[48:49], v[50:51], v[14:15]
	ds_bpermute_b32 v48, v5, v10 offset:48
	ds_bpermute_b32 v49, v5, v11 offset:48
	ds_bpermute_b32 v50, v5, v12 offset:48
	ds_bpermute_b32 v51, v5, v13 offset:48
	s_wait_dscnt 0x2
	v_add_f64_e64 v[48:49], v[82:83], -v[48:49]
	;; [unrolled: 10-line block ×7, first 2 shown]
	s_delay_alu instid0(VALU_DEP_1) | instskip(SKIP_1) | instid1(VALU_DEP_1)
	v_mul_f64_e32 v[48:49], v[74:75], v[48:49]
	s_wait_dscnt 0x0
	v_fma_f64 v[14:15], v[48:49], v[50:51], v[14:15]
	scratch_load_b64 v[48:49], off, off     ; 8-byte Folded Reload
	s_wait_loadcnt 0x0
	v_add_f64_e32 v[48:49], v[48:49], v[104:105]
	s_delay_alu instid0(VALU_DEP_1) | instskip(NEXT) | instid1(VALU_DEP_1)
	v_add_f64_e32 v[20:21], v[48:49], v[18:19]
	v_add_f64_e32 v[18:19], v[20:21], v[52:53]
	ds_bpermute_b32 v20, v5, v10 offset:72
	ds_bpermute_b32 v21, v5, v11 offset:72
	s_wait_dscnt 0x0
	v_add_f64_e64 v[20:21], v[88:89], -v[20:21]
	v_add_f64_e32 v[18:19], v[18:19], v[26:27]
	ds_bpermute_b32 v26, v5, v10 offset:80
	ds_bpermute_b32 v27, v5, v11 offset:80
	v_mul_f64_e32 v[20:21], v[70:71], v[20:21]
	s_wait_dscnt 0x0
	v_add_f64_e64 v[26:27], v[106:107], -v[26:27]
	v_add_f64_e32 v[18:19], v[18:19], v[24:25]
	ds_bpermute_b32 v24, v5, v10 offset:76
	ds_bpermute_b32 v25, v5, v11 offset:76
	s_wait_dscnt 0x0
	v_add_f64_e64 v[24:25], v[100:101], -v[24:25]
	v_mul_f64_e32 v[26:27], v[80:81], v[26:27]
	v_add_f64_e32 v[18:19], v[18:19], v[30:31]
	s_delay_alu instid0(VALU_DEP_3) | instskip(NEXT) | instid1(VALU_DEP_2)
	v_mul_f64_e32 v[24:25], v[84:85], v[24:25]
	v_add_f64_e32 v[18:19], v[18:19], v[28:29]
	ds_bpermute_b32 v28, v5, v12 offset:72
	ds_bpermute_b32 v29, v5, v13 offset:72
	s_wait_dscnt 0x0
	v_fma_f64 v[14:15], v[20:21], v[28:29], v[14:15]
	ds_bpermute_b32 v20, v5, v10 offset:84
	ds_bpermute_b32 v21, v5, v11 offset:84
	;; [unrolled: 1-line block ×4, first 2 shown]
	v_add_f64_e32 v[18:19], v[18:19], v[34:35]
	s_wait_dscnt 0x2
	v_add_f64_e64 v[20:21], v[112:113], -v[20:21]
	s_wait_dscnt 0x0
	v_fma_f64 v[14:15], v[24:25], v[28:29], v[14:15]
	ds_bpermute_b32 v24, v5, v10 offset:88
	ds_bpermute_b32 v25, v5, v11 offset:88
	ds_bpermute_b32 v28, v5, v12 offset:80
	ds_bpermute_b32 v29, v5, v13 offset:80
	v_add_f64_e32 v[18:19], v[18:19], v[32:33]
	s_wait_dscnt 0x2
	v_add_f64_e64 v[24:25], v[114:115], -v[24:25]
	v_mul_f64_e32 v[20:21], v[98:99], v[20:21]
	s_wait_dscnt 0x0
	v_fma_f64 v[14:15], v[26:27], v[28:29], v[14:15]
	ds_bpermute_b32 v26, v5, v10 offset:92
	ds_bpermute_b32 v27, v5, v11 offset:92
	ds_bpermute_b32 v28, v5, v12 offset:84
	ds_bpermute_b32 v29, v5, v13 offset:84
	v_add_f64_e32 v[18:19], v[18:19], v[38:39]
	s_wait_dscnt 0x2
	v_add_f64_e64 v[26:27], v[118:119], -v[26:27]
	v_mul_f64_e32 v[24:25], v[92:93], v[24:25]
	;; [unrolled: 10-line block ×8, first 2 shown]
	s_wait_dscnt 0x0
	v_fma_f64 v[14:15], v[20:21], v[28:29], v[14:15]
	ds_bpermute_b32 v20, v5, v10 offset:120
	ds_bpermute_b32 v21, v5, v11 offset:120
	;; [unrolled: 1-line block ×6, first 2 shown]
	v_add_f64_e32 v[18:19], v[18:19], v[58:59]
	s_wait_dscnt 0x4
	v_add_f64_e64 v[20:21], v[138:139], -v[20:21]
	v_mul_f64_e32 v[26:27], v[1:2], v[26:27]
	s_wait_dscnt 0x2
	v_fma_f64 v[14:15], v[24:25], v[28:29], v[14:15]
	ds_bpermute_b32 v24, v5, v12 offset:116
	ds_bpermute_b32 v25, v5, v13 offset:116
	v_add_f64_e32 v[18:19], v[18:19], v[74:75]
	v_mul_f64_e32 v[20:21], v[130:131], v[20:21]
	s_wait_dscnt 0x0
	v_fma_f64 v[14:15], v[26:27], v[24:25], v[14:15]
	s_delay_alu instid0(VALU_DEP_3) | instskip(NEXT) | instid1(VALU_DEP_1)
	v_add_f64_e32 v[18:19], v[18:19], v[70:71]
	v_add_f64_e32 v[18:19], v[18:19], v[84:85]
	s_delay_alu instid0(VALU_DEP_1) | instskip(NEXT) | instid1(VALU_DEP_1)
	v_add_f64_e32 v[18:19], v[18:19], v[80:81]
	v_add_f64_e32 v[18:19], v[18:19], v[98:99]
	s_delay_alu instid0(VALU_DEP_1) | instskip(NEXT) | instid1(VALU_DEP_1)
	v_add_f64_e32 v[18:19], v[18:19], v[92:93]
	v_add_f64_e32 v[18:19], v[18:19], v[108:109]
	s_delay_alu instid0(VALU_DEP_1) | instskip(NEXT) | instid1(VALU_DEP_1)
	v_add_f64_e32 v[18:19], v[18:19], v[102:103]
	v_add_f64_e32 v[18:19], v[18:19], v[116:117]
	s_delay_alu instid0(VALU_DEP_1) | instskip(NEXT) | instid1(VALU_DEP_1)
	v_add_f64_e32 v[18:19], v[18:19], v[110:111]
	v_add_f64_e32 v[18:19], v[18:19], v[124:125]
	s_delay_alu instid0(VALU_DEP_1) | instskip(NEXT) | instid1(VALU_DEP_1)
	v_add_f64_e32 v[18:19], v[18:19], v[120:121]
	v_add_f64_e32 v[1:2], v[18:19], v[1:2]
	ds_bpermute_b32 v18, v5, v12 offset:120
	ds_bpermute_b32 v19, v5, v13 offset:120
	s_wait_dscnt 0x0
	v_fma_f64 v[14:15], v[20:21], v[18:19], v[14:15]
	v_add_f64_e32 v[18:19], v[1:2], v[130:131]
	ds_bpermute_b32 v1, v5, v12 offset:124
	ds_bpermute_b32 v2, v5, v13 offset:124
.LBB28_73:                              ;   in Loop: Header=BB28_5 Depth=1
	s_wait_alu 0xfffe
	s_and_b32 vcc_lo, exec_lo, s3
	s_wait_alu 0xfffe
	s_cbranch_vccz .LBB28_4
; %bb.74:                               ;   in Loop: Header=BB28_5 Depth=1
	s_load_b32 s3, s[20:21], 0x0
	v_mov_b32_e32 v138, 0
	v_dual_mov_b32 v139, 0 :: v_dual_mov_b32 v10, 0
	v_mov_b32_e32 v11, 0
	s_wait_kmcnt 0x0
	s_cmp_lt_u32 ttmp9, s3
	s_cselect_b32 s18, 12, 18
	s_delay_alu instid0(SALU_CYCLE_1)
	s_add_nc_u64 s[34:35], s[20:21], s[18:19]
	s_load_u16 s3, s[34:35], 0x0
	s_wait_dscnt 0x1
	scratch_load_b32 v1, off, off offset:76 ; 4-byte Folded Reload
	s_wait_dscnt 0x0
	scratch_load_b32 v2, off, off offset:80 ; 4-byte Folded Reload
	s_wait_loadcnt 0x0
	s_wait_kmcnt 0x0
	v_mad_u32_u24 v1, v1, s3, v2
	s_mov_b32 s3, exec_lo
	s_delay_alu instid0(VALU_DEP_1) | instskip(NEXT) | instid1(VALU_DEP_1)
	v_and_b32_e32 v1, 31, v1
	v_add_co_u32 v1, vcc_lo, v8, v1
	s_wait_alu 0xfffd
	v_add_co_ci_u32_e64 v2, null, 0, v9, vcc_lo
	v_mov_b32_e32 v8, 0
	v_mov_b32_e32 v9, 0
	s_delay_alu instid0(VALU_DEP_3)
	v_cmpx_gt_i64_e64 s[4:5], v[1:2]
	s_cbranch_execz .LBB28_76
; %bb.75:                               ;   in Loop: Header=BB28_5 Depth=1
	v_lshlrev_b64_e32 v[1:2], 3, v[1:2]
	s_delay_alu instid0(VALU_DEP_1) | instskip(SKIP_1) | instid1(VALU_DEP_2)
	v_add_co_u32 v8, vcc_lo, s12, v1
	s_wait_alu 0xfffd
	v_add_co_ci_u32_e64 v9, null, s13, v2, vcc_lo
	v_add_co_u32 v1, vcc_lo, s14, v1
	s_wait_alu 0xfffd
	v_add_co_ci_u32_e64 v2, null, s15, v2, vcc_lo
	global_load_b64 v[8:9], v[8:9], off
	global_load_b64 v[10:11], v[1:2], off
.LBB28_76:                              ;   in Loop: Header=BB28_5 Depth=1
	s_wait_alu 0xfffe
	s_or_b32 exec_lo, exec_lo, s3
	v_mov_b32_e32 v60, 0
	v_mov_b32_e32 v61, 0
	s_and_saveexec_b32 s3, s2
	s_cbranch_execz .LBB28_78
; %bb.77:                               ;   in Loop: Header=BB28_5 Depth=1
	s_clause 0x2
	scratch_load_b32 v1, off, off offset:16
	scratch_load_b32 v2, off, off offset:20
	;; [unrolled: 1-line block ×3, first 2 shown]
	s_wait_loadcnt 0x2
	v_add_co_u32 v1, vcc_lo, v1, v6
	s_wait_loadcnt 0x1
	s_wait_alu 0xfffd
	v_add_co_ci_u32_e64 v2, null, v2, v7, vcc_lo
	s_wait_loadcnt 0x0
	v_add_co_u32 v14, vcc_lo, v12, v6
	scratch_load_b32 v12, off, off offset:28 ; 4-byte Folded Reload
	s_wait_loadcnt 0x0
	s_wait_alu 0xfffd
	v_add_co_ci_u32_e64 v15, null, v12, v7, vcc_lo
	global_load_b64 v[138:139], v[1:2], off
	global_load_b64 v[60:61], v[14:15], off
.LBB28_78:                              ;   in Loop: Header=BB28_5 Depth=1
	s_wait_alu 0xfffe
	s_or_b32 exec_lo, exec_lo, s3
	v_mov_b32_e32 v18, 0
	v_dual_mov_b32 v19, 0 :: v_dual_mov_b32 v154, 0
	v_dual_mov_b32 v56, 0 :: v_dual_mov_b32 v155, 0
	v_mov_b32_e32 v57, 0
	s_and_saveexec_b32 s3, s2
	s_cbranch_execz .LBB28_80
; %bb.79:                               ;   in Loop: Header=BB28_5 Depth=1
	v_add_co_u32 v1, vcc_lo, v150, v6
	s_wait_alu 0xfffd
	v_add_co_ci_u32_e64 v2, null, v151, v7, vcc_lo
	v_add_co_u32 v16, vcc_lo, v152, v6
	s_wait_alu 0xfffd
	v_add_co_ci_u32_e64 v17, null, v153, v7, vcc_lo
	global_load_b64 v[154:155], v[1:2], off
	global_load_b64 v[56:57], v[16:17], off
.LBB28_80:                              ;   in Loop: Header=BB28_5 Depth=1
	s_wait_alu 0xfffe
	s_or_b32 exec_lo, exec_lo, s3
	v_mov_b32_e32 v58, 0
	v_mov_b32_e32 v59, 0
	s_and_saveexec_b32 s3, s2
	s_cbranch_execz .LBB28_82
; %bb.81:                               ;   in Loop: Header=BB28_5 Depth=1
	v_add_co_u32 v1, vcc_lo, v146, v6
	s_wait_alu 0xfffd
	v_add_co_ci_u32_e64 v2, null, v147, v7, vcc_lo
	v_add_co_u32 v16, vcc_lo, v148, v6
	s_wait_alu 0xfffd
	v_add_co_ci_u32_e64 v17, null, v149, v7, vcc_lo
	global_load_b64 v[18:19], v[1:2], off
	global_load_b64 v[58:59], v[16:17], off
.LBB28_82:                              ;   in Loop: Header=BB28_5 Depth=1
	s_wait_alu 0xfffe
	s_or_b32 exec_lo, exec_lo, s3
	v_mov_b32_e32 v20, 0
	v_dual_mov_b32 v21, 0 :: v_dual_mov_b32 v24, 0
	v_dual_mov_b32 v62, 0 :: v_dual_mov_b32 v25, 0
	v_mov_b32_e32 v63, 0
	s_and_saveexec_b32 s3, s2
	s_cbranch_execz .LBB28_84
; %bb.83:                               ;   in Loop: Header=BB28_5 Depth=1
	v_add_co_u32 v1, vcc_lo, v141, v6
	s_wait_alu 0xfffd
	v_add_co_ci_u32_e64 v2, null, v143, v7, vcc_lo
	v_add_co_u32 v16, vcc_lo, v144, v6
	s_wait_alu 0xfffd
	v_add_co_ci_u32_e64 v17, null, v145, v7, vcc_lo
	global_load_b64 v[24:25], v[1:2], off
	global_load_b64 v[62:63], v[16:17], off
.LBB28_84:                              ;   in Loop: Header=BB28_5 Depth=1
	s_wait_alu 0xfffe
	s_or_b32 exec_lo, exec_lo, s3
	v_mov_b32_e32 v64, 0
	v_mov_b32_e32 v65, 0
	s_and_saveexec_b32 s3, s2
	s_cbranch_execz .LBB28_86
; %bb.85:                               ;   in Loop: Header=BB28_5 Depth=1
	v_add_co_u32 v1, vcc_lo, v253, v6
	s_wait_alu 0xfffd
	v_add_co_ci_u32_e64 v2, null, v254, v7, vcc_lo
	v_add_co_u32 v16, vcc_lo, v255, v6
	s_wait_alu 0xfffd
	v_add_co_ci_u32_e64 v17, null, v0, v7, vcc_lo
	global_load_b64 v[20:21], v[1:2], off
	global_load_b64 v[64:65], v[16:17], off
.LBB28_86:                              ;   in Loop: Header=BB28_5 Depth=1
	s_wait_alu 0xfffe
	s_or_b32 exec_lo, exec_lo, s3
	v_mov_b32_e32 v26, 0
	v_dual_mov_b32 v27, 0 :: v_dual_mov_b32 v28, 0
	v_dual_mov_b32 v72, 0 :: v_dual_mov_b32 v29, 0
	v_mov_b32_e32 v73, 0
	s_and_saveexec_b32 s3, s2
	s_cbranch_execz .LBB28_88
; %bb.87:                               ;   in Loop: Header=BB28_5 Depth=1
	v_add_co_u32 v1, vcc_lo, v249, v6
	s_wait_alu 0xfffd
	v_add_co_ci_u32_e64 v2, null, v250, v7, vcc_lo
	v_add_co_u32 v16, vcc_lo, v251, v6
	s_wait_alu 0xfffd
	v_add_co_ci_u32_e64 v17, null, v252, v7, vcc_lo
	global_load_b64 v[28:29], v[1:2], off
	global_load_b64 v[72:73], v[16:17], off
.LBB28_88:                              ;   in Loop: Header=BB28_5 Depth=1
	s_wait_alu 0xfffe
	s_or_b32 exec_lo, exec_lo, s3
	v_mov_b32_e32 v74, 0
	v_mov_b32_e32 v75, 0
	s_and_saveexec_b32 s3, s2
	s_cbranch_execz .LBB28_90
; %bb.89:                               ;   in Loop: Header=BB28_5 Depth=1
	v_add_co_u32 v1, vcc_lo, v245, v6
	s_wait_alu 0xfffd
	v_add_co_ci_u32_e64 v2, null, v246, v7, vcc_lo
	v_add_co_u32 v16, vcc_lo, v247, v6
	s_wait_alu 0xfffd
	v_add_co_ci_u32_e64 v17, null, v248, v7, vcc_lo
	global_load_b64 v[26:27], v[1:2], off
	global_load_b64 v[74:75], v[16:17], off
.LBB28_90:                              ;   in Loop: Header=BB28_5 Depth=1
	s_wait_alu 0xfffe
	s_or_b32 exec_lo, exec_lo, s3
	v_mov_b32_e32 v30, 0
	v_dual_mov_b32 v31, 0 :: v_dual_mov_b32 v32, 0
	v_dual_mov_b32 v76, 0 :: v_dual_mov_b32 v33, 0
	v_mov_b32_e32 v77, 0
	s_and_saveexec_b32 s3, s2
	s_cbranch_execz .LBB28_92
; %bb.91:                               ;   in Loop: Header=BB28_5 Depth=1
	v_add_co_u32 v1, vcc_lo, v241, v6
	s_wait_alu 0xfffd
	v_add_co_ci_u32_e64 v2, null, v242, v7, vcc_lo
	v_add_co_u32 v16, vcc_lo, v243, v6
	s_wait_alu 0xfffd
	v_add_co_ci_u32_e64 v17, null, v244, v7, vcc_lo
	global_load_b64 v[32:33], v[1:2], off
	global_load_b64 v[76:77], v[16:17], off
.LBB28_92:                              ;   in Loop: Header=BB28_5 Depth=1
	s_wait_alu 0xfffe
	s_or_b32 exec_lo, exec_lo, s3
	v_mov_b32_e32 v78, 0
	v_mov_b32_e32 v79, 0
	s_and_saveexec_b32 s3, s2
	s_cbranch_execz .LBB28_94
; %bb.93:                               ;   in Loop: Header=BB28_5 Depth=1
	v_add_co_u32 v1, vcc_lo, v237, v6
	s_wait_alu 0xfffd
	v_add_co_ci_u32_e64 v2, null, v238, v7, vcc_lo
	v_add_co_u32 v16, vcc_lo, v239, v6
	s_wait_alu 0xfffd
	v_add_co_ci_u32_e64 v17, null, v240, v7, vcc_lo
	global_load_b64 v[30:31], v[1:2], off
	global_load_b64 v[78:79], v[16:17], off
.LBB28_94:                              ;   in Loop: Header=BB28_5 Depth=1
	s_wait_alu 0xfffe
	s_or_b32 exec_lo, exec_lo, s3
	v_mov_b32_e32 v34, 0
	v_dual_mov_b32 v35, 0 :: v_dual_mov_b32 v36, 0
	v_dual_mov_b32 v84, 0 :: v_dual_mov_b32 v37, 0
	v_mov_b32_e32 v85, 0
	s_and_saveexec_b32 s3, s2
	s_cbranch_execz .LBB28_96
; %bb.95:                               ;   in Loop: Header=BB28_5 Depth=1
	v_add_co_u32 v1, vcc_lo, v233, v6
	s_wait_alu 0xfffd
	v_add_co_ci_u32_e64 v2, null, v234, v7, vcc_lo
	v_add_co_u32 v16, vcc_lo, v235, v6
	s_wait_alu 0xfffd
	v_add_co_ci_u32_e64 v17, null, v236, v7, vcc_lo
	global_load_b64 v[36:37], v[1:2], off
	global_load_b64 v[84:85], v[16:17], off
.LBB28_96:                              ;   in Loop: Header=BB28_5 Depth=1
	s_wait_alu 0xfffe
	s_or_b32 exec_lo, exec_lo, s3
	v_mov_b32_e32 v88, 0
	v_mov_b32_e32 v89, 0
	s_and_saveexec_b32 s3, s2
	s_cbranch_execz .LBB28_98
; %bb.97:                               ;   in Loop: Header=BB28_5 Depth=1
	v_add_co_u32 v1, vcc_lo, v229, v6
	s_wait_alu 0xfffd
	v_add_co_ci_u32_e64 v2, null, v230, v7, vcc_lo
	v_add_co_u32 v16, vcc_lo, v231, v6
	s_wait_alu 0xfffd
	v_add_co_ci_u32_e64 v17, null, v232, v7, vcc_lo
	global_load_b64 v[34:35], v[1:2], off
	global_load_b64 v[88:89], v[16:17], off
.LBB28_98:                              ;   in Loop: Header=BB28_5 Depth=1
	s_wait_alu 0xfffe
	s_or_b32 exec_lo, exec_lo, s3
	v_mov_b32_e32 v38, 0
	v_dual_mov_b32 v39, 0 :: v_dual_mov_b32 v40, 0
	v_dual_mov_b32 v90, 0 :: v_dual_mov_b32 v41, 0
	v_mov_b32_e32 v91, 0
	s_and_saveexec_b32 s3, s2
	s_cbranch_execz .LBB28_100
; %bb.99:                               ;   in Loop: Header=BB28_5 Depth=1
	v_add_co_u32 v1, vcc_lo, v225, v6
	s_wait_alu 0xfffd
	v_add_co_ci_u32_e64 v2, null, v226, v7, vcc_lo
	v_add_co_u32 v16, vcc_lo, v227, v6
	s_wait_alu 0xfffd
	v_add_co_ci_u32_e64 v17, null, v228, v7, vcc_lo
	global_load_b64 v[40:41], v[1:2], off
	global_load_b64 v[90:91], v[16:17], off
.LBB28_100:                             ;   in Loop: Header=BB28_5 Depth=1
	s_wait_alu 0xfffe
	s_or_b32 exec_lo, exec_lo, s3
	v_mov_b32_e32 v92, 0
	v_mov_b32_e32 v93, 0
	s_and_saveexec_b32 s3, s2
	s_cbranch_execz .LBB28_102
; %bb.101:                              ;   in Loop: Header=BB28_5 Depth=1
	v_add_co_u32 v1, vcc_lo, v221, v6
	s_wait_alu 0xfffd
	v_add_co_ci_u32_e64 v2, null, v222, v7, vcc_lo
	v_add_co_u32 v16, vcc_lo, v223, v6
	s_wait_alu 0xfffd
	v_add_co_ci_u32_e64 v17, null, v224, v7, vcc_lo
	global_load_b64 v[38:39], v[1:2], off
	global_load_b64 v[92:93], v[16:17], off
.LBB28_102:                             ;   in Loop: Header=BB28_5 Depth=1
	s_wait_alu 0xfffe
	s_or_b32 exec_lo, exec_lo, s3
	v_mov_b32_e32 v42, 0
	v_dual_mov_b32 v43, 0 :: v_dual_mov_b32 v44, 0
	v_dual_mov_b32 v98, 0 :: v_dual_mov_b32 v45, 0
	v_mov_b32_e32 v99, 0
	s_and_saveexec_b32 s3, s2
	s_cbranch_execz .LBB28_104
; %bb.103:                              ;   in Loop: Header=BB28_5 Depth=1
	v_add_co_u32 v1, vcc_lo, v217, v6
	s_wait_alu 0xfffd
	v_add_co_ci_u32_e64 v2, null, v218, v7, vcc_lo
	v_add_co_u32 v16, vcc_lo, v219, v6
	s_wait_alu 0xfffd
	v_add_co_ci_u32_e64 v17, null, v220, v7, vcc_lo
	global_load_b64 v[44:45], v[1:2], off
	global_load_b64 v[98:99], v[16:17], off
.LBB28_104:                             ;   in Loop: Header=BB28_5 Depth=1
	s_wait_alu 0xfffe
	s_or_b32 exec_lo, exec_lo, s3
	v_mov_b32_e32 v102, 0
	v_mov_b32_e32 v103, 0
	s_and_saveexec_b32 s3, s2
	s_cbranch_execz .LBB28_106
; %bb.105:                              ;   in Loop: Header=BB28_5 Depth=1
	v_add_co_u32 v1, vcc_lo, v213, v6
	s_wait_alu 0xfffd
	v_add_co_ci_u32_e64 v2, null, v214, v7, vcc_lo
	v_add_co_u32 v16, vcc_lo, v215, v6
	s_wait_alu 0xfffd
	v_add_co_ci_u32_e64 v17, null, v216, v7, vcc_lo
	global_load_b64 v[42:43], v[1:2], off
	global_load_b64 v[102:103], v[16:17], off
.LBB28_106:                             ;   in Loop: Header=BB28_5 Depth=1
	s_wait_alu 0xfffe
	s_or_b32 exec_lo, exec_lo, s3
	v_mov_b32_e32 v46, 0
	v_dual_mov_b32 v47, 0 :: v_dual_mov_b32 v48, 0
	v_dual_mov_b32 v104, 0 :: v_dual_mov_b32 v49, 0
	v_mov_b32_e32 v105, 0
	s_and_saveexec_b32 s3, s2
	s_cbranch_execz .LBB28_108
; %bb.107:                              ;   in Loop: Header=BB28_5 Depth=1
	v_add_co_u32 v1, vcc_lo, v209, v6
	s_wait_alu 0xfffd
	v_add_co_ci_u32_e64 v2, null, v210, v7, vcc_lo
	v_add_co_u32 v16, vcc_lo, v211, v6
	s_wait_alu 0xfffd
	v_add_co_ci_u32_e64 v17, null, v212, v7, vcc_lo
	global_load_b64 v[48:49], v[1:2], off
	global_load_b64 v[104:105], v[16:17], off
.LBB28_108:                             ;   in Loop: Header=BB28_5 Depth=1
	;; [unrolled: 34-line block ×8, first 2 shown]
	s_wait_alu 0xfffe
	s_or_b32 exec_lo, exec_lo, s3
	v_mov_b32_e32 v132, 0
	v_mov_b32_e32 v133, 0
	s_and_saveexec_b32 s3, s2
	s_cbranch_execz .LBB28_134
; %bb.133:                              ;   in Loop: Header=BB28_5 Depth=1
	v_add_co_u32 v16, vcc_lo, v159, v6
	s_wait_alu 0xfffd
	v_add_co_ci_u32_e64 v17, null, v160, v7, vcc_lo
	v_add_co_u32 v22, vcc_lo, v161, v6
	s_wait_alu 0xfffd
	v_add_co_ci_u32_e64 v23, null, v162, v7, vcc_lo
	global_load_b64 v[106:107], v[16:17], off
	global_load_b64 v[132:133], v[22:23], off
.LBB28_134:                             ;   in Loop: Header=BB28_5 Depth=1
	s_wait_alu 0xfffe
	s_or_b32 exec_lo, exec_lo, s3
	v_mov_b32_e32 v124, 0
	v_dual_mov_b32 v125, 0 :: v_dual_mov_b32 v126, 0
	v_dual_mov_b32 v134, 0 :: v_dual_mov_b32 v127, 0
	v_mov_b32_e32 v135, 0
	s_and_saveexec_b32 s3, s2
	s_cbranch_execz .LBB28_136
; %bb.135:                              ;   in Loop: Header=BB28_5 Depth=1
	scratch_load_b32 v12, off, off offset:64 ; 4-byte Folded Reload
	s_wait_loadcnt 0x0
	v_add_co_u32 v16, vcc_lo, v12, v6
	s_wait_alu 0xfffd
	v_add_co_ci_u32_e64 v17, null, v156, v7, vcc_lo
	v_add_co_u32 v22, vcc_lo, v157, v6
	s_wait_alu 0xfffd
	v_add_co_ci_u32_e64 v23, null, v158, v7, vcc_lo
	global_load_b64 v[126:127], v[16:17], off
	global_load_b64 v[134:135], v[22:23], off
.LBB28_136:                             ;   in Loop: Header=BB28_5 Depth=1
	s_wait_alu 0xfffe
	s_or_b32 exec_lo, exec_lo, s3
	v_mov_b32_e32 v136, 0
	v_mov_b32_e32 v137, 0
	s_and_saveexec_b32 s3, s2
	s_cbranch_execz .LBB28_138
; %bb.137:                              ;   in Loop: Header=BB28_5 Depth=1
	scratch_load_b32 v12, off, off offset:48 ; 4-byte Folded Reload
	s_wait_loadcnt 0x0
	v_add_co_u32 v16, vcc_lo, v12, v6
	scratch_load_b32 v12, off, off offset:52 ; 4-byte Folded Reload
	s_wait_loadcnt 0x0
	s_wait_alu 0xfffd
	v_add_co_ci_u32_e64 v17, null, v12, v7, vcc_lo
	scratch_load_b32 v12, off, off offset:56 ; 4-byte Folded Reload
	s_wait_loadcnt 0x0
	v_add_co_u32 v22, vcc_lo, v12, v6
	scratch_load_b32 v12, off, off offset:60 ; 4-byte Folded Reload
	s_wait_loadcnt 0x0
	s_wait_alu 0xfffd
	v_add_co_ci_u32_e64 v23, null, v12, v7, vcc_lo
	global_load_b64 v[124:125], v[16:17], off
	global_load_b64 v[136:137], v[22:23], off
.LBB28_138:                             ;   in Loop: Header=BB28_5 Depth=1
	s_wait_alu 0xfffe
	s_or_b32 exec_lo, exec_lo, s3
	v_mov_b32_e32 v16, 0
	v_dual_mov_b32 v17, 0 :: v_dual_mov_b32 v22, 0
	s_wait_loadcnt 0x1
	v_dual_mov_b32 v13, v138 :: v_dual_mov_b32 v14, v139
	v_mov_b32_e32 v23, 0
	s_and_saveexec_b32 s3, s2
	s_cbranch_execz .LBB28_3
; %bb.139:                              ;   in Loop: Header=BB28_5 Depth=1
	scratch_load_b32 v12, off, off offset:32 ; 4-byte Folded Reload
	s_wait_loadcnt 0x0
	v_add_co_u32 v16, vcc_lo, v12, v6
	scratch_load_b32 v12, off, off offset:36 ; 4-byte Folded Reload
	s_wait_loadcnt 0x0
	s_wait_alu 0xfffd
	v_add_co_ci_u32_e64 v17, null, v12, v7, vcc_lo
	scratch_load_b32 v12, off, off offset:40 ; 4-byte Folded Reload
	s_wait_loadcnt 0x0
	v_add_co_u32 v22, vcc_lo, v12, v6
	scratch_load_b32 v12, off, off offset:44 ; 4-byte Folded Reload
	s_wait_loadcnt 0x0
	s_wait_alu 0xfffd
	v_add_co_ci_u32_e64 v23, null, v12, v7, vcc_lo
	global_load_b64 v[16:17], v[16:17], off
	global_load_b64 v[22:23], v[22:23], off
	s_branch .LBB28_3
.LBB28_140:
                                        ; implicit-def: $vgpr1_vgpr2
                                        ; kill: killed $vgpr1_vgpr2
                                        ; implicit-def: $vgpr1_vgpr2
                                        ; kill: killed $vgpr1_vgpr2
	s_branch .LBB28_143
.LBB28_141:
	scratch_load_b32 v0, off, off offset:604 ; 4-byte Folded Reload
.LBB28_142:
	s_cbranch_execnz .LBB28_219
.LBB28_143:
	v_mov_b32_e32 v1, 0
	v_mov_b32_e32 v2, 0
	s_and_not1_b32 vcc_lo, exec_lo, s31
	scratch_store_b64 off, v[1:2], off      ; 8-byte Folded Spill
	v_mov_b32_e32 v1, 0
	v_mov_b32_e32 v2, 0
	scratch_store_b64 off, v[1:2], off offset:8 ; 8-byte Folded Spill
	s_wait_alu 0xfffe
	s_cbranch_vccnz .LBB28_219
; %bb.144:
	s_wait_loadcnt 0x0
	v_bfe_u32 v1, v0, 10, 10
	s_lshl_b64 s[2:3], s[16:17], 3
	s_mov_b64 s[20:21], 31
	s_mov_b64 s[22:23], s[16:17]
	s_clause 0x1
	scratch_store_b32 off, v0, off offset:604
	scratch_store_b32 off, v1, off offset:596
	v_lshlrev_b32_e32 v205, 5, v1
	v_lshlrev_b32_e32 v1, 8, v1
	v_and_b32_e32 v0, 0x3ff, v0
	s_delay_alu instid0(VALU_DEP_3) | instskip(SKIP_1) | instid1(VALU_DEP_3)
	v_add_co_u32 v175, s18, v205, s16
	s_wait_alu 0xfffe
	v_add_co_u32 v3, s2, v1, s2
	s_wait_alu 0xf1ff
	v_add_co_ci_u32_e64 v4, null, 0, s3, s2
	v_add_co_ci_u32_e64 v133, null, 0, 0, s18
	s_delay_alu instid0(VALU_DEP_3) | instskip(SKIP_1) | instid1(VALU_DEP_3)
	v_add_co_u32 v13, vcc_lo, v3, 8
	s_wait_alu 0xfffd
	v_add_co_ci_u32_e64 v9, null, 0, v4, vcc_lo
	v_add_co_u32 v17, vcc_lo, v3, 16
	v_mul_lo_u32 v7, s7, v175
	s_delay_alu instid0(VALU_DEP_3)
	v_mul_lo_u32 v20, s6, v9
	s_wait_alu 0xfffd
	v_add_co_ci_u32_e64 v9, null, 0, v4, vcc_lo
	v_add_co_u32 v21, vcc_lo, v3, 24
	s_wait_alu 0xfffd
	v_add_co_ci_u32_e64 v11, null, 0, v4, vcc_lo
	v_add_co_u32 v25, vcc_lo, v3, 32
	v_mul_lo_u32 v8, s6, v133
	v_mad_co_u64_u32 v[1:2], null, s6, v175, 0
	s_wait_alu 0xfffd
	v_add_co_ci_u32_e64 v14, null, 0, v4, vcc_lo
	v_add_co_u32 v27, vcc_lo, v3, 40
	s_wait_alu 0xfffd
	v_add_co_ci_u32_e64 v18, null, 0, v4, vcc_lo
	v_mad_co_u64_u32 v[5:6], null, s6, v13, s[8:9]
	v_mul_lo_u32 v19, s7, v13
	v_mul_lo_u32 v28, s6, v14
	v_mad_co_u64_u32 v[13:14], null, s6, v13, s[10:11]
	v_add3_u32 v2, v2, v8, v7
	v_mad_co_u64_u32 v[7:8], null, s6, v17, s[8:9]
	v_mul_lo_u32 v22, s6, v9
	v_mul_lo_u32 v23, s7, v17
	;; [unrolled: 1-line block ×3, first 2 shown]
	v_mad_co_u64_u32 v[17:18], null, s6, v17, s[10:11]
	v_add3_u32 v6, v19, v6, v20
	v_mad_co_u64_u32 v[9:10], null, s6, v21, s[8:9]
	v_mul_lo_u32 v24, s6, v11
	v_mul_lo_u32 v26, s7, v21
	v_add3_u32 v14, v19, v14, v20
	v_mad_co_u64_u32 v[19:20], null, s6, v21, s[10:11]
	v_mad_co_u64_u32 v[11:12], null, s6, v25, s[8:9]
	v_mul_lo_u32 v29, s7, v25
	v_add3_u32 v8, v23, v8, v22
	v_add3_u32 v18, v23, v18, v22
	v_mad_co_u64_u32 v[21:22], null, s6, v25, s[10:11]
	v_add_co_u32 v32, vcc_lo, v3, 48
	v_mad_co_u64_u32 v[15:16], null, s6, v27, s[8:9]
	v_mul_lo_u32 v31, s7, v27
	v_add3_u32 v10, v26, v10, v24
	v_add3_u32 v20, v26, v20, v24
	v_mad_co_u64_u32 v[25:26], null, s6, v27, s[10:11]
	s_wait_alu 0xfffd
	v_add_co_ci_u32_e64 v33, null, 0, v4, vcc_lo
	v_mad_co_u64_u32 v[23:24], null, s6, v32, s[8:9]
	v_add3_u32 v12, v29, v12, v28
	v_add3_u32 v22, v29, v22, v28
	v_mul_lo_u32 v34, s7, v32
	v_mad_co_u64_u32 v[27:28], null, s6, v32, s[10:11]
	v_add_co_u32 v32, vcc_lo, v3, 56
	s_wait_alu 0xfffd
	v_add_co_ci_u32_e64 v35, null, 0, v4, vcc_lo
	v_add_co_u32 v37, vcc_lo, v3, 64
	s_wait_alu 0xfffd
	v_add_co_ci_u32_e64 v38, null, 0, v4, vcc_lo
	v_mul_lo_u32 v33, s6, v33
	v_add3_u32 v16, v31, v16, v30
	v_add3_u32 v26, v31, v26, v30
	v_mad_co_u64_u32 v[29:30], null, s6, v32, s[8:9]
	v_mul_lo_u32 v35, s6, v35
	v_mul_lo_u32 v36, s7, v32
	v_mad_co_u64_u32 v[31:32], null, s6, v32, s[10:11]
	v_add_co_u32 v39, vcc_lo, 0x48, v3
	v_mul_lo_u32 v41, s6, v38
	s_wait_alu 0xfffd
	v_add_co_ci_u32_e64 v38, null, 0, v4, vcc_lo
	v_add_co_u32 v45, vcc_lo, 0x50, v3
	s_wait_alu 0xfffd
	v_add_co_ci_u32_e64 v46, null, 0, v4, vcc_lo
	v_add3_u32 v24, v34, v24, v33
	v_add3_u32 v28, v34, v28, v33
	;; [unrolled: 1-line block ×4, first 2 shown]
	v_mul_lo_u32 v42, s7, v37
	v_mad_co_u64_u32 v[33:34], null, s6, v37, s[8:9]
	v_mad_co_u64_u32 v[35:36], null, s6, v37, s[10:11]
	v_mul_lo_u32 v43, s6, v38
	v_mul_lo_u32 v44, s7, v39
	v_mad_co_u64_u32 v[37:38], null, s6, v39, s[8:9]
	v_mad_co_u64_u32 v[39:40], null, s6, v39, s[10:11]
	v_add_co_u32 v47, vcc_lo, 0x58, v3
	v_mul_lo_u32 v49, s6, v46
	s_wait_alu 0xfffd
	v_add_co_ci_u32_e64 v46, null, 0, v4, vcc_lo
	v_add_co_u32 v53, vcc_lo, 0x60, v3
	s_wait_alu 0xfffd
	v_add_co_ci_u32_e64 v54, null, 0, v4, vcc_lo
	v_add3_u32 v34, v42, v34, v41
	v_add3_u32 v36, v42, v36, v41
	;; [unrolled: 1-line block ×4, first 2 shown]
	v_mul_lo_u32 v50, s7, v45
	v_mad_co_u64_u32 v[41:42], null, s6, v45, s[8:9]
	v_mad_co_u64_u32 v[43:44], null, s6, v45, s[10:11]
	v_mul_lo_u32 v51, s6, v46
	v_mul_lo_u32 v52, s7, v47
	v_mad_co_u64_u32 v[45:46], null, s6, v47, s[8:9]
	v_mad_co_u64_u32 v[47:48], null, s6, v47, s[10:11]
	v_add_co_u32 v55, vcc_lo, 0x68, v3
	v_mul_lo_u32 v57, s6, v54
	s_wait_alu 0xfffd
	v_add_co_ci_u32_e64 v54, null, 0, v4, vcc_lo
	v_add3_u32 v42, v50, v42, v49
	v_add3_u32 v44, v50, v44, v49
	;; [unrolled: 1-line block ×4, first 2 shown]
	v_mul_lo_u32 v58, s7, v53
	v_mad_co_u64_u32 v[49:50], null, s6, v53, s[8:9]
	v_mad_co_u64_u32 v[51:52], null, s6, v53, s[10:11]
	v_mul_lo_u32 v59, s6, v54
	v_mul_lo_u32 v60, s7, v55
	v_mad_co_u64_u32 v[53:54], null, s6, v55, s[8:9]
	v_mad_co_u64_u32 v[55:56], null, s6, v55, s[10:11]
	v_add_co_u32 v61, vcc_lo, 0x70, v3
	s_wait_alu 0xfffd
	v_add_co_ci_u32_e64 v62, null, 0, v4, vcc_lo
	v_add3_u32 v50, v58, v50, v57
	v_add3_u32 v52, v58, v52, v57
	;; [unrolled: 1-line block ×4, first 2 shown]
	v_mul_lo_u32 v62, s6, v62
	v_mul_lo_u32 v63, s7, v61
	v_mad_co_u64_u32 v[57:58], null, s6, v61, s[8:9]
	v_mad_co_u64_u32 v[59:60], null, s6, v61, s[10:11]
	s_load_b32 s2, s[0:1], 0x44
	s_mov_b32 s3, 0
	v_add3_u32 v58, v63, v58, v62
	v_add3_u32 v60, v63, v60, v62
	v_add_co_u32 v63, vcc_lo, 0x78, v3
	s_wait_alu 0xfffd
	v_add_co_ci_u32_e64 v61, null, 0, v4, vcc_lo
	v_add_co_u32 v67, vcc_lo, 0x80, v3
	s_delay_alu instid0(VALU_DEP_3) | instskip(NEXT) | instid1(VALU_DEP_3)
	v_mul_lo_u32 v66, s7, v63
	v_mul_lo_u32 v65, s6, v61
	v_mad_co_u64_u32 v[61:62], null, s6, v63, s[8:9]
	v_mad_co_u64_u32 v[63:64], null, s6, v63, s[10:11]
	v_mul_lo_u32 v70, s7, v67
	s_delay_alu instid0(VALU_DEP_3) | instskip(NEXT) | instid1(VALU_DEP_3)
	v_add3_u32 v62, v66, v62, v65
	v_add3_u32 v64, v66, v64, v65
	s_wait_alu 0xfffd
	v_add_co_ci_u32_e64 v65, null, 0, v4, vcc_lo
	v_add_co_u32 v71, vcc_lo, 0x88, v3
	s_delay_alu instid0(VALU_DEP_2) | instskip(SKIP_2) | instid1(VALU_DEP_4)
	v_mul_lo_u32 v69, s6, v65
	v_mad_co_u64_u32 v[65:66], null, s6, v67, s[8:9]
	v_mad_co_u64_u32 v[67:68], null, s6, v67, s[10:11]
	v_mul_lo_u32 v74, s7, v71
	s_delay_alu instid0(VALU_DEP_3) | instskip(NEXT) | instid1(VALU_DEP_3)
	v_add3_u32 v66, v70, v66, v69
	v_add3_u32 v68, v70, v68, v69
	s_wait_alu 0xfffd
	v_add_co_ci_u32_e64 v69, null, 0, v4, vcc_lo
	v_add_co_u32 v75, vcc_lo, 0x90, v3
	s_delay_alu instid0(VALU_DEP_2) | instskip(SKIP_2) | instid1(VALU_DEP_4)
	;; [unrolled: 11-line block ×14, first 2 shown]
	v_mul_lo_u32 v121, s6, v117
	v_mad_co_u64_u32 v[117:118], null, s6, v119, s[8:9]
	v_mad_co_u64_u32 v[119:120], null, s6, v119, s[10:11]
	v_mul_lo_u32 v126, s7, v123
	s_delay_alu instid0(VALU_DEP_3) | instskip(NEXT) | instid1(VALU_DEP_3)
	v_add3_u32 v118, v122, v118, v121
	v_add3_u32 v120, v122, v120, v121
	s_wait_alu 0xfffd
	v_add_co_ci_u32_e64 v121, null, 0, v4, vcc_lo
	v_add_co_u32 v3, vcc_lo, 0xf8, v3
	s_wait_alu 0xfffd
	v_add_co_ci_u32_e64 v4, null, 0, v4, vcc_lo
	s_delay_alu instid0(VALU_DEP_3) | instskip(SKIP_2) | instid1(VALU_DEP_4)
	v_mul_lo_u32 v125, s6, v121
	v_mad_co_u64_u32 v[121:122], null, s6, v123, s[8:9]
	v_mad_co_u64_u32 v[123:124], null, s6, v123, s[10:11]
	v_mul_lo_u32 v4, s6, v4
	v_mul_lo_u32 v129, s7, v3
	v_mad_co_u64_u32 v[127:128], null, s6, v3, s[10:11]
	v_add3_u32 v122, v126, v122, v125
	v_add3_u32 v124, v126, v124, v125
	v_mad_co_u64_u32 v[125:126], null, s6, v3, s[8:9]
	v_add_co_u32 v3, vcc_lo, v175, 31
	v_add3_u32 v128, v129, v128, v4
	s_delay_alu instid0(VALU_DEP_2) | instskip(NEXT) | instid1(VALU_DEP_4)
	v_mul_lo_u32 v130, s7, v3
	v_add3_u32 v126, v129, v126, v4
	s_wait_alu 0xfffd
	v_add_co_ci_u32_e64 v4, null, 0, v133, vcc_lo
	s_delay_alu instid0(VALU_DEP_1) | instskip(SKIP_1) | instid1(VALU_DEP_1)
	v_mul_lo_u32 v129, s6, v4
	v_mad_co_u64_u32 v[3:4], null, s6, v3, 0
	v_add3_u32 v4, v4, v129, v130
	v_add_co_u32 v129, vcc_lo, v175, 30
	s_wait_alu 0xfffd
	v_add_co_ci_u32_e64 v130, null, 0, v133, vcc_lo
	s_delay_alu instid0(VALU_DEP_2) | instskip(NEXT) | instid1(VALU_DEP_2)
	v_mul_lo_u32 v132, s7, v129
	v_mul_lo_u32 v131, s6, v130
	v_mad_co_u64_u32 v[129:130], null, s6, v129, 0
	s_delay_alu instid0(VALU_DEP_1) | instskip(SKIP_3) | instid1(VALU_DEP_2)
	v_add3_u32 v130, v130, v131, v132
	v_add_co_u32 v131, vcc_lo, v175, 29
	s_wait_alu 0xfffd
	v_add_co_ci_u32_e64 v132, null, 0, v133, vcc_lo
	v_mul_lo_u32 v135, s7, v131
	s_delay_alu instid0(VALU_DEP_2) | instskip(SKIP_1) | instid1(VALU_DEP_1)
	v_mul_lo_u32 v134, s6, v132
	v_mad_co_u64_u32 v[131:132], null, s6, v131, 0
	v_add3_u32 v132, v132, v134, v135
	v_add_co_u32 v134, vcc_lo, v175, 28
	s_wait_alu 0xfffd
	v_add_co_ci_u32_e64 v135, null, 0, v133, vcc_lo
	s_delay_alu instid0(VALU_DEP_2) | instskip(NEXT) | instid1(VALU_DEP_2)
	v_mul_lo_u32 v137, s7, v134
	v_mul_lo_u32 v136, s6, v135
	v_mad_co_u64_u32 v[134:135], null, s6, v134, 0
	s_delay_alu instid0(VALU_DEP_1) | instskip(SKIP_3) | instid1(VALU_DEP_2)
	v_add3_u32 v135, v135, v136, v137
	v_add_co_u32 v136, vcc_lo, v175, 27
	s_wait_alu 0xfffd
	v_add_co_ci_u32_e64 v137, null, 0, v133, vcc_lo
	v_mul_lo_u32 v139, s7, v136
	s_delay_alu instid0(VALU_DEP_2) | instskip(SKIP_1) | instid1(VALU_DEP_1)
	v_mul_lo_u32 v138, s6, v137
	v_mad_co_u64_u32 v[136:137], null, s6, v136, 0
	v_add3_u32 v137, v137, v138, v139
	v_add_co_u32 v138, vcc_lo, v175, 26
	s_wait_alu 0xfffd
	v_add_co_ci_u32_e64 v139, null, 0, v133, vcc_lo
	s_delay_alu instid0(VALU_DEP_2) | instskip(NEXT) | instid1(VALU_DEP_2)
	v_mul_lo_u32 v141, s7, v138
	v_mul_lo_u32 v140, s6, v139
	v_mad_co_u64_u32 v[138:139], null, s6, v138, 0
	s_delay_alu instid0(VALU_DEP_1) | instskip(SKIP_3) | instid1(VALU_DEP_2)
	v_add3_u32 v139, v139, v140, v141
	v_add_co_u32 v140, vcc_lo, v175, 25
	s_wait_alu 0xfffd
	v_add_co_ci_u32_e64 v141, null, 0, v133, vcc_lo
	v_mul_lo_u32 v143, s7, v140
	s_delay_alu instid0(VALU_DEP_2) | instskip(SKIP_1) | instid1(VALU_DEP_1)
	v_mul_lo_u32 v142, s6, v141
	v_mad_co_u64_u32 v[140:141], null, s6, v140, 0
	v_add3_u32 v141, v141, v142, v143
	v_add_co_u32 v142, vcc_lo, v175, 24
	s_wait_alu 0xfffd
	v_add_co_ci_u32_e64 v143, null, 0, v133, vcc_lo
	s_delay_alu instid0(VALU_DEP_2) | instskip(NEXT) | instid1(VALU_DEP_2)
	v_mul_lo_u32 v145, s7, v142
	v_mul_lo_u32 v144, s6, v143
	v_mad_co_u64_u32 v[142:143], null, s6, v142, 0
	s_delay_alu instid0(VALU_DEP_1) | instskip(SKIP_3) | instid1(VALU_DEP_2)
	v_add3_u32 v143, v143, v144, v145
	v_add_co_u32 v144, vcc_lo, v175, 23
	s_wait_alu 0xfffd
	v_add_co_ci_u32_e64 v145, null, 0, v133, vcc_lo
	v_mul_lo_u32 v147, s7, v144
	s_delay_alu instid0(VALU_DEP_2) | instskip(SKIP_1) | instid1(VALU_DEP_1)
	v_mul_lo_u32 v146, s6, v145
	v_mad_co_u64_u32 v[144:145], null, s6, v144, 0
	v_add3_u32 v145, v145, v146, v147
	v_add_co_u32 v146, vcc_lo, v175, 22
	s_wait_alu 0xfffd
	v_add_co_ci_u32_e64 v147, null, 0, v133, vcc_lo
	s_delay_alu instid0(VALU_DEP_2) | instskip(NEXT) | instid1(VALU_DEP_2)
	v_mul_lo_u32 v149, s7, v146
	v_mul_lo_u32 v148, s6, v147
	v_mad_co_u64_u32 v[146:147], null, s6, v146, 0
	s_delay_alu instid0(VALU_DEP_1) | instskip(SKIP_3) | instid1(VALU_DEP_2)
	v_add3_u32 v147, v147, v148, v149
	v_add_co_u32 v148, vcc_lo, v175, 21
	s_wait_alu 0xfffd
	v_add_co_ci_u32_e64 v149, null, 0, v133, vcc_lo
	v_mul_lo_u32 v151, s7, v148
	s_delay_alu instid0(VALU_DEP_2) | instskip(SKIP_1) | instid1(VALU_DEP_1)
	v_mul_lo_u32 v150, s6, v149
	v_mad_co_u64_u32 v[148:149], null, s6, v148, 0
	v_add3_u32 v149, v149, v150, v151
	v_add_co_u32 v150, vcc_lo, v175, 20
	s_wait_alu 0xfffd
	v_add_co_ci_u32_e64 v151, null, 0, v133, vcc_lo
	s_delay_alu instid0(VALU_DEP_2) | instskip(NEXT) | instid1(VALU_DEP_2)
	v_mul_lo_u32 v153, s7, v150
	v_mul_lo_u32 v152, s6, v151
	v_mad_co_u64_u32 v[150:151], null, s6, v150, 0
	s_delay_alu instid0(VALU_DEP_1) | instskip(SKIP_3) | instid1(VALU_DEP_2)
	v_add3_u32 v151, v151, v152, v153
	v_add_co_u32 v152, vcc_lo, v175, 19
	s_wait_alu 0xfffd
	v_add_co_ci_u32_e64 v153, null, 0, v133, vcc_lo
	v_mul_lo_u32 v155, s7, v152
	s_delay_alu instid0(VALU_DEP_2) | instskip(SKIP_1) | instid1(VALU_DEP_1)
	v_mul_lo_u32 v154, s6, v153
	v_mad_co_u64_u32 v[152:153], null, s6, v152, 0
	v_add3_u32 v153, v153, v154, v155
	v_add_co_u32 v154, vcc_lo, v175, 18
	s_wait_alu 0xfffd
	v_add_co_ci_u32_e64 v155, null, 0, v133, vcc_lo
	s_delay_alu instid0(VALU_DEP_2) | instskip(NEXT) | instid1(VALU_DEP_2)
	v_mul_lo_u32 v157, s7, v154
	v_mul_lo_u32 v156, s6, v155
	v_mad_co_u64_u32 v[154:155], null, s6, v154, 0
	s_delay_alu instid0(VALU_DEP_1) | instskip(SKIP_3) | instid1(VALU_DEP_2)
	v_add3_u32 v155, v155, v156, v157
	v_add_co_u32 v156, vcc_lo, v175, 17
	s_wait_alu 0xfffd
	v_add_co_ci_u32_e64 v157, null, 0, v133, vcc_lo
	v_mul_lo_u32 v159, s7, v156
	s_delay_alu instid0(VALU_DEP_2) | instskip(SKIP_1) | instid1(VALU_DEP_1)
	v_mul_lo_u32 v158, s6, v157
	v_mad_co_u64_u32 v[156:157], null, s6, v156, 0
	v_add3_u32 v157, v157, v158, v159
	v_add_co_u32 v158, vcc_lo, v175, 16
	s_wait_alu 0xfffd
	v_add_co_ci_u32_e64 v159, null, 0, v133, vcc_lo
	s_delay_alu instid0(VALU_DEP_2) | instskip(NEXT) | instid1(VALU_DEP_2)
	v_mul_lo_u32 v161, s7, v158
	v_mul_lo_u32 v160, s6, v159
	v_mad_co_u64_u32 v[158:159], null, s6, v158, 0
	s_delay_alu instid0(VALU_DEP_1) | instskip(SKIP_3) | instid1(VALU_DEP_2)
	v_add3_u32 v159, v159, v160, v161
	v_add_co_u32 v160, vcc_lo, v175, 15
	s_wait_alu 0xfffd
	v_add_co_ci_u32_e64 v161, null, 0, v133, vcc_lo
	v_mul_lo_u32 v163, s7, v160
	s_delay_alu instid0(VALU_DEP_2) | instskip(SKIP_1) | instid1(VALU_DEP_1)
	v_mul_lo_u32 v162, s6, v161
	v_mad_co_u64_u32 v[160:161], null, s6, v160, 0
	v_add3_u32 v161, v161, v162, v163
	v_add_co_u32 v162, vcc_lo, v175, 14
	s_wait_alu 0xfffd
	v_add_co_ci_u32_e64 v163, null, 0, v133, vcc_lo
	s_delay_alu instid0(VALU_DEP_2) | instskip(NEXT) | instid1(VALU_DEP_2)
	v_mul_lo_u32 v165, s7, v162
	v_mul_lo_u32 v164, s6, v163
	v_mad_co_u64_u32 v[162:163], null, s6, v162, 0
	s_delay_alu instid0(VALU_DEP_1) | instskip(SKIP_3) | instid1(VALU_DEP_2)
	v_add3_u32 v163, v163, v164, v165
	v_add_co_u32 v164, vcc_lo, v175, 13
	s_wait_alu 0xfffd
	v_add_co_ci_u32_e64 v165, null, 0, v133, vcc_lo
	v_mul_lo_u32 v167, s7, v164
	s_delay_alu instid0(VALU_DEP_2) | instskip(SKIP_1) | instid1(VALU_DEP_1)
	v_mul_lo_u32 v166, s6, v165
	v_mad_co_u64_u32 v[164:165], null, s6, v164, 0
	v_add3_u32 v165, v165, v166, v167
	v_add_co_u32 v166, vcc_lo, v175, 12
	s_wait_alu 0xfffd
	v_add_co_ci_u32_e64 v167, null, 0, v133, vcc_lo
	s_delay_alu instid0(VALU_DEP_2) | instskip(NEXT) | instid1(VALU_DEP_2)
	v_mul_lo_u32 v169, s7, v166
	v_mul_lo_u32 v168, s6, v167
	v_mad_co_u64_u32 v[166:167], null, s6, v166, 0
	s_delay_alu instid0(VALU_DEP_1) | instskip(SKIP_3) | instid1(VALU_DEP_2)
	v_add3_u32 v167, v167, v168, v169
	v_add_co_u32 v168, vcc_lo, v175, 11
	s_wait_alu 0xfffd
	v_add_co_ci_u32_e64 v169, null, 0, v133, vcc_lo
	v_mul_lo_u32 v171, s7, v168
	s_delay_alu instid0(VALU_DEP_2) | instskip(SKIP_1) | instid1(VALU_DEP_1)
	v_mul_lo_u32 v170, s6, v169
	v_mad_co_u64_u32 v[168:169], null, s6, v168, 0
	v_add3_u32 v169, v169, v170, v171
	v_add_co_u32 v170, vcc_lo, v175, 10
	s_wait_alu 0xfffd
	v_add_co_ci_u32_e64 v171, null, 0, v133, vcc_lo
	s_delay_alu instid0(VALU_DEP_2) | instskip(NEXT) | instid1(VALU_DEP_2)
	v_mul_lo_u32 v173, s7, v170
	v_mul_lo_u32 v172, s6, v171
	v_mad_co_u64_u32 v[170:171], null, s6, v170, 0
	s_delay_alu instid0(VALU_DEP_1) | instskip(SKIP_3) | instid1(VALU_DEP_2)
	v_add3_u32 v171, v171, v172, v173
	v_add_co_u32 v172, vcc_lo, v175, 9
	s_wait_alu 0xfffd
	v_add_co_ci_u32_e64 v173, null, 0, v133, vcc_lo
	v_mul_lo_u32 v174, s7, v172
	v_mad_co_u64_u32 v[176:177], null, s6, v172, 0
	s_delay_alu instid0(VALU_DEP_3) | instskip(SKIP_1) | instid1(VALU_DEP_1)
	v_mul_lo_u32 v173, s6, v173
	v_add_co_u32 v172, vcc_lo, v175, 8
	v_mad_co_u64_u32 v[178:179], null, s6, v172, 0
	s_delay_alu instid0(VALU_DEP_3) | instskip(SKIP_4) | instid1(VALU_DEP_3)
	v_add3_u32 v177, v177, v173, v174
	s_wait_alu 0xfffd
	v_add_co_ci_u32_e64 v173, null, 0, v133, vcc_lo
	v_mul_lo_u32 v174, s7, v172
	v_add_co_u32 v172, vcc_lo, v175, 7
	v_mul_lo_u32 v173, s6, v173
	s_delay_alu instid0(VALU_DEP_2) | instskip(NEXT) | instid1(VALU_DEP_2)
	v_mad_co_u64_u32 v[180:181], null, s6, v172, 0
	v_add3_u32 v179, v179, v173, v174
	s_wait_alu 0xfffd
	v_add_co_ci_u32_e64 v173, null, 0, v133, vcc_lo
	v_mul_lo_u32 v174, s7, v172
	v_add_co_u32 v172, vcc_lo, v175, 6
	s_delay_alu instid0(VALU_DEP_3) | instskip(NEXT) | instid1(VALU_DEP_2)
	v_mul_lo_u32 v173, s6, v173
	v_mad_co_u64_u32 v[182:183], null, s6, v172, 0
	s_delay_alu instid0(VALU_DEP_2) | instskip(SKIP_4) | instid1(VALU_DEP_3)
	v_add3_u32 v181, v181, v173, v174
	s_wait_alu 0xfffd
	v_add_co_ci_u32_e64 v173, null, 0, v133, vcc_lo
	v_mul_lo_u32 v174, s7, v172
	v_add_co_u32 v172, vcc_lo, v175, 5
	v_mul_lo_u32 v173, s6, v173
	s_delay_alu instid0(VALU_DEP_2) | instskip(NEXT) | instid1(VALU_DEP_2)
	v_mad_co_u64_u32 v[184:185], null, s6, v172, 0
	v_add3_u32 v183, v183, v173, v174
	s_wait_alu 0xfffd
	v_add_co_ci_u32_e64 v173, null, 0, v133, vcc_lo
	v_mul_lo_u32 v174, s7, v172
	v_add_co_u32 v172, vcc_lo, v175, 4
	s_delay_alu instid0(VALU_DEP_3) | instskip(NEXT) | instid1(VALU_DEP_2)
	v_mul_lo_u32 v173, s6, v173
	v_mad_co_u64_u32 v[187:188], null, s6, v172, 0
	s_delay_alu instid0(VALU_DEP_2) | instskip(SKIP_4) | instid1(VALU_DEP_3)
	v_add3_u32 v185, v185, v173, v174
	s_wait_alu 0xfffd
	v_add_co_ci_u32_e64 v173, null, 0, v133, vcc_lo
	v_mul_lo_u32 v174, s7, v172
	v_add_co_u32 v172, vcc_lo, v175, 3
	v_mul_lo_u32 v173, s6, v173
	s_delay_alu instid0(VALU_DEP_2) | instskip(NEXT) | instid1(VALU_DEP_2)
	v_mad_co_u64_u32 v[189:190], null, s6, v172, 0
	v_add3_u32 v188, v188, v173, v174
	s_wait_alu 0xfffd
	v_add_co_ci_u32_e64 v173, null, 0, v133, vcc_lo
	v_mul_lo_u32 v174, s7, v172
	s_delay_alu instid0(VALU_DEP_2) | instskip(NEXT) | instid1(VALU_DEP_1)
	v_mul_lo_u32 v173, s6, v173
	v_add3_u32 v190, v190, v173, v174
	v_add_co_u32 v173, vcc_lo, v175, 2
	s_wait_alu 0xfffd
	v_add_co_ci_u32_e64 v133, null, 0, v133, vcc_lo
	v_add_co_u32 v199, vcc_lo, v1, s6
	s_wait_alu 0xfffd
	v_add_co_ci_u32_e64 v200, null, s7, v2, vcc_lo
	v_lshlrev_b64_e32 v[1:2], 3, v[1:2]
	v_mul_lo_u32 v172, s7, v173
	v_mad_co_u64_u32 v[193:194], null, s6, v173, 0
	v_mul_lo_u32 v133, s6, v133
	s_delay_alu instid0(VALU_DEP_4)
	v_add_co_u32 v210, vcc_lo, s8, v1
	s_wait_alu 0xfffd
	v_add_co_ci_u32_e64 v173, null, s9, v2, vcc_lo
	v_add_co_u32 v174, vcc_lo, s10, v1
	s_wait_alu 0xfffd
	v_add_co_ci_u32_e64 v175, null, s11, v2, vcc_lo
	v_lshlrev_b64_e32 v[1:2], 3, v[3:4]
	v_add3_u32 v194, v194, v133, v172
	s_delay_alu instid0(VALU_DEP_2)
	v_add_co_u32 v3, vcc_lo, s8, v1
	scratch_store_b32 off, v3, off offset:16 ; 4-byte Folded Spill
	s_wait_alu 0xfffd
	v_add_co_ci_u32_e64 v3, null, s9, v2, vcc_lo
	v_add_co_u32 v1, vcc_lo, s10, v1
	s_clause 0x1
	scratch_store_b32 off, v3, off offset:20
	scratch_store_b32 off, v1, off offset:24
	s_wait_alu 0xfffd
	v_add_co_ci_u32_e64 v1, null, s11, v2, vcc_lo
	scratch_store_b32 off, v1, off offset:28 ; 4-byte Folded Spill
	v_lshlrev_b64_e32 v[1:2], 3, v[129:130]
	v_mov_b32_e32 v130, 0
	s_delay_alu instid0(VALU_DEP_2) | instskip(NEXT) | instid1(VALU_DEP_2)
	v_add_co_u32 v3, vcc_lo, s8, v1
	v_mov_b32_e32 v209, v130
	scratch_store_b32 off, v0, off offset:600 ; 4-byte Folded Spill
	v_add_nc_u32_e32 v129, s30, v0
	scratch_store_b32 off, v3, off offset:32 ; 4-byte Folded Spill
	s_wait_alu 0xfffd
	v_add_co_ci_u32_e64 v3, null, s9, v2, vcc_lo
	v_add_co_u32 v1, vcc_lo, s10, v1
	s_clause 0x1
	scratch_store_b32 off, v3, off offset:36
	scratch_store_b32 off, v1, off offset:40
	s_wait_alu 0xfffd
	v_add_co_ci_u32_e64 v1, null, s11, v2, vcc_lo
	scratch_store_b32 off, v1, off offset:44 ; 4-byte Folded Spill
	v_lshlrev_b64_e32 v[1:2], 3, v[131:132]
	s_delay_alu instid0(VALU_DEP_1)
	v_add_co_u32 v3, vcc_lo, s8, v1
	scratch_store_b32 off, v3, off offset:48 ; 4-byte Folded Spill
	s_wait_alu 0xfffd
	v_add_co_ci_u32_e64 v3, null, s9, v2, vcc_lo
	v_add_co_u32 v1, vcc_lo, s10, v1
	s_clause 0x1
	scratch_store_b32 off, v3, off offset:52
	scratch_store_b32 off, v1, off offset:56
	s_wait_alu 0xfffd
	v_add_co_ci_u32_e64 v1, null, s11, v2, vcc_lo
	scratch_store_b32 off, v1, off offset:60 ; 4-byte Folded Spill
	v_lshlrev_b64_e32 v[1:2], 3, v[134:135]
	s_delay_alu instid0(VALU_DEP_1)
	v_add_co_u32 v3, vcc_lo, s8, v1
	scratch_store_b32 off, v3, off offset:64 ; 4-byte Folded Spill
	s_wait_alu 0xfffd
	v_add_co_ci_u32_e64 v3, null, s9, v2, vcc_lo
	v_add_co_u32 v1, vcc_lo, s10, v1
	s_clause 0x1
	scratch_store_b32 off, v3, off offset:68
	scratch_store_b32 off, v1, off offset:76
	s_wait_alu 0xfffd
	v_add_co_ci_u32_e64 v1, null, s11, v2, vcc_lo
	scratch_store_b32 off, v1, off offset:80 ; 4-byte Folded Spill
	v_lshlrev_b64_e32 v[1:2], 3, v[136:137]
	s_delay_alu instid0(VALU_DEP_1)
	v_add_co_u32 v3, vcc_lo, s8, v1
	scratch_store_b32 off, v3, off offset:84 ; 4-byte Folded Spill
	s_wait_alu 0xfffd
	v_add_co_ci_u32_e64 v3, null, s9, v2, vcc_lo
	v_add_co_u32 v1, vcc_lo, s10, v1
	s_clause 0x1
	scratch_store_b32 off, v3, off offset:88
	scratch_store_b32 off, v1, off offset:92
	s_wait_alu 0xfffd
	v_add_co_ci_u32_e64 v1, null, s11, v2, vcc_lo
	scratch_store_b32 off, v1, off offset:96 ; 4-byte Folded Spill
	v_lshlrev_b64_e32 v[1:2], 3, v[138:139]
	s_delay_alu instid0(VALU_DEP_1)
	v_add_co_u32 v3, vcc_lo, s8, v1
	scratch_store_b32 off, v3, off offset:100 ; 4-byte Folded Spill
	s_wait_alu 0xfffd
	v_add_co_ci_u32_e64 v3, null, s9, v2, vcc_lo
	v_add_co_u32 v1, vcc_lo, s10, v1
	s_clause 0x1
	scratch_store_b32 off, v3, off offset:104
	scratch_store_b32 off, v1, off offset:108
	s_wait_alu 0xfffd
	v_add_co_ci_u32_e64 v1, null, s11, v2, vcc_lo
	scratch_store_b32 off, v1, off offset:112 ; 4-byte Folded Spill
	v_lshlrev_b64_e32 v[1:2], 3, v[140:141]
	s_delay_alu instid0(VALU_DEP_1)
	v_add_co_u32 v3, vcc_lo, s8, v1
	scratch_store_b32 off, v3, off offset:116 ; 4-byte Folded Spill
	s_wait_alu 0xfffd
	v_add_co_ci_u32_e64 v3, null, s9, v2, vcc_lo
	v_add_co_u32 v1, vcc_lo, s10, v1
	s_clause 0x1
	scratch_store_b32 off, v3, off offset:120
	scratch_store_b32 off, v1, off offset:124
	s_wait_alu 0xfffd
	v_add_co_ci_u32_e64 v1, null, s11, v2, vcc_lo
	scratch_store_b32 off, v1, off offset:128 ; 4-byte Folded Spill
	v_lshlrev_b64_e32 v[1:2], 3, v[142:143]
	s_delay_alu instid0(VALU_DEP_1)
	v_add_co_u32 v3, vcc_lo, s8, v1
	scratch_store_b32 off, v3, off offset:132 ; 4-byte Folded Spill
	s_wait_alu 0xfffd
	v_add_co_ci_u32_e64 v3, null, s9, v2, vcc_lo
	v_add_co_u32 v1, vcc_lo, s10, v1
	s_clause 0x1
	scratch_store_b32 off, v3, off offset:136
	scratch_store_b32 off, v1, off offset:140
	s_wait_alu 0xfffd
	v_add_co_ci_u32_e64 v1, null, s11, v2, vcc_lo
	scratch_store_b32 off, v1, off offset:144 ; 4-byte Folded Spill
	v_lshlrev_b64_e32 v[1:2], 3, v[144:145]
	s_delay_alu instid0(VALU_DEP_1)
	v_add_co_u32 v3, vcc_lo, s8, v1
	scratch_store_b32 off, v3, off offset:148 ; 4-byte Folded Spill
	s_wait_alu 0xfffd
	v_add_co_ci_u32_e64 v3, null, s9, v2, vcc_lo
	v_add_co_u32 v1, vcc_lo, s10, v1
	s_clause 0x1
	scratch_store_b32 off, v3, off offset:152
	scratch_store_b32 off, v1, off offset:156
	s_wait_alu 0xfffd
	v_add_co_ci_u32_e64 v1, null, s11, v2, vcc_lo
	scratch_store_b32 off, v1, off offset:160 ; 4-byte Folded Spill
	v_lshlrev_b64_e32 v[1:2], 3, v[146:147]
	s_delay_alu instid0(VALU_DEP_1)
	v_add_co_u32 v3, vcc_lo, s8, v1
	scratch_store_b32 off, v3, off offset:164 ; 4-byte Folded Spill
	s_wait_alu 0xfffd
	v_add_co_ci_u32_e64 v3, null, s9, v2, vcc_lo
	v_add_co_u32 v1, vcc_lo, s10, v1
	s_clause 0x1
	scratch_store_b32 off, v3, off offset:168
	scratch_store_b32 off, v1, off offset:172
	s_wait_alu 0xfffd
	v_add_co_ci_u32_e64 v1, null, s11, v2, vcc_lo
	scratch_store_b32 off, v1, off offset:176 ; 4-byte Folded Spill
	v_lshlrev_b64_e32 v[1:2], 3, v[148:149]
	s_delay_alu instid0(VALU_DEP_1)
	v_add_co_u32 v3, vcc_lo, s8, v1
	scratch_store_b32 off, v3, off offset:180 ; 4-byte Folded Spill
	s_wait_alu 0xfffd
	v_add_co_ci_u32_e64 v3, null, s9, v2, vcc_lo
	v_add_co_u32 v1, vcc_lo, s10, v1
	s_clause 0x1
	scratch_store_b32 off, v3, off offset:184
	scratch_store_b32 off, v1, off offset:188
	s_wait_alu 0xfffd
	v_add_co_ci_u32_e64 v1, null, s11, v2, vcc_lo
	scratch_store_b32 off, v1, off offset:192 ; 4-byte Folded Spill
	v_lshlrev_b64_e32 v[1:2], 3, v[150:151]
	s_delay_alu instid0(VALU_DEP_1)
	v_add_co_u32 v3, vcc_lo, s8, v1
	scratch_store_b32 off, v3, off offset:196 ; 4-byte Folded Spill
	s_wait_alu 0xfffd
	v_add_co_ci_u32_e64 v3, null, s9, v2, vcc_lo
	v_add_co_u32 v1, vcc_lo, s10, v1
	s_clause 0x1
	scratch_store_b32 off, v3, off offset:200
	scratch_store_b32 off, v1, off offset:204
	s_wait_alu 0xfffd
	v_add_co_ci_u32_e64 v1, null, s11, v2, vcc_lo
	scratch_store_b32 off, v1, off offset:208 ; 4-byte Folded Spill
	v_lshlrev_b64_e32 v[1:2], 3, v[152:153]
	s_delay_alu instid0(VALU_DEP_1)
	v_add_co_u32 v3, vcc_lo, s8, v1
	scratch_store_b32 off, v3, off offset:212 ; 4-byte Folded Spill
	s_wait_alu 0xfffd
	v_add_co_ci_u32_e64 v3, null, s9, v2, vcc_lo
	v_add_co_u32 v1, vcc_lo, s10, v1
	s_clause 0x1
	scratch_store_b32 off, v3, off offset:216
	scratch_store_b32 off, v1, off offset:220
	s_wait_alu 0xfffd
	v_add_co_ci_u32_e64 v1, null, s11, v2, vcc_lo
	scratch_store_b32 off, v1, off offset:224 ; 4-byte Folded Spill
	v_lshlrev_b64_e32 v[1:2], 3, v[154:155]
	s_delay_alu instid0(VALU_DEP_1)
	v_add_co_u32 v3, vcc_lo, s8, v1
	scratch_store_b32 off, v3, off offset:228 ; 4-byte Folded Spill
	s_wait_alu 0xfffd
	v_add_co_ci_u32_e64 v3, null, s9, v2, vcc_lo
	v_add_co_u32 v1, vcc_lo, s10, v1
	s_clause 0x1
	scratch_store_b32 off, v3, off offset:232
	scratch_store_b32 off, v1, off offset:236
	s_wait_alu 0xfffd
	v_add_co_ci_u32_e64 v1, null, s11, v2, vcc_lo
	scratch_store_b32 off, v1, off offset:240 ; 4-byte Folded Spill
	v_lshlrev_b64_e32 v[1:2], 3, v[156:157]
	s_delay_alu instid0(VALU_DEP_1)
	v_add_co_u32 v3, vcc_lo, s8, v1
	scratch_store_b32 off, v3, off offset:244 ; 4-byte Folded Spill
	s_wait_alu 0xfffd
	v_add_co_ci_u32_e64 v3, null, s9, v2, vcc_lo
	v_add_co_u32 v1, vcc_lo, s10, v1
	s_clause 0x1
	scratch_store_b32 off, v3, off offset:248
	scratch_store_b32 off, v1, off offset:252
	s_wait_alu 0xfffd
	v_add_co_ci_u32_e64 v1, null, s11, v2, vcc_lo
	scratch_store_b32 off, v1, off offset:256 ; 4-byte Folded Spill
	v_lshlrev_b64_e32 v[1:2], 3, v[158:159]
	s_delay_alu instid0(VALU_DEP_1)
	v_add_co_u32 v3, vcc_lo, s8, v1
	scratch_store_b32 off, v3, off offset:260 ; 4-byte Folded Spill
	s_wait_alu 0xfffd
	v_add_co_ci_u32_e64 v3, null, s9, v2, vcc_lo
	v_add_co_u32 v1, vcc_lo, s10, v1
	s_clause 0x1
	scratch_store_b32 off, v3, off offset:264
	scratch_store_b32 off, v1, off offset:268
	s_wait_alu 0xfffd
	v_add_co_ci_u32_e64 v1, null, s11, v2, vcc_lo
	scratch_store_b32 off, v1, off offset:272 ; 4-byte Folded Spill
	v_lshlrev_b64_e32 v[1:2], 3, v[160:161]
	s_delay_alu instid0(VALU_DEP_1)
	v_add_co_u32 v3, vcc_lo, s8, v1
	scratch_store_b32 off, v3, off offset:276 ; 4-byte Folded Spill
	s_wait_alu 0xfffd
	v_add_co_ci_u32_e64 v3, null, s9, v2, vcc_lo
	v_add_co_u32 v1, vcc_lo, s10, v1
	s_clause 0x1
	scratch_store_b32 off, v3, off offset:280
	scratch_store_b32 off, v1, off offset:284
	s_wait_alu 0xfffd
	v_add_co_ci_u32_e64 v1, null, s11, v2, vcc_lo
	scratch_store_b32 off, v1, off offset:288 ; 4-byte Folded Spill
	v_lshlrev_b64_e32 v[1:2], 3, v[162:163]
	s_delay_alu instid0(VALU_DEP_1)
	v_add_co_u32 v3, vcc_lo, s8, v1
	scratch_store_b32 off, v3, off offset:292 ; 4-byte Folded Spill
	s_wait_alu 0xfffd
	v_add_co_ci_u32_e64 v3, null, s9, v2, vcc_lo
	v_add_co_u32 v1, vcc_lo, s10, v1
	s_clause 0x1
	scratch_store_b32 off, v3, off offset:296
	scratch_store_b32 off, v1, off offset:300
	s_wait_alu 0xfffd
	v_add_co_ci_u32_e64 v1, null, s11, v2, vcc_lo
	scratch_store_b32 off, v1, off offset:304 ; 4-byte Folded Spill
	v_lshlrev_b64_e32 v[1:2], 3, v[164:165]
	s_delay_alu instid0(VALU_DEP_1)
	v_add_co_u32 v3, vcc_lo, s8, v1
	scratch_store_b32 off, v3, off offset:308 ; 4-byte Folded Spill
	s_wait_alu 0xfffd
	v_add_co_ci_u32_e64 v3, null, s9, v2, vcc_lo
	v_add_co_u32 v1, vcc_lo, s10, v1
	s_clause 0x1
	scratch_store_b32 off, v3, off offset:312
	scratch_store_b32 off, v1, off offset:316
	s_wait_alu 0xfffd
	v_add_co_ci_u32_e64 v1, null, s11, v2, vcc_lo
	scratch_store_b32 off, v1, off offset:320 ; 4-byte Folded Spill
	v_lshlrev_b64_e32 v[1:2], 3, v[166:167]
	s_delay_alu instid0(VALU_DEP_1)
	v_add_co_u32 v3, vcc_lo, s8, v1
	scratch_store_b32 off, v3, off offset:324 ; 4-byte Folded Spill
	s_wait_alu 0xfffd
	v_add_co_ci_u32_e64 v3, null, s9, v2, vcc_lo
	v_add_co_u32 v1, vcc_lo, s10, v1
	s_clause 0x1
	scratch_store_b32 off, v3, off offset:328
	scratch_store_b32 off, v1, off offset:332
	s_wait_alu 0xfffd
	v_add_co_ci_u32_e64 v1, null, s11, v2, vcc_lo
	scratch_store_b32 off, v1, off offset:336 ; 4-byte Folded Spill
	v_lshlrev_b64_e32 v[1:2], 3, v[168:169]
	s_delay_alu instid0(VALU_DEP_1)
	v_add_co_u32 v3, vcc_lo, s8, v1
	scratch_store_b32 off, v3, off offset:340 ; 4-byte Folded Spill
	s_wait_alu 0xfffd
	v_add_co_ci_u32_e64 v3, null, s9, v2, vcc_lo
	v_add_co_u32 v1, vcc_lo, s10, v1
	s_clause 0x1
	scratch_store_b32 off, v3, off offset:344
	scratch_store_b32 off, v1, off offset:348
	s_wait_alu 0xfffd
	v_add_co_ci_u32_e64 v1, null, s11, v2, vcc_lo
	scratch_store_b32 off, v1, off offset:352 ; 4-byte Folded Spill
	v_lshlrev_b64_e32 v[1:2], 3, v[170:171]
	s_delay_alu instid0(VALU_DEP_1)
	v_add_co_u32 v3, vcc_lo, s8, v1
	scratch_store_b32 off, v3, off offset:356 ; 4-byte Folded Spill
	s_wait_alu 0xfffd
	v_add_co_ci_u32_e64 v3, null, s9, v2, vcc_lo
	v_add_co_u32 v1, vcc_lo, s10, v1
	s_clause 0x1
	scratch_store_b32 off, v3, off offset:360
	scratch_store_b32 off, v1, off offset:364
	s_wait_alu 0xfffd
	v_add_co_ci_u32_e64 v1, null, s11, v2, vcc_lo
	scratch_store_b32 off, v1, off offset:368 ; 4-byte Folded Spill
	v_lshlrev_b64_e32 v[1:2], 3, v[176:177]
	s_delay_alu instid0(VALU_DEP_1)
	v_add_co_u32 v3, vcc_lo, s8, v1
	scratch_store_b32 off, v3, off offset:372 ; 4-byte Folded Spill
	s_wait_alu 0xfffd
	v_add_co_ci_u32_e64 v3, null, s9, v2, vcc_lo
	v_add_co_u32 v1, vcc_lo, s10, v1
	s_clause 0x1
	scratch_store_b32 off, v3, off offset:376
	scratch_store_b32 off, v1, off offset:380
	s_wait_alu 0xfffd
	v_add_co_ci_u32_e64 v1, null, s11, v2, vcc_lo
	scratch_store_b32 off, v1, off offset:388 ; 4-byte Folded Spill
	v_lshlrev_b64_e32 v[1:2], 3, v[178:179]
	s_delay_alu instid0(VALU_DEP_1)
	v_add_co_u32 v3, vcc_lo, s8, v1
	scratch_store_b32 off, v3, off offset:384 ; 4-byte Folded Spill
	s_wait_alu 0xfffd
	v_add_co_ci_u32_e64 v3, null, s9, v2, vcc_lo
	v_add_co_u32 v1, vcc_lo, s10, v1
	s_clause 0x1
	scratch_store_b32 off, v3, off offset:392
	scratch_store_b32 off, v1, off offset:396
	s_wait_alu 0xfffd
	v_add_co_ci_u32_e64 v1, null, s11, v2, vcc_lo
	scratch_store_b32 off, v1, off offset:400 ; 4-byte Folded Spill
	v_lshlrev_b64_e32 v[1:2], 3, v[180:181]
	s_delay_alu instid0(VALU_DEP_1)
	v_add_co_u32 v3, vcc_lo, s8, v1
	scratch_store_b32 off, v3, off offset:404 ; 4-byte Folded Spill
	s_wait_alu 0xfffd
	v_add_co_ci_u32_e64 v3, null, s9, v2, vcc_lo
	v_add_co_u32 v1, vcc_lo, s10, v1
	s_clause 0x1
	scratch_store_b32 off, v3, off offset:408
	scratch_store_b32 off, v1, off offset:412
	s_wait_alu 0xfffd
	v_add_co_ci_u32_e64 v1, null, s11, v2, vcc_lo
	scratch_store_b32 off, v1, off offset:416 ; 4-byte Folded Spill
	v_lshlrev_b64_e32 v[1:2], 3, v[182:183]
	s_delay_alu instid0(VALU_DEP_1)
	v_add_co_u32 v3, vcc_lo, s8, v1
	scratch_store_b32 off, v3, off offset:420 ; 4-byte Folded Spill
	s_wait_alu 0xfffd
	v_add_co_ci_u32_e64 v3, null, s9, v2, vcc_lo
	v_add_co_u32 v1, vcc_lo, s10, v1
	s_clause 0x1
	scratch_store_b32 off, v3, off offset:424
	scratch_store_b32 off, v1, off offset:428
	s_wait_alu 0xfffd
	v_add_co_ci_u32_e64 v1, null, s11, v2, vcc_lo
	scratch_store_b32 off, v1, off offset:432 ; 4-byte Folded Spill
	v_lshlrev_b64_e32 v[1:2], 3, v[184:185]
	s_delay_alu instid0(VALU_DEP_1)
	v_add_co_u32 v3, vcc_lo, s8, v1
	scratch_store_b32 off, v3, off offset:436 ; 4-byte Folded Spill
	s_wait_alu 0xfffd
	v_add_co_ci_u32_e64 v3, null, s9, v2, vcc_lo
	v_add_co_u32 v1, vcc_lo, s10, v1
	scratch_store_b32 off, v1, off offset:444 ; 4-byte Folded Spill
	s_wait_alu 0xfffd
	v_add_co_ci_u32_e64 v1, null, s11, v2, vcc_lo
	scratch_store_b32 off, v1, off offset:448 ; 4-byte Folded Spill
	v_lshlrev_b64_e32 v[1:2], 3, v[187:188]
	s_delay_alu instid0(VALU_DEP_1) | instskip(SKIP_1) | instid1(VALU_DEP_2)
	v_add_co_u32 v187, vcc_lo, s8, v1
	s_wait_alu 0xfffd
	v_add_co_ci_u32_e64 v176, null, s9, v2, vcc_lo
	v_add_co_u32 v255, vcc_lo, s10, v1
	s_wait_alu 0xfffd
	v_add_co_ci_u32_e64 v188, null, s11, v2, vcc_lo
	v_lshlrev_b64_e32 v[1:2], 3, v[189:190]
	s_delay_alu instid0(VALU_DEP_1) | instskip(SKIP_1) | instid1(VALU_DEP_2)
	v_add_co_u32 v191, vcc_lo, s8, v1
	s_wait_alu 0xfffd
	v_add_co_ci_u32_e64 v192, null, s9, v2, vcc_lo
	v_add_co_u32 v195, vcc_lo, s10, v1
	s_wait_alu 0xfffd
	v_add_co_ci_u32_e64 v196, null, s11, v2, vcc_lo
	v_lshlrev_b64_e32 v[1:2], 3, v[193:194]
	s_delay_alu instid0(VALU_DEP_1) | instskip(SKIP_1) | instid1(VALU_DEP_2)
	v_add_co_u32 v197, vcc_lo, s8, v1
	s_wait_alu 0xfffd
	v_add_co_ci_u32_e64 v198, null, s9, v2, vcc_lo
	v_add_co_u32 v201, vcc_lo, s10, v1
	s_wait_alu 0xfffd
	v_add_co_ci_u32_e64 v202, null, s11, v2, vcc_lo
	v_lshlrev_b64_e32 v[1:2], 3, v[199:200]
	s_delay_alu instid0(VALU_DEP_1) | instskip(SKIP_1) | instid1(VALU_DEP_2)
	v_add_co_u32 v203, vcc_lo, s8, v1
	s_wait_alu 0xfffd
	v_add_co_ci_u32_e64 v204, null, s9, v2, vcc_lo
	v_add_co_u32 v207, vcc_lo, s10, v1
	v_mov_b32_e32 v0, 0
	v_mov_b32_e32 v1, 0
	s_wait_kmcnt 0x0
	s_lshl_b32 s8, s2, 5
	s_wait_alu 0xfffe
	s_mov_b32 s9, s3
	v_lshlrev_b64_e32 v[131:132], 3, v[129:130]
	s_wait_alu 0xfffd
	v_add_co_ci_u32_e64 v208, null, s11, v2, vcc_lo
	scratch_store_b64 off, v[0:1], off offset:8 ; 8-byte Folded Spill
	v_mov_b32_e32 v0, 0
	v_mov_b32_e32 v1, 0
	s_wait_alu 0xfffe
	s_mul_u64 s[18:19], s[6:7], s[8:9]
	s_add_nc_u64 s[10:11], s[0:1], 64
	s_wait_alu 0xfffe
	s_lshl_b64 s[18:19], s[18:19], 3
	s_clause 0x1
	scratch_store_b32 off, v3, off offset:440
	scratch_store_b64 off, v[0:1], off
	s_branch .LBB28_147
.LBB28_145:                             ;   in Loop: Header=BB28_147 Depth=1
	s_wait_alu 0xfffe
	s_or_b32 exec_lo, exec_lo, s2
	v_add_co_u32 v1, vcc_lo, v174, v131
	s_wait_alu 0xfffd
	v_add_co_ci_u32_e64 v2, null, v175, v132, vcc_lo
	s_wait_loadcnt 0x1
	ds_bpermute_b32 v3, v130, v133
	ds_bpermute_b32 v4, v130, v134
	scratch_load_b64 v[139:140], off, off offset:8 th:TH_LOAD_LU ; 8-byte Folded Reload
	global_load_b64 v[1:2], v[1:2], off
	s_wait_loadcnt 0x2
	ds_bpermute_b32 v141, v130, v135 offset:4
	ds_bpermute_b32 v142, v130, v136 offset:4
	;; [unrolled: 1-line block ×60, first 2 shown]
	s_wait_loadcnt_dscnt 0x3c
	v_add_f64_e64 v[1:2], v[1:2], -v[3:4]
	v_add_co_u32 v3, vcc_lo, v210, v131
	s_wait_alu 0xfffd
	v_add_co_ci_u32_e64 v4, null, v173, v132, vcc_lo
	global_load_b64 v[137:138], v[3:4], off
	ds_bpermute_b32 v3, v130, v135
	ds_bpermute_b32 v4, v130, v136
	s_wait_loadcnt 0x0
	v_mul_f64_e32 v[1:2], v[137:138], v[1:2]
	s_wait_dscnt 0x0
	s_delay_alu instid0(VALU_DEP_1)
	v_fma_f64 v[1:2], v[1:2], v[3:4], v[139:140]
	v_add_co_u32 v3, vcc_lo, v13, v131
	s_wait_alu 0xfffd
	v_add_co_ci_u32_e64 v4, null, v14, v132, vcc_lo
	ds_bpermute_b32 v139, v130, v133 offset:4
	ds_bpermute_b32 v140, v130, v134 offset:4
	global_load_b64 v[3:4], v[3:4], off
	s_wait_loadcnt_dscnt 0x0
	v_add_f64_e64 v[139:140], v[3:4], -v[139:140]
	v_add_co_u32 v3, vcc_lo, v5, v131
	s_wait_alu 0xfffd
	v_add_co_ci_u32_e64 v4, null, v6, v132, vcc_lo
	global_load_b64 v[3:4], v[3:4], off
	s_wait_loadcnt 0x0
	v_mul_f64_e32 v[139:140], v[3:4], v[139:140]
	s_delay_alu instid0(VALU_DEP_1)
	v_fma_f64 v[1:2], v[139:140], v[141:142], v[1:2]
	v_add_co_u32 v139, vcc_lo, v17, v131
	s_wait_alu 0xfffd
	v_add_co_ci_u32_e64 v140, null, v18, v132, vcc_lo
	ds_bpermute_b32 v141, v130, v133 offset:8
	ds_bpermute_b32 v142, v130, v134 offset:8
	global_load_b64 v[139:140], v[139:140], off
	s_wait_loadcnt_dscnt 0x0
	v_add_f64_e64 v[141:142], v[139:140], -v[141:142]
	v_add_co_u32 v139, vcc_lo, v7, v131
	s_wait_alu 0xfffd
	v_add_co_ci_u32_e64 v140, null, v8, v132, vcc_lo
	global_load_b64 v[139:140], v[139:140], off
	s_wait_loadcnt 0x0
	v_mul_f64_e32 v[141:142], v[139:140], v[141:142]
	;; [unrolled: 16-line block ×30, first 2 shown]
	s_delay_alu instid0(VALU_DEP_1) | instskip(SKIP_3) | instid1(VALU_DEP_1)
	v_fma_f64 v[161:162], v[163:164], v[237:238], v[161:162]
	scratch_load_b64 v[163:164], off, off th:TH_LOAD_LU ; 8-byte Folded Reload
	s_wait_loadcnt 0x0
	v_add_f64_e32 v[137:138], v[163:164], v[137:138]
	v_add_f64_e32 v[3:4], v[137:138], v[3:4]
	ds_bpermute_b32 v137, v130, v135 offset:124
	ds_bpermute_b32 v138, v130, v136 offset:124
	;; [unrolled: 1-line block ×4, first 2 shown]
	v_add_f64_e32 v[3:4], v[3:4], v[139:140]
	s_delay_alu instid0(VALU_DEP_1) | instskip(NEXT) | instid1(VALU_DEP_1)
	v_add_f64_e32 v[3:4], v[3:4], v[141:142]
	v_add_f64_e32 v[3:4], v[3:4], v[143:144]
	s_delay_alu instid0(VALU_DEP_1) | instskip(NEXT) | instid1(VALU_DEP_1)
	v_add_f64_e32 v[3:4], v[3:4], v[145:146]
	;; [unrolled: 3-line block ×14, first 2 shown]
	v_add_f64_e32 v[139:140], v[1:2], v[235:236]
	v_add_co_u32 v1, vcc_lo, v125, v131
	s_wait_alu 0xfffd
	v_add_co_ci_u32_e64 v2, null, v126, v132, vcc_lo
	v_add_co_u32 v3, vcc_lo, v127, v131
	s_wait_alu 0xfffd
	v_add_co_ci_u32_e64 v4, null, v128, v132, vcc_lo
	global_load_b64 v[249:250], v[1:2], off
	global_load_b64 v[1:2], v[3:4], off
.LBB28_146:                             ;   in Loop: Header=BB28_147 Depth=1
	s_wait_loadcnt_dscnt 0x0
	v_add_f64_e64 v[1:2], v[1:2], -v[135:136]
	v_add_co_u32 v210, vcc_lo, v210, s18
	s_wait_alu 0xfffd
	v_add_co_ci_u32_e64 v173, null, s19, v173, vcc_lo
	v_add_co_u32 v174, vcc_lo, v174, s18
	s_wait_alu 0xfffd
	v_add_co_ci_u32_e64 v175, null, s19, v175, vcc_lo
	v_add_co_u32 v5, vcc_lo, v5, s18
	s_wait_alu 0xfffd
	v_add_co_ci_u32_e64 v6, null, s19, v6, vcc_lo
	v_add_co_u32 v7, vcc_lo, v7, s18
	s_wait_alu 0xfffd
	v_add_co_ci_u32_e64 v8, null, s19, v8, vcc_lo
	v_add_co_u32 v9, vcc_lo, v9, s18
	s_wait_alu 0xfffd
	v_add_co_ci_u32_e64 v10, null, s19, v10, vcc_lo
	v_add_co_u32 v11, vcc_lo, v11, s18
	s_wait_alu 0xfffd
	v_add_co_ci_u32_e64 v12, null, s19, v12, vcc_lo
	v_add_co_u32 v15, vcc_lo, v15, s18
	s_wait_alu 0xfffd
	v_add_co_ci_u32_e64 v16, null, s19, v16, vcc_lo
	v_add_co_u32 v23, vcc_lo, v23, s18
	s_wait_alu 0xfffd
	v_add_co_ci_u32_e64 v24, null, s19, v24, vcc_lo
	v_add_co_u32 v29, vcc_lo, v29, s18
	s_wait_alu 0xfffd
	v_add_co_ci_u32_e64 v30, null, s19, v30, vcc_lo
	v_add_co_u32 v33, vcc_lo, v33, s18
	v_mul_f64_e32 v[1:2], v[249:250], v[1:2]
	s_wait_alu 0xfffd
	v_add_co_ci_u32_e64 v34, null, s19, v34, vcc_lo
	v_add_co_u32 v37, vcc_lo, v37, s18
	s_wait_alu 0xfffd
	v_add_co_ci_u32_e64 v38, null, s19, v38, vcc_lo
	v_add_co_u32 v41, vcc_lo, v41, s18
	;; [unrolled: 3-line block ×9, first 2 shown]
	s_wait_alu 0xfffd
	v_add_co_ci_u32_e64 v70, null, s19, v70, vcc_lo
	v_fma_f64 v[0:1], v[1:2], v[137:138], v[161:162]
	v_add_co_u32 v73, vcc_lo, v73, s18
	s_wait_alu 0xfffd
	v_add_co_ci_u32_e64 v74, null, s19, v74, vcc_lo
	v_add_co_u32 v77, vcc_lo, v77, s18
	s_wait_alu 0xfffd
	v_add_co_ci_u32_e64 v78, null, s19, v78, vcc_lo
	;; [unrolled: 3-line block ×9, first 2 shown]
	v_add_co_u32 v109, vcc_lo, v109, s18
	scratch_store_b64 off, v[0:1], off offset:8 ; 8-byte Folded Spill
	v_add_f64_e32 v[0:1], v[139:140], v[249:250]
	s_wait_alu 0xfffd
	v_add_co_ci_u32_e64 v110, null, s19, v110, vcc_lo
	v_add_co_u32 v113, vcc_lo, v113, s18
	s_wait_alu 0xfffd
	v_add_co_ci_u32_e64 v114, null, s19, v114, vcc_lo
	v_add_co_u32 v117, vcc_lo, v117, s18
	;; [unrolled: 3-line block ×9, first 2 shown]
	s_wait_alu 0xfffd
	v_add_co_ci_u32_e64 v26, null, s19, v26, vcc_lo
	scratch_store_b64 off, v[0:1], off      ; 8-byte Folded Spill
	scratch_load_b32 v0, off, off offset:16 ; 4-byte Folded Reload
	v_add_co_u32 v27, vcc_lo, v27, s18
	s_wait_alu 0xfffd
	v_add_co_ci_u32_e64 v28, null, s19, v28, vcc_lo
	v_add_co_u32 v31, vcc_lo, v31, s18
	s_wait_alu 0xfffd
	v_add_co_ci_u32_e64 v32, null, s19, v32, vcc_lo
	;; [unrolled: 3-line block ×23, first 2 shown]
	v_add_co_u32 v119, vcc_lo, v119, s18
	v_mov_b32_e32 v205, v129
	s_wait_alu 0xfffd
	v_add_co_ci_u32_e64 v120, null, s19, v120, vcc_lo
	v_add_co_u32 v123, vcc_lo, v123, s18
	s_wait_alu 0xfffd
	v_add_co_ci_u32_e64 v124, null, s19, v124, vcc_lo
	v_add_co_u32 v127, vcc_lo, v127, s18
	;; [unrolled: 3-line block ×3, first 2 shown]
	s_wait_alu 0xfffd
	v_add_co_ci_u32_e64 v209, null, 0, v209, vcc_lo
	s_add_nc_u64 s[22:23], s[22:23], s[8:9]
	s_add_nc_u64 s[20:21], s[20:21], s[8:9]
	s_wait_alu 0xfffe
	v_cmp_ge_i64_e64 s2, s[22:23], s[4:5]
	s_wait_loadcnt 0x0
	v_add_co_u32 v0, vcc_lo, v0, s18
	scratch_store_b32 off, v0, off offset:16 ; 4-byte Folded Spill
	scratch_load_b32 v0, off, off offset:20 ; 4-byte Folded Reload
	s_wait_loadcnt 0x0
	s_wait_alu 0xfffd
	v_add_co_ci_u32_e64 v0, null, s19, v0, vcc_lo
	scratch_store_b32 off, v0, off offset:20 ; 4-byte Folded Spill
	scratch_load_b32 v0, off, off offset:24 ; 4-byte Folded Reload
	s_wait_loadcnt 0x0
	v_add_co_u32 v0, vcc_lo, v0, s18
	scratch_store_b32 off, v0, off offset:24 ; 4-byte Folded Spill
	scratch_load_b32 v0, off, off offset:28 ; 4-byte Folded Reload
	s_wait_loadcnt 0x0
	s_wait_alu 0xfffd
	v_add_co_ci_u32_e64 v0, null, s19, v0, vcc_lo
	scratch_store_b32 off, v0, off offset:28 ; 4-byte Folded Spill
	scratch_load_b32 v0, off, off offset:32 ; 4-byte Folded Reload
	;; [unrolled: 9-line block ×53, first 2 shown]
	s_wait_loadcnt 0x0
	v_add_co_u32 v0, vcc_lo, v0, s18
	scratch_store_b32 off, v0, off offset:444 ; 4-byte Folded Spill
	scratch_load_b32 v0, off, off offset:448 ; 4-byte Folded Reload
	s_wait_loadcnt 0x0
	s_wait_alu 0xfffd
	v_add_co_ci_u32_e64 v0, null, s19, v0, vcc_lo
	v_add_co_u32 v187, vcc_lo, v187, s18
	s_wait_alu 0xfffd
	v_add_co_ci_u32_e64 v176, null, s19, v176, vcc_lo
	v_add_co_u32 v255, vcc_lo, v255, s18
	;; [unrolled: 3-line block ×8, first 2 shown]
	s_wait_alu 0xfffd
	v_add_co_ci_u32_e64 v208, null, s19, v208, vcc_lo
	s_and_b32 vcc_lo, exec_lo, s2
	scratch_store_b32 off, v0, off offset:448 ; 4-byte Folded Spill
	s_wait_alu 0xfffe
	s_cbranch_vccnz .LBB28_218
.LBB28_147:                             ; =>This Inner Loop Header: Depth=1
	s_add_nc_u64 s[24:25], s[16:17], s[20:21]
	v_add_co_u32 v133, vcc_lo, s16, v205
	s_wait_alu 0xfffe
	v_cmp_ge_i64_e64 s2, s[24:25], s[4:5]
	v_mov_b32_e32 v129, v205
	s_wait_alu 0xfffd
	v_add_co_ci_u32_e64 v134, null, 0, v209, vcc_lo
                                        ; implicit-def: $vgpr137_vgpr138
                                        ; implicit-def: $vgpr249_vgpr250
                                        ; implicit-def: $vgpr1_vgpr2
                                        ; implicit-def: $vgpr135
                                        ; implicit-def: $vgpr139_vgpr140
                                        ; implicit-def: $vgpr161_vgpr162
	s_and_b32 vcc_lo, exec_lo, s2
	s_mov_b32 s2, -1
	s_wait_alu 0xfffe
	s_cbranch_vccz .LBB28_215
; %bb.148:                              ;   in Loop: Header=BB28_147 Depth=1
	s_load_b32 s2, s[10:11], 0xc
	s_clause 0x1
	scratch_load_b32 v0, off, off offset:596
	scratch_load_b32 v1, off, off offset:600
	v_mov_b32_e32 v147, 0
	v_mov_b32_e32 v137, 0
	v_dual_mov_b32 v135, 0 :: v_dual_mov_b32 v138, 0
	v_mov_b32_e32 v136, 0
	v_mov_b32_e32 v148, 0
	s_wait_kmcnt 0x0
	s_and_b32 s2, s2, 0xffff
	s_wait_loadcnt 0x0
	s_wait_alu 0xfffe
	v_mad_u32_u24 v1, v0, s2, v1
	s_mov_b32 s2, exec_lo
	s_delay_alu instid0(VALU_DEP_1) | instskip(NEXT) | instid1(VALU_DEP_1)
	v_and_b32_e32 v1, 31, v1
	v_add_co_u32 v1, vcc_lo, v133, v1
	s_wait_alu 0xfffd
	v_add_co_ci_u32_e64 v2, null, 0, v134, vcc_lo
	s_delay_alu instid0(VALU_DEP_1)
	v_cmpx_gt_i64_e64 s[4:5], v[1:2]
	s_cbranch_execz .LBB28_150
; %bb.149:                              ;   in Loop: Header=BB28_147 Depth=1
	v_lshlrev_b64_e32 v[1:2], 3, v[1:2]
	s_delay_alu instid0(VALU_DEP_1) | instskip(SKIP_1) | instid1(VALU_DEP_2)
	v_add_co_u32 v3, vcc_lo, s12, v1
	s_wait_alu 0xfffd
	v_add_co_ci_u32_e64 v4, null, s13, v2, vcc_lo
	v_add_co_u32 v1, vcc_lo, s14, v1
	s_wait_alu 0xfffd
	v_add_co_ci_u32_e64 v2, null, s15, v2, vcc_lo
	global_load_b64 v[135:136], v[3:4], off
	global_load_b64 v[137:138], v[1:2], off
.LBB28_150:                             ;   in Loop: Header=BB28_147 Depth=1
	s_wait_alu 0xfffe
	s_or_b32 exec_lo, exec_lo, s2
	v_mov_b32_e32 v219, 0
	v_mov_b32_e32 v220, 0
	s_mov_b32 s2, exec_lo
	v_cmpx_gt_i64_e64 s[4:5], v[133:134]
	s_cbranch_execz .LBB28_152
; %bb.151:                              ;   in Loop: Header=BB28_147 Depth=1
	v_add_co_u32 v1, vcc_lo, v210, v131
	s_wait_alu 0xfffd
	v_add_co_ci_u32_e64 v2, null, v173, v132, vcc_lo
	v_add_co_u32 v3, vcc_lo, v174, v131
	s_wait_alu 0xfffd
	v_add_co_ci_u32_e64 v4, null, v175, v132, vcc_lo
	global_load_b64 v[147:148], v[1:2], off
	global_load_b64 v[219:220], v[3:4], off
.LBB28_152:                             ;   in Loop: Header=BB28_147 Depth=1
	s_wait_alu 0xfffe
	s_or_b32 exec_lo, exec_lo, s2
	v_add_co_u32 v1, vcc_lo, v133, 1
	s_wait_alu 0xfffd
	v_add_co_ci_u32_e64 v2, null, 0, v134, vcc_lo
	v_mov_b32_e32 v145, 0
	v_dual_mov_b32 v146, 0 :: v_dual_mov_b32 v149, 0
	s_delay_alu instid0(VALU_DEP_3)
	v_cmp_gt_i64_e32 vcc_lo, s[4:5], v[1:2]
	v_mov_b32_e32 v0, 0
	v_dual_mov_b32 v150, 0 :: v_dual_mov_b32 v1, 0
	scratch_store_b64 off, v[0:1], off offset:460 ; 8-byte Folded Spill
	s_and_saveexec_b32 s2, vcc_lo
	s_cbranch_execz .LBB28_154
; %bb.153:                              ;   in Loop: Header=BB28_147 Depth=1
	v_add_co_u32 v1, vcc_lo, v203, v131
	s_wait_alu 0xfffd
	v_add_co_ci_u32_e64 v2, null, v204, v132, vcc_lo
	v_add_co_u32 v3, vcc_lo, v207, v131
	s_wait_alu 0xfffd
	v_add_co_ci_u32_e64 v4, null, v208, v132, vcc_lo
	global_load_b64 v[149:150], v[1:2], off
	global_load_b64 v[0:1], v[3:4], off
	s_wait_loadcnt 0x0
	scratch_store_b64 off, v[0:1], off offset:460 ; 8-byte Folded Spill
.LBB28_154:                             ;   in Loop: Header=BB28_147 Depth=1
	s_wait_alu 0xfffe
	s_or_b32 exec_lo, exec_lo, s2
	v_add_co_u32 v1, vcc_lo, v133, 2
	s_wait_alu 0xfffd
	v_add_co_ci_u32_e64 v2, null, 0, v134, vcc_lo
	s_delay_alu instid0(VALU_DEP_1)
	v_cmp_gt_i64_e32 vcc_lo, s[4:5], v[1:2]
	v_mov_b32_e32 v0, 0
	v_mov_b32_e32 v1, 0
	scratch_store_b64 off, v[0:1], off offset:452 ; 8-byte Folded Spill
	s_and_saveexec_b32 s2, vcc_lo
	s_cbranch_execz .LBB28_156
; %bb.155:                              ;   in Loop: Header=BB28_147 Depth=1
	v_add_co_u32 v1, vcc_lo, v197, v131
	s_wait_alu 0xfffd
	v_add_co_ci_u32_e64 v2, null, v198, v132, vcc_lo
	v_add_co_u32 v3, vcc_lo, v201, v131
	s_wait_alu 0xfffd
	v_add_co_ci_u32_e64 v4, null, v202, v132, vcc_lo
	global_load_b64 v[145:146], v[1:2], off
	global_load_b64 v[0:1], v[3:4], off
	s_wait_loadcnt 0x0
	scratch_store_b64 off, v[0:1], off offset:452 ; 8-byte Folded Spill
.LBB28_156:                             ;   in Loop: Header=BB28_147 Depth=1
	s_wait_alu 0xfffe
	s_or_b32 exec_lo, exec_lo, s2
	v_add_co_u32 v1, vcc_lo, v133, 3
	s_wait_alu 0xfffd
	v_add_co_ci_u32_e64 v2, null, 0, v134, vcc_lo
	v_mov_b32_e32 v151, 0
	v_dual_mov_b32 v152, 0 :: v_dual_mov_b32 v227, 0
	s_delay_alu instid0(VALU_DEP_3)
	v_cmp_gt_i64_e32 vcc_lo, s[4:5], v[1:2]
	v_mov_b32_e32 v0, 0
	v_dual_mov_b32 v228, 0 :: v_dual_mov_b32 v1, 0
	scratch_store_b64 off, v[0:1], off offset:468 ; 8-byte Folded Spill
	s_and_saveexec_b32 s2, vcc_lo
	s_cbranch_execz .LBB28_158
; %bb.157:                              ;   in Loop: Header=BB28_147 Depth=1
	v_add_co_u32 v1, vcc_lo, v191, v131
	s_wait_alu 0xfffd
	v_add_co_ci_u32_e64 v2, null, v192, v132, vcc_lo
	v_add_co_u32 v3, vcc_lo, v195, v131
	s_wait_alu 0xfffd
	v_add_co_ci_u32_e64 v4, null, v196, v132, vcc_lo
	global_load_b64 v[227:228], v[1:2], off
	global_load_b64 v[0:1], v[3:4], off
	s_wait_loadcnt 0x0
	scratch_store_b64 off, v[0:1], off offset:468 ; 8-byte Folded Spill
.LBB28_158:                             ;   in Loop: Header=BB28_147 Depth=1
	s_wait_alu 0xfffe
	s_or_b32 exec_lo, exec_lo, s2
	v_add_co_u32 v1, vcc_lo, v133, 4
	s_wait_alu 0xfffd
	v_add_co_ci_u32_e64 v2, null, 0, v134, vcc_lo
	s_delay_alu instid0(VALU_DEP_1)
	v_cmp_gt_i64_e32 vcc_lo, s[4:5], v[1:2]
	v_mov_b32_e32 v0, 0
	v_mov_b32_e32 v1, 0
	scratch_store_b64 off, v[0:1], off offset:476 ; 8-byte Folded Spill
	s_and_saveexec_b32 s2, vcc_lo
	s_cbranch_execz .LBB28_160
; %bb.159:                              ;   in Loop: Header=BB28_147 Depth=1
	v_add_co_u32 v1, vcc_lo, v187, v131
	s_wait_alu 0xfffd
	v_add_co_ci_u32_e64 v2, null, v176, v132, vcc_lo
	v_add_co_u32 v3, vcc_lo, v255, v131
	s_wait_alu 0xfffd
	v_add_co_ci_u32_e64 v4, null, v188, v132, vcc_lo
	global_load_b64 v[151:152], v[1:2], off
	global_load_b64 v[0:1], v[3:4], off
	s_wait_loadcnt 0x0
	scratch_store_b64 off, v[0:1], off offset:476 ; 8-byte Folded Spill
.LBB28_160:                             ;   in Loop: Header=BB28_147 Depth=1
	s_wait_alu 0xfffe
	s_or_b32 exec_lo, exec_lo, s2
	v_add_co_u32 v1, vcc_lo, v133, 5
	s_wait_alu 0xfffd
	v_add_co_ci_u32_e64 v2, null, 0, v134, vcc_lo
	v_mov_b32_e32 v155, 0
	v_dual_mov_b32 v156, 0 :: v_dual_mov_b32 v157, 0
	s_delay_alu instid0(VALU_DEP_3)
	v_cmp_gt_i64_e32 vcc_lo, s[4:5], v[1:2]
	v_mov_b32_e32 v0, 0
	v_dual_mov_b32 v158, 0 :: v_dual_mov_b32 v1, 0
	scratch_store_b64 off, v[0:1], off offset:484 ; 8-byte Folded Spill
	s_and_saveexec_b32 s2, vcc_lo
	s_cbranch_execz .LBB28_162
; %bb.161:                              ;   in Loop: Header=BB28_147 Depth=1
	scratch_load_b32 v0, off, off offset:436 ; 4-byte Folded Reload
	s_wait_loadcnt 0x0
	v_add_co_u32 v1, vcc_lo, v0, v131
	scratch_load_b32 v0, off, off offset:440 ; 4-byte Folded Reload
	s_wait_loadcnt 0x0
	s_wait_alu 0xfffd
	v_add_co_ci_u32_e64 v2, null, v0, v132, vcc_lo
	scratch_load_b32 v0, off, off offset:444 ; 4-byte Folded Reload
	s_wait_loadcnt 0x0
	v_add_co_u32 v3, vcc_lo, v0, v131
	scratch_load_b32 v0, off, off offset:448 ; 4-byte Folded Reload
	s_wait_loadcnt 0x0
	s_wait_alu 0xfffd
	v_add_co_ci_u32_e64 v4, null, v0, v132, vcc_lo
	global_load_b64 v[157:158], v[1:2], off
	global_load_b64 v[0:1], v[3:4], off
	s_wait_loadcnt 0x0
	scratch_store_b64 off, v[0:1], off offset:484 ; 8-byte Folded Spill
.LBB28_162:                             ;   in Loop: Header=BB28_147 Depth=1
	s_wait_alu 0xfffe
	s_or_b32 exec_lo, exec_lo, s2
	v_add_co_u32 v1, vcc_lo, v133, 6
	s_wait_alu 0xfffd
	v_add_co_ci_u32_e64 v2, null, 0, v134, vcc_lo
	s_delay_alu instid0(VALU_DEP_1)
	v_cmp_gt_i64_e32 vcc_lo, s[4:5], v[1:2]
	v_mov_b32_e32 v0, 0
	v_mov_b32_e32 v1, 0
	scratch_store_b64 off, v[0:1], off offset:492 ; 8-byte Folded Spill
	s_and_saveexec_b32 s2, vcc_lo
	s_cbranch_execz .LBB28_164
; %bb.163:                              ;   in Loop: Header=BB28_147 Depth=1
	scratch_load_b32 v0, off, off offset:420 ; 4-byte Folded Reload
	s_wait_loadcnt 0x0
	v_add_co_u32 v1, vcc_lo, v0, v131
	scratch_load_b32 v0, off, off offset:424 ; 4-byte Folded Reload
	s_wait_loadcnt 0x0
	s_wait_alu 0xfffd
	v_add_co_ci_u32_e64 v2, null, v0, v132, vcc_lo
	scratch_load_b32 v0, off, off offset:428 ; 4-byte Folded Reload
	s_wait_loadcnt 0x0
	v_add_co_u32 v3, vcc_lo, v0, v131
	scratch_load_b32 v0, off, off offset:432 ; 4-byte Folded Reload
	s_wait_loadcnt 0x0
	s_wait_alu 0xfffd
	v_add_co_ci_u32_e64 v4, null, v0, v132, vcc_lo
	global_load_b64 v[155:156], v[1:2], off
	global_load_b64 v[0:1], v[3:4], off
	s_wait_loadcnt 0x0
	scratch_store_b64 off, v[0:1], off offset:492 ; 8-byte Folded Spill
.LBB28_164:                             ;   in Loop: Header=BB28_147 Depth=1
	s_wait_alu 0xfffe
	s_or_b32 exec_lo, exec_lo, s2
	v_add_co_u32 v1, vcc_lo, v133, 7
	s_wait_alu 0xfffd
	v_add_co_ci_u32_e64 v2, null, 0, v134, vcc_lo
	v_mov_b32_e32 v159, 0
	v_dual_mov_b32 v160, 0 :: v_dual_mov_b32 v221, 0
	s_delay_alu instid0(VALU_DEP_3)
	v_cmp_gt_i64_e32 vcc_lo, s[4:5], v[1:2]
	v_mov_b32_e32 v0, 0
	v_dual_mov_b32 v222, 0 :: v_dual_mov_b32 v1, 0
	scratch_store_b64 off, v[0:1], off offset:500 ; 8-byte Folded Spill
	s_and_saveexec_b32 s2, vcc_lo
	s_cbranch_execz .LBB28_166
; %bb.165:                              ;   in Loop: Header=BB28_147 Depth=1
	scratch_load_b32 v0, off, off offset:404 ; 4-byte Folded Reload
	s_wait_loadcnt 0x0
	v_add_co_u32 v1, vcc_lo, v0, v131
	scratch_load_b32 v0, off, off offset:408 ; 4-byte Folded Reload
	s_wait_loadcnt 0x0
	s_wait_alu 0xfffd
	v_add_co_ci_u32_e64 v2, null, v0, v132, vcc_lo
	scratch_load_b32 v0, off, off offset:412 ; 4-byte Folded Reload
	s_wait_loadcnt 0x0
	v_add_co_u32 v3, vcc_lo, v0, v131
	scratch_load_b32 v0, off, off offset:416 ; 4-byte Folded Reload
	s_wait_loadcnt 0x0
	s_wait_alu 0xfffd
	v_add_co_ci_u32_e64 v4, null, v0, v132, vcc_lo
	global_load_b64 v[221:222], v[1:2], off
	global_load_b64 v[0:1], v[3:4], off
	s_wait_loadcnt 0x0
	scratch_store_b64 off, v[0:1], off offset:500 ; 8-byte Folded Spill
.LBB28_166:                             ;   in Loop: Header=BB28_147 Depth=1
	s_wait_alu 0xfffe
	s_or_b32 exec_lo, exec_lo, s2
	v_add_co_u32 v1, vcc_lo, v133, 8
	s_wait_alu 0xfffd
	v_add_co_ci_u32_e64 v2, null, 0, v134, vcc_lo
	s_delay_alu instid0(VALU_DEP_1)
	v_cmp_gt_i64_e32 vcc_lo, s[4:5], v[1:2]
	v_mov_b32_e32 v0, 0
	v_mov_b32_e32 v1, 0
	scratch_store_b64 off, v[0:1], off offset:508 ; 8-byte Folded Spill
	s_and_saveexec_b32 s2, vcc_lo
	s_cbranch_execz .LBB28_168
; %bb.167:                              ;   in Loop: Header=BB28_147 Depth=1
	scratch_load_b32 v0, off, off offset:384 ; 4-byte Folded Reload
	s_wait_loadcnt 0x0
	v_add_co_u32 v1, vcc_lo, v0, v131
	scratch_load_b32 v0, off, off offset:392 ; 4-byte Folded Reload
	s_wait_loadcnt 0x0
	s_wait_alu 0xfffd
	v_add_co_ci_u32_e64 v2, null, v0, v132, vcc_lo
	scratch_load_b32 v0, off, off offset:396 ; 4-byte Folded Reload
	s_wait_loadcnt 0x0
	v_add_co_u32 v3, vcc_lo, v0, v131
	scratch_load_b32 v0, off, off offset:400 ; 4-byte Folded Reload
	s_wait_loadcnt 0x0
	s_wait_alu 0xfffd
	v_add_co_ci_u32_e64 v4, null, v0, v132, vcc_lo
	global_load_b64 v[159:160], v[1:2], off
	global_load_b64 v[0:1], v[3:4], off
	s_wait_loadcnt 0x0
	scratch_store_b64 off, v[0:1], off offset:508 ; 8-byte Folded Spill
.LBB28_168:                             ;   in Loop: Header=BB28_147 Depth=1
	s_wait_alu 0xfffe
	s_or_b32 exec_lo, exec_lo, s2
	v_add_co_u32 v1, vcc_lo, v133, 9
	s_wait_alu 0xfffd
	v_add_co_ci_u32_e64 v2, null, 0, v134, vcc_lo
	v_mov_b32_e32 v183, 0
	v_dual_mov_b32 v184, 0 :: v_dual_mov_b32 v181, 0
	s_delay_alu instid0(VALU_DEP_3)
	v_cmp_gt_i64_e32 vcc_lo, s[4:5], v[1:2]
	v_mov_b32_e32 v0, 0
	v_dual_mov_b32 v182, 0 :: v_dual_mov_b32 v1, 0
	scratch_store_b64 off, v[0:1], off offset:516 ; 8-byte Folded Spill
	s_and_saveexec_b32 s2, vcc_lo
	s_cbranch_execz .LBB28_170
; %bb.169:                              ;   in Loop: Header=BB28_147 Depth=1
	scratch_load_b32 v0, off, off offset:372 ; 4-byte Folded Reload
	s_wait_loadcnt 0x0
	v_add_co_u32 v1, vcc_lo, v0, v131
	scratch_load_b32 v0, off, off offset:376 ; 4-byte Folded Reload
	s_wait_loadcnt 0x0
	s_wait_alu 0xfffd
	v_add_co_ci_u32_e64 v2, null, v0, v132, vcc_lo
	scratch_load_b32 v0, off, off offset:380 ; 4-byte Folded Reload
	s_wait_loadcnt 0x0
	v_add_co_u32 v3, vcc_lo, v0, v131
	scratch_load_b32 v0, off, off offset:388 ; 4-byte Folded Reload
	s_wait_loadcnt 0x0
	s_wait_alu 0xfffd
	v_add_co_ci_u32_e64 v4, null, v0, v132, vcc_lo
	global_load_b64 v[181:182], v[1:2], off
	global_load_b64 v[0:1], v[3:4], off
	s_wait_loadcnt 0x0
	scratch_store_b64 off, v[0:1], off offset:516 ; 8-byte Folded Spill
.LBB28_170:                             ;   in Loop: Header=BB28_147 Depth=1
	s_wait_alu 0xfffe
	s_or_b32 exec_lo, exec_lo, s2
	v_add_co_u32 v1, vcc_lo, v133, 10
	s_wait_alu 0xfffd
	v_add_co_ci_u32_e64 v2, null, 0, v134, vcc_lo
	s_delay_alu instid0(VALU_DEP_1)
	v_cmp_gt_i64_e32 vcc_lo, s[4:5], v[1:2]
	v_mov_b32_e32 v0, 0
	v_mov_b32_e32 v1, 0
	scratch_store_b64 off, v[0:1], off offset:524 ; 8-byte Folded Spill
	s_and_saveexec_b32 s2, vcc_lo
	s_cbranch_execz .LBB28_172
; %bb.171:                              ;   in Loop: Header=BB28_147 Depth=1
	scratch_load_b32 v0, off, off offset:356 ; 4-byte Folded Reload
	s_wait_loadcnt 0x0
	v_add_co_u32 v1, vcc_lo, v0, v131
	scratch_load_b32 v0, off, off offset:360 ; 4-byte Folded Reload
	s_wait_loadcnt 0x0
	s_wait_alu 0xfffd
	v_add_co_ci_u32_e64 v2, null, v0, v132, vcc_lo
	scratch_load_b32 v0, off, off offset:364 ; 4-byte Folded Reload
	s_wait_loadcnt 0x0
	v_add_co_u32 v3, vcc_lo, v0, v131
	scratch_load_b32 v0, off, off offset:368 ; 4-byte Folded Reload
	s_wait_loadcnt 0x0
	s_wait_alu 0xfffd
	v_add_co_ci_u32_e64 v4, null, v0, v132, vcc_lo
	global_load_b64 v[183:184], v[1:2], off
	global_load_b64 v[0:1], v[3:4], off
	s_wait_loadcnt 0x0
	scratch_store_b64 off, v[0:1], off offset:524 ; 8-byte Folded Spill
.LBB28_172:                             ;   in Loop: Header=BB28_147 Depth=1
	s_wait_alu 0xfffe
	s_or_b32 exec_lo, exec_lo, s2
	v_add_co_u32 v1, vcc_lo, v133, 11
	s_wait_alu 0xfffd
	v_add_co_ci_u32_e64 v2, null, 0, v134, vcc_lo
	v_mov_b32_e32 v161, 0
	v_dual_mov_b32 v162, 0 :: v_dual_mov_b32 v163, 0
	s_delay_alu instid0(VALU_DEP_3)
	v_cmp_gt_i64_e32 vcc_lo, s[4:5], v[1:2]
	v_mov_b32_e32 v0, 0
	v_dual_mov_b32 v164, 0 :: v_dual_mov_b32 v1, 0
	scratch_store_b64 off, v[0:1], off offset:532 ; 8-byte Folded Spill
	s_and_saveexec_b32 s2, vcc_lo
	s_cbranch_execz .LBB28_174
; %bb.173:                              ;   in Loop: Header=BB28_147 Depth=1
	scratch_load_b32 v0, off, off offset:340 ; 4-byte Folded Reload
	s_wait_loadcnt 0x0
	v_add_co_u32 v1, vcc_lo, v0, v131
	scratch_load_b32 v0, off, off offset:344 ; 4-byte Folded Reload
	s_wait_loadcnt 0x0
	s_wait_alu 0xfffd
	v_add_co_ci_u32_e64 v2, null, v0, v132, vcc_lo
	scratch_load_b32 v0, off, off offset:348 ; 4-byte Folded Reload
	s_wait_loadcnt 0x0
	v_add_co_u32 v3, vcc_lo, v0, v131
	scratch_load_b32 v0, off, off offset:352 ; 4-byte Folded Reload
	s_wait_loadcnt 0x0
	s_wait_alu 0xfffd
	v_add_co_ci_u32_e64 v4, null, v0, v132, vcc_lo
	global_load_b64 v[163:164], v[1:2], off
	global_load_b64 v[0:1], v[3:4], off
	s_wait_loadcnt 0x0
	scratch_store_b64 off, v[0:1], off offset:532 ; 8-byte Folded Spill
.LBB28_174:                             ;   in Loop: Header=BB28_147 Depth=1
	s_wait_alu 0xfffe
	s_or_b32 exec_lo, exec_lo, s2
	v_add_co_u32 v1, vcc_lo, v133, 12
	s_wait_alu 0xfffd
	v_add_co_ci_u32_e64 v2, null, 0, v134, vcc_lo
	s_delay_alu instid0(VALU_DEP_1)
	v_cmp_gt_i64_e32 vcc_lo, s[4:5], v[1:2]
	v_mov_b32_e32 v0, 0
	v_mov_b32_e32 v1, 0
	scratch_store_b64 off, v[0:1], off offset:540 ; 8-byte Folded Spill
	s_and_saveexec_b32 s2, vcc_lo
	s_cbranch_execz .LBB28_176
; %bb.175:                              ;   in Loop: Header=BB28_147 Depth=1
	scratch_load_b32 v0, off, off offset:324 ; 4-byte Folded Reload
	s_wait_loadcnt 0x0
	v_add_co_u32 v1, vcc_lo, v0, v131
	scratch_load_b32 v0, off, off offset:328 ; 4-byte Folded Reload
	s_wait_loadcnt 0x0
	s_wait_alu 0xfffd
	v_add_co_ci_u32_e64 v2, null, v0, v132, vcc_lo
	scratch_load_b32 v0, off, off offset:332 ; 4-byte Folded Reload
	s_wait_loadcnt 0x0
	v_add_co_u32 v3, vcc_lo, v0, v131
	scratch_load_b32 v0, off, off offset:336 ; 4-byte Folded Reload
	s_wait_loadcnt 0x0
	s_wait_alu 0xfffd
	v_add_co_ci_u32_e64 v4, null, v0, v132, vcc_lo
	global_load_b64 v[161:162], v[1:2], off
	global_load_b64 v[0:1], v[3:4], off
	s_wait_loadcnt 0x0
	scratch_store_b64 off, v[0:1], off offset:540 ; 8-byte Folded Spill
.LBB28_176:                             ;   in Loop: Header=BB28_147 Depth=1
	s_wait_alu 0xfffe
	s_or_b32 exec_lo, exec_lo, s2
	v_add_co_u32 v1, vcc_lo, v133, 13
	s_wait_alu 0xfffd
	v_add_co_ci_u32_e64 v2, null, 0, v134, vcc_lo
	v_mov_b32_e32 v165, 0
	v_dual_mov_b32 v166, 0 :: v_dual_mov_b32 v167, 0
	s_delay_alu instid0(VALU_DEP_3)
	v_cmp_gt_i64_e32 vcc_lo, s[4:5], v[1:2]
	v_mov_b32_e32 v0, 0
	v_dual_mov_b32 v168, 0 :: v_dual_mov_b32 v1, 0
	scratch_store_b64 off, v[0:1], off offset:548 ; 8-byte Folded Spill
	s_and_saveexec_b32 s2, vcc_lo
	s_cbranch_execz .LBB28_178
; %bb.177:                              ;   in Loop: Header=BB28_147 Depth=1
	scratch_load_b32 v0, off, off offset:308 ; 4-byte Folded Reload
	s_wait_loadcnt 0x0
	v_add_co_u32 v1, vcc_lo, v0, v131
	scratch_load_b32 v0, off, off offset:312 ; 4-byte Folded Reload
	s_wait_loadcnt 0x0
	s_wait_alu 0xfffd
	v_add_co_ci_u32_e64 v2, null, v0, v132, vcc_lo
	scratch_load_b32 v0, off, off offset:316 ; 4-byte Folded Reload
	s_wait_loadcnt 0x0
	v_add_co_u32 v3, vcc_lo, v0, v131
	scratch_load_b32 v0, off, off offset:320 ; 4-byte Folded Reload
	s_wait_loadcnt 0x0
	s_wait_alu 0xfffd
	v_add_co_ci_u32_e64 v4, null, v0, v132, vcc_lo
	global_load_b64 v[167:168], v[1:2], off
	global_load_b64 v[0:1], v[3:4], off
	s_wait_loadcnt 0x0
	scratch_store_b64 off, v[0:1], off offset:548 ; 8-byte Folded Spill
.LBB28_178:                             ;   in Loop: Header=BB28_147 Depth=1
	s_wait_alu 0xfffe
	s_or_b32 exec_lo, exec_lo, s2
	v_add_co_u32 v1, vcc_lo, v133, 14
	s_wait_alu 0xfffd
	v_add_co_ci_u32_e64 v2, null, 0, v134, vcc_lo
	s_delay_alu instid0(VALU_DEP_1)
	v_cmp_gt_i64_e32 vcc_lo, s[4:5], v[1:2]
	v_mov_b32_e32 v0, 0
	v_mov_b32_e32 v1, 0
	scratch_store_b64 off, v[0:1], off offset:556 ; 8-byte Folded Spill
	s_and_saveexec_b32 s2, vcc_lo
	s_cbranch_execz .LBB28_180
; %bb.179:                              ;   in Loop: Header=BB28_147 Depth=1
	scratch_load_b32 v0, off, off offset:292 ; 4-byte Folded Reload
	s_wait_loadcnt 0x0
	v_add_co_u32 v1, vcc_lo, v0, v131
	scratch_load_b32 v0, off, off offset:296 ; 4-byte Folded Reload
	s_wait_loadcnt 0x0
	s_wait_alu 0xfffd
	v_add_co_ci_u32_e64 v2, null, v0, v132, vcc_lo
	scratch_load_b32 v0, off, off offset:300 ; 4-byte Folded Reload
	s_wait_loadcnt 0x0
	v_add_co_u32 v3, vcc_lo, v0, v131
	scratch_load_b32 v0, off, off offset:304 ; 4-byte Folded Reload
	s_wait_loadcnt 0x0
	s_wait_alu 0xfffd
	v_add_co_ci_u32_e64 v4, null, v0, v132, vcc_lo
	global_load_b64 v[165:166], v[1:2], off
	global_load_b64 v[0:1], v[3:4], off
	s_wait_loadcnt 0x0
	scratch_store_b64 off, v[0:1], off offset:556 ; 8-byte Folded Spill
.LBB28_180:                             ;   in Loop: Header=BB28_147 Depth=1
	s_wait_alu 0xfffe
	s_or_b32 exec_lo, exec_lo, s2
	v_add_co_u32 v1, vcc_lo, v133, 15
	v_mov_b32_e32 v177, 0
	v_dual_mov_b32 v178, 0 :: v_dual_mov_b32 v179, 0
	v_mov_b32_e32 v225, 0
	s_wait_alu 0xfffd
	v_add_co_ci_u32_e64 v2, null, 0, v134, vcc_lo
	v_mov_b32_e32 v180, 0
	v_mov_b32_e32 v226, 0
	s_mov_b32 s2, exec_lo
	s_delay_alu instid0(VALU_DEP_3)
	v_cmpx_gt_i64_e64 s[4:5], v[1:2]
	s_cbranch_execz .LBB28_182
; %bb.181:                              ;   in Loop: Header=BB28_147 Depth=1
	scratch_load_b32 v0, off, off offset:276 ; 4-byte Folded Reload
	s_wait_loadcnt 0x0
	v_add_co_u32 v1, vcc_lo, v0, v131
	scratch_load_b32 v0, off, off offset:280 ; 4-byte Folded Reload
	s_wait_loadcnt 0x0
	s_wait_alu 0xfffd
	v_add_co_ci_u32_e64 v2, null, v0, v132, vcc_lo
	scratch_load_b32 v0, off, off offset:284 ; 4-byte Folded Reload
	s_wait_loadcnt 0x0
	v_add_co_u32 v3, vcc_lo, v0, v131
	scratch_load_b32 v0, off, off offset:288 ; 4-byte Folded Reload
	s_wait_loadcnt 0x0
	s_wait_alu 0xfffd
	v_add_co_ci_u32_e64 v4, null, v0, v132, vcc_lo
	global_load_b64 v[179:180], v[1:2], off
	global_load_b64 v[225:226], v[3:4], off
.LBB28_182:                             ;   in Loop: Header=BB28_147 Depth=1
	s_wait_alu 0xfffe
	s_or_b32 exec_lo, exec_lo, s2
	v_add_co_u32 v1, vcc_lo, v133, 16
	s_wait_alu 0xfffd
	v_add_co_ci_u32_e64 v2, null, 0, v134, vcc_lo
	s_delay_alu instid0(VALU_DEP_1)
	v_cmp_gt_i64_e32 vcc_lo, s[4:5], v[1:2]
	v_mov_b32_e32 v0, 0
	v_mov_b32_e32 v1, 0
	scratch_store_b64 off, v[0:1], off offset:572 ; 8-byte Folded Spill
	s_and_saveexec_b32 s2, vcc_lo
	s_cbranch_execz .LBB28_184
; %bb.183:                              ;   in Loop: Header=BB28_147 Depth=1
	scratch_load_b32 v0, off, off offset:260 ; 4-byte Folded Reload
	s_wait_loadcnt 0x0
	v_add_co_u32 v1, vcc_lo, v0, v131
	scratch_load_b32 v0, off, off offset:264 ; 4-byte Folded Reload
	s_wait_loadcnt 0x0
	s_wait_alu 0xfffd
	v_add_co_ci_u32_e64 v2, null, v0, v132, vcc_lo
	scratch_load_b32 v0, off, off offset:268 ; 4-byte Folded Reload
	s_wait_loadcnt 0x0
	v_add_co_u32 v139, vcc_lo, v0, v131
	scratch_load_b32 v0, off, off offset:272 ; 4-byte Folded Reload
	s_wait_loadcnt 0x0
	s_wait_alu 0xfffd
	v_add_co_ci_u32_e64 v140, null, v0, v132, vcc_lo
	global_load_b64 v[177:178], v[1:2], off
	global_load_b64 v[0:1], v[139:140], off
	s_wait_loadcnt 0x0
	scratch_store_b64 off, v[0:1], off offset:572 ; 8-byte Folded Spill
.LBB28_184:                             ;   in Loop: Header=BB28_147 Depth=1
	s_wait_alu 0xfffe
	s_or_b32 exec_lo, exec_lo, s2
	v_add_co_u32 v1, vcc_lo, v133, 17
	s_wait_alu 0xfffd
	v_add_co_ci_u32_e64 v2, null, 0, v134, vcc_lo
	v_mov_b32_e32 v189, 0
	v_dual_mov_b32 v190, 0 :: v_dual_mov_b32 v193, 0
	s_delay_alu instid0(VALU_DEP_3)
	v_cmp_gt_i64_e32 vcc_lo, s[4:5], v[1:2]
	v_mov_b32_e32 v0, 0
	v_dual_mov_b32 v194, 0 :: v_dual_mov_b32 v1, 0
	scratch_store_b64 off, v[0:1], off offset:580 ; 8-byte Folded Spill
	s_and_saveexec_b32 s2, vcc_lo
	s_cbranch_execz .LBB28_186
; %bb.185:                              ;   in Loop: Header=BB28_147 Depth=1
	scratch_load_b32 v0, off, off offset:244 ; 4-byte Folded Reload
	s_wait_loadcnt 0x0
	v_add_co_u32 v1, vcc_lo, v0, v131
	scratch_load_b32 v0, off, off offset:248 ; 4-byte Folded Reload
	s_wait_loadcnt 0x0
	s_wait_alu 0xfffd
	v_add_co_ci_u32_e64 v2, null, v0, v132, vcc_lo
	scratch_load_b32 v0, off, off offset:252 ; 4-byte Folded Reload
	s_wait_loadcnt 0x0
	v_add_co_u32 v139, vcc_lo, v0, v131
	scratch_load_b32 v0, off, off offset:256 ; 4-byte Folded Reload
	s_wait_loadcnt 0x0
	s_wait_alu 0xfffd
	v_add_co_ci_u32_e64 v140, null, v0, v132, vcc_lo
	global_load_b64 v[193:194], v[1:2], off
	global_load_b64 v[0:1], v[139:140], off
	s_wait_loadcnt 0x0
	scratch_store_b64 off, v[0:1], off offset:580 ; 8-byte Folded Spill
.LBB28_186:                             ;   in Loop: Header=BB28_147 Depth=1
	s_wait_alu 0xfffe
	s_or_b32 exec_lo, exec_lo, s2
	v_add_co_u32 v1, vcc_lo, v133, 18
	v_mov_b32_e32 v185, 0
	s_wait_alu 0xfffd
	v_add_co_ci_u32_e64 v2, null, 0, v134, vcc_lo
	v_mov_b32_e32 v186, 0
	s_mov_b32 s2, exec_lo
	s_delay_alu instid0(VALU_DEP_2)
	v_cmpx_gt_i64_e64 s[4:5], v[1:2]
	s_cbranch_execz .LBB28_188
; %bb.187:                              ;   in Loop: Header=BB28_147 Depth=1
	scratch_load_b32 v0, off, off offset:228 ; 4-byte Folded Reload
	s_wait_loadcnt 0x0
	v_add_co_u32 v1, vcc_lo, v0, v131
	scratch_load_b32 v0, off, off offset:232 ; 4-byte Folded Reload
	s_wait_loadcnt 0x0
	s_wait_alu 0xfffd
	v_add_co_ci_u32_e64 v2, null, v0, v132, vcc_lo
	scratch_load_b32 v0, off, off offset:236 ; 4-byte Folded Reload
	s_wait_loadcnt 0x0
	v_add_co_u32 v139, vcc_lo, v0, v131
	scratch_load_b32 v0, off, off offset:240 ; 4-byte Folded Reload
	s_wait_loadcnt 0x0
	s_wait_alu 0xfffd
	v_add_co_ci_u32_e64 v140, null, v0, v132, vcc_lo
	global_load_b64 v[189:190], v[1:2], off
	global_load_b64 v[185:186], v[139:140], off
.LBB28_188:                             ;   in Loop: Header=BB28_147 Depth=1
	s_wait_alu 0xfffe
	s_or_b32 exec_lo, exec_lo, s2
	v_add_co_u32 v1, vcc_lo, v133, 19
	s_wait_alu 0xfffd
	v_add_co_ci_u32_e64 v2, null, 0, v134, vcc_lo
	v_mov_b32_e32 v199, 0
	v_dual_mov_b32 v200, 0 :: v_dual_mov_b32 v205, 0
	s_delay_alu instid0(VALU_DEP_3)
	v_cmp_gt_i64_e32 vcc_lo, s[4:5], v[1:2]
	v_mov_b32_e32 v0, 0
	v_dual_mov_b32 v206, 0 :: v_dual_mov_b32 v1, 0
	scratch_store_b64 off, v[0:1], off offset:564 ; 8-byte Folded Spill
	s_and_saveexec_b32 s2, vcc_lo
	s_cbranch_execz .LBB28_190
; %bb.189:                              ;   in Loop: Header=BB28_147 Depth=1
	scratch_load_b32 v0, off, off offset:212 ; 4-byte Folded Reload
	s_wait_loadcnt 0x0
	v_add_co_u32 v1, vcc_lo, v0, v131
	scratch_load_b32 v0, off, off offset:216 ; 4-byte Folded Reload
	s_wait_loadcnt 0x0
	s_wait_alu 0xfffd
	v_add_co_ci_u32_e64 v2, null, v0, v132, vcc_lo
	scratch_load_b32 v0, off, off offset:220 ; 4-byte Folded Reload
	s_wait_loadcnt 0x0
	v_add_co_u32 v139, vcc_lo, v0, v131
	scratch_load_b32 v0, off, off offset:224 ; 4-byte Folded Reload
	s_wait_loadcnt 0x0
	s_wait_alu 0xfffd
	v_add_co_ci_u32_e64 v140, null, v0, v132, vcc_lo
	global_load_b64 v[205:206], v[1:2], off
	global_load_b64 v[0:1], v[139:140], off
	s_wait_loadcnt 0x0
	scratch_store_b64 off, v[0:1], off offset:564 ; 8-byte Folded Spill
.LBB28_190:                             ;   in Loop: Header=BB28_147 Depth=1
	s_wait_alu 0xfffe
	s_or_b32 exec_lo, exec_lo, s2
	v_add_co_u32 v1, vcc_lo, v133, 20
	s_wait_alu 0xfffd
	v_add_co_ci_u32_e64 v2, null, 0, v134, vcc_lo
	s_delay_alu instid0(VALU_DEP_1)
	v_cmp_gt_i64_e32 vcc_lo, s[4:5], v[1:2]
	v_mov_b32_e32 v0, 0
	v_mov_b32_e32 v1, 0
	scratch_store_b64 off, v[0:1], off offset:588 ; 8-byte Folded Spill
	s_and_saveexec_b32 s2, vcc_lo
	s_cbranch_execz .LBB28_192
; %bb.191:                              ;   in Loop: Header=BB28_147 Depth=1
	scratch_load_b32 v0, off, off offset:196 ; 4-byte Folded Reload
	s_wait_loadcnt 0x0
	v_add_co_u32 v1, vcc_lo, v0, v131
	scratch_load_b32 v0, off, off offset:200 ; 4-byte Folded Reload
	s_wait_loadcnt 0x0
	s_wait_alu 0xfffd
	v_add_co_ci_u32_e64 v2, null, v0, v132, vcc_lo
	scratch_load_b32 v0, off, off offset:204 ; 4-byte Folded Reload
	s_wait_loadcnt 0x0
	v_add_co_u32 v139, vcc_lo, v0, v131
	scratch_load_b32 v0, off, off offset:208 ; 4-byte Folded Reload
	s_wait_loadcnt 0x0
	s_wait_alu 0xfffd
	v_add_co_ci_u32_e64 v140, null, v0, v132, vcc_lo
	global_load_b64 v[199:200], v[1:2], off
	global_load_b64 v[0:1], v[139:140], off
	s_wait_loadcnt 0x0
	scratch_store_b64 off, v[0:1], off offset:588 ; 8-byte Folded Spill
.LBB28_192:                             ;   in Loop: Header=BB28_147 Depth=1
	s_wait_alu 0xfffe
	s_or_b32 exec_lo, exec_lo, s2
	v_add_co_u32 v1, vcc_lo, v133, 21
	v_mov_b32_e32 v211, 0
	v_dual_mov_b32 v212, 0 :: v_dual_mov_b32 v217, 0
	v_mov_b32_e32 v233, 0
	s_wait_alu 0xfffd
	v_add_co_ci_u32_e64 v2, null, 0, v134, vcc_lo
	v_mov_b32_e32 v218, 0
	v_mov_b32_e32 v234, 0
	s_mov_b32 s2, exec_lo
	s_delay_alu instid0(VALU_DEP_3)
	v_cmpx_gt_i64_e64 s[4:5], v[1:2]
	s_cbranch_execz .LBB28_194
; %bb.193:                              ;   in Loop: Header=BB28_147 Depth=1
	scratch_load_b32 v0, off, off offset:180 ; 4-byte Folded Reload
	s_wait_loadcnt 0x0
	v_add_co_u32 v1, vcc_lo, v0, v131
	scratch_load_b32 v0, off, off offset:184 ; 4-byte Folded Reload
	s_wait_loadcnt 0x0
	s_wait_alu 0xfffd
	v_add_co_ci_u32_e64 v2, null, v0, v132, vcc_lo
	scratch_load_b32 v0, off, off offset:188 ; 4-byte Folded Reload
	s_wait_loadcnt 0x0
	v_add_co_u32 v139, vcc_lo, v0, v131
	scratch_load_b32 v0, off, off offset:192 ; 4-byte Folded Reload
	s_wait_loadcnt 0x0
	s_wait_alu 0xfffd
	v_add_co_ci_u32_e64 v140, null, v0, v132, vcc_lo
	global_load_b64 v[217:218], v[1:2], off
	global_load_b64 v[233:234], v[139:140], off
.LBB28_194:                             ;   in Loop: Header=BB28_147 Depth=1
	s_wait_alu 0xfffe
	s_or_b32 exec_lo, exec_lo, s2
	v_add_co_u32 v1, vcc_lo, v133, 22
	v_mov_b32_e32 v235, 0
	s_wait_alu 0xfffd
	v_add_co_ci_u32_e64 v2, null, 0, v134, vcc_lo
	v_mov_b32_e32 v236, 0
	s_mov_b32 s2, exec_lo
	s_delay_alu instid0(VALU_DEP_2)
	v_cmpx_gt_i64_e64 s[4:5], v[1:2]
	s_cbranch_execz .LBB28_196
; %bb.195:                              ;   in Loop: Header=BB28_147 Depth=1
	scratch_load_b32 v0, off, off offset:164 ; 4-byte Folded Reload
	s_wait_loadcnt 0x0
	v_add_co_u32 v1, vcc_lo, v0, v131
	scratch_load_b32 v0, off, off offset:168 ; 4-byte Folded Reload
	s_wait_loadcnt 0x0
	s_wait_alu 0xfffd
	v_add_co_ci_u32_e64 v2, null, v0, v132, vcc_lo
	scratch_load_b32 v0, off, off offset:172 ; 4-byte Folded Reload
	s_wait_loadcnt 0x0
	v_add_co_u32 v139, vcc_lo, v0, v131
	scratch_load_b32 v0, off, off offset:176 ; 4-byte Folded Reload
	s_wait_loadcnt 0x0
	s_wait_alu 0xfffd
	v_add_co_ci_u32_e64 v140, null, v0, v132, vcc_lo
	global_load_b64 v[211:212], v[1:2], off
	global_load_b64 v[235:236], v[139:140], off
.LBB28_196:                             ;   in Loop: Header=BB28_147 Depth=1
	s_wait_alu 0xfffe
	s_or_b32 exec_lo, exec_lo, s2
	v_add_co_u32 v1, vcc_lo, v133, 23
	v_mov_b32_e32 v223, 0
	v_dual_mov_b32 v224, 0 :: v_dual_mov_b32 v229, 0
	v_mov_b32_e32 v241, 0
	s_wait_alu 0xfffd
	v_add_co_ci_u32_e64 v2, null, 0, v134, vcc_lo
	v_mov_b32_e32 v230, 0
	v_mov_b32_e32 v242, 0
	s_mov_b32 s2, exec_lo
	s_delay_alu instid0(VALU_DEP_3)
	v_cmpx_gt_i64_e64 s[4:5], v[1:2]
	s_cbranch_execz .LBB28_198
; %bb.197:                              ;   in Loop: Header=BB28_147 Depth=1
	scratch_load_b32 v0, off, off offset:148 ; 4-byte Folded Reload
	s_wait_loadcnt 0x0
	v_add_co_u32 v1, vcc_lo, v0, v131
	scratch_load_b32 v0, off, off offset:152 ; 4-byte Folded Reload
	s_wait_loadcnt 0x0
	s_wait_alu 0xfffd
	v_add_co_ci_u32_e64 v2, null, v0, v132, vcc_lo
	scratch_load_b32 v0, off, off offset:156 ; 4-byte Folded Reload
	s_wait_loadcnt 0x0
	v_add_co_u32 v139, vcc_lo, v0, v131
	scratch_load_b32 v0, off, off offset:160 ; 4-byte Folded Reload
	s_wait_loadcnt 0x0
	s_wait_alu 0xfffd
	v_add_co_ci_u32_e64 v140, null, v0, v132, vcc_lo
	global_load_b64 v[229:230], v[1:2], off
	global_load_b64 v[241:242], v[139:140], off
.LBB28_198:                             ;   in Loop: Header=BB28_147 Depth=1
	s_wait_alu 0xfffe
	s_or_b32 exec_lo, exec_lo, s2
	v_add_co_u32 v1, vcc_lo, v133, 24
	v_mov_b32_e32 v243, 0
	s_wait_alu 0xfffd
	v_add_co_ci_u32_e64 v2, null, 0, v134, vcc_lo
	v_mov_b32_e32 v244, 0
	s_mov_b32 s2, exec_lo
	s_delay_alu instid0(VALU_DEP_2)
	v_cmpx_gt_i64_e64 s[4:5], v[1:2]
	s_cbranch_execz .LBB28_200
; %bb.199:                              ;   in Loop: Header=BB28_147 Depth=1
	scratch_load_b32 v0, off, off offset:132 ; 4-byte Folded Reload
	s_wait_loadcnt 0x0
	v_add_co_u32 v1, vcc_lo, v0, v131
	scratch_load_b32 v0, off, off offset:136 ; 4-byte Folded Reload
	s_wait_loadcnt 0x0
	s_wait_alu 0xfffd
	v_add_co_ci_u32_e64 v2, null, v0, v132, vcc_lo
	scratch_load_b32 v0, off, off offset:140 ; 4-byte Folded Reload
	s_wait_loadcnt 0x0
	v_add_co_u32 v139, vcc_lo, v0, v131
	scratch_load_b32 v0, off, off offset:144 ; 4-byte Folded Reload
	s_wait_loadcnt 0x0
	s_wait_alu 0xfffd
	v_add_co_ci_u32_e64 v140, null, v0, v132, vcc_lo
	global_load_b64 v[223:224], v[1:2], off
	global_load_b64 v[243:244], v[139:140], off
.LBB28_200:                             ;   in Loop: Header=BB28_147 Depth=1
	;; [unrolled: 61-line block ×5, first 2 shown]
	s_wait_alu 0xfffe
	s_or_b32 exec_lo, exec_lo, s2
	v_add_co_u32 v1, vcc_lo, v133, 31
	s_wait_alu 0xfffd
	v_add_co_ci_u32_e64 v2, null, 0, v134, vcc_lo
	v_mov_b32_e32 v249, 0
	v_mov_b32_e32 v250, 0
	v_dual_mov_b32 v214, v156 :: v_dual_mov_b32 v213, v155
	s_delay_alu instid0(VALU_DEP_4)
	v_cmp_gt_i64_e32 vcc_lo, s[4:5], v[1:2]
	v_dual_mov_b32 v1, 0 :: v_dual_mov_b32 v216, v150
	v_dual_mov_b32 v215, v149 :: v_dual_mov_b32 v154, v146
	;; [unrolled: 1-line block ×3, first 2 shown]
	s_and_saveexec_b32 s2, vcc_lo
	s_cbranch_execz .LBB28_214
; %bb.213:                              ;   in Loop: Header=BB28_147 Depth=1
	scratch_load_b32 v0, off, off offset:16 ; 4-byte Folded Reload
	s_wait_loadcnt 0x0
	v_add_co_u32 v1, vcc_lo, v0, v131
	scratch_load_b32 v0, off, off offset:20 ; 4-byte Folded Reload
	s_wait_loadcnt 0x0
	s_wait_alu 0xfffd
	v_add_co_ci_u32_e64 v2, null, v0, v132, vcc_lo
	scratch_load_b32 v0, off, off offset:24 ; 4-byte Folded Reload
	s_wait_loadcnt 0x0
	v_add_co_u32 v155, vcc_lo, v0, v131
	scratch_load_b32 v0, off, off offset:28 ; 4-byte Folded Reload
	s_wait_loadcnt 0x0
	s_wait_alu 0xfffd
	v_add_co_ci_u32_e64 v156, null, v0, v132, vcc_lo
	global_load_b64 v[249:250], v[1:2], off
	global_load_b64 v[1:2], v[155:156], off
.LBB28_214:                             ;   in Loop: Header=BB28_147 Depth=1
	s_wait_alu 0xfffe
	s_or_b32 exec_lo, exec_lo, s2
	s_wait_loadcnt 0x1
	ds_bpermute_b32 v155, v130, v135
	ds_bpermute_b32 v156, v130, v136
	scratch_load_b64 v[3:4], off, off offset:460 th:TH_LOAD_LU ; 8-byte Folded Reload
	ds_bpermute_b32 v145, v130, v135 offset:4
	ds_bpermute_b32 v146, v130, v136 offset:4
	s_mov_b32 s2, 0
	scratch_load_b64 v[149:150], off, off offset:468 th:TH_LOAD_LU ; 8-byte Folded Reload
	s_wait_loadcnt_dscnt 0x202
	v_add_f64_e64 v[155:156], v[219:220], -v[155:156]
	v_dual_mov_b32 v220, v148 :: v_dual_mov_b32 v219, v147
	s_delay_alu instid0(VALU_DEP_2)
	v_mul_f64_e32 v[155:156], v[147:148], v[155:156]
	scratch_load_b64 v[147:148], off, off offset:8 ; 8-byte Folded Reload
	s_wait_loadcnt_dscnt 0x200
	v_add_f64_e64 v[145:146], v[3:4], -v[145:146]
	ds_bpermute_b32 v3, v130, v137
	ds_bpermute_b32 v4, v130, v138
	v_mul_f64_e32 v[145:146], v[215:216], v[145:146]
	s_wait_loadcnt_dscnt 0x0
	v_fma_f64 v[3:4], v[155:156], v[3:4], v[147:148]
	scratch_load_b64 v[147:148], off, off offset:452 th:TH_LOAD_LU ; 8-byte Folded Reload
	ds_bpermute_b32 v155, v130, v137 offset:4
	ds_bpermute_b32 v156, v130, v138 offset:4
	s_wait_dscnt 0x0
	v_fma_f64 v[3:4], v[145:146], v[155:156], v[3:4]
	ds_bpermute_b32 v145, v130, v135 offset:8
	ds_bpermute_b32 v146, v130, v136 offset:8
	;; [unrolled: 1-line block ×4, first 2 shown]
	s_wait_loadcnt_dscnt 0x2
	v_add_f64_e64 v[145:146], v[147:148], -v[145:146]
	v_dual_mov_b32 v147, v153 :: v_dual_mov_b32 v148, v154
	scratch_load_b64 v[153:154], off, off offset:588 th:TH_LOAD_LU ; 8-byte Folded Reload
	v_mul_f64_e32 v[145:146], v[147:148], v[145:146]
	s_wait_dscnt 0x0
	s_delay_alu instid0(VALU_DEP_1)
	v_fma_f64 v[3:4], v[145:146], v[155:156], v[3:4]
	ds_bpermute_b32 v145, v130, v135 offset:12
	ds_bpermute_b32 v146, v130, v136 offset:12
	;; [unrolled: 1-line block ×4, first 2 shown]
	s_wait_dscnt 0x2
	v_add_f64_e64 v[145:146], v[149:150], -v[145:146]
	scratch_load_b64 v[149:150], off, off offset:476 th:TH_LOAD_LU ; 8-byte Folded Reload
	v_mul_f64_e32 v[145:146], v[227:228], v[145:146]
	s_wait_dscnt 0x0
	s_delay_alu instid0(VALU_DEP_1)
	v_fma_f64 v[3:4], v[145:146], v[155:156], v[3:4]
	ds_bpermute_b32 v145, v130, v135 offset:16
	ds_bpermute_b32 v146, v130, v136 offset:16
	ds_bpermute_b32 v155, v130, v137 offset:16
	ds_bpermute_b32 v156, v130, v138 offset:16
	s_wait_loadcnt_dscnt 0x2
	v_add_f64_e64 v[145:146], v[149:150], -v[145:146]
	scratch_load_b64 v[149:150], off, off offset:484 th:TH_LOAD_LU ; 8-byte Folded Reload
	v_mul_f64_e32 v[145:146], v[151:152], v[145:146]
	s_wait_dscnt 0x0
	s_delay_alu instid0(VALU_DEP_1)
	v_fma_f64 v[3:4], v[145:146], v[155:156], v[3:4]
	ds_bpermute_b32 v145, v130, v135 offset:20
	ds_bpermute_b32 v146, v130, v136 offset:20
	ds_bpermute_b32 v155, v130, v137 offset:20
	ds_bpermute_b32 v156, v130, v138 offset:20
	s_wait_loadcnt_dscnt 0x2
	;; [unrolled: 11-line block ×11, first 2 shown]
	v_add_f64_e64 v[145:146], v[149:150], -v[145:146]
	scratch_load_b64 v[149:150], off, off offset:572 th:TH_LOAD_LU ; 8-byte Folded Reload
	v_mul_f64_e32 v[145:146], v[165:166], v[145:146]
	s_wait_dscnt 0x0
	s_delay_alu instid0(VALU_DEP_1)
	v_fma_f64 v[3:4], v[145:146], v[155:156], v[3:4]
	ds_bpermute_b32 v145, v130, v135 offset:60
	ds_bpermute_b32 v146, v130, v136 offset:60
	;; [unrolled: 1-line block ×4, first 2 shown]
	s_wait_dscnt 0x2
	v_add_f64_e64 v[145:146], v[225:226], -v[145:146]
	s_delay_alu instid0(VALU_DEP_1) | instskip(SKIP_1) | instid1(VALU_DEP_1)
	v_mul_f64_e32 v[145:146], v[179:180], v[145:146]
	s_wait_dscnt 0x0
	v_fma_f64 v[3:4], v[145:146], v[155:156], v[3:4]
	ds_bpermute_b32 v145, v130, v135 offset:64
	ds_bpermute_b32 v146, v130, v136 offset:64
	s_wait_loadcnt_dscnt 0x0
	v_add_f64_e64 v[145:146], v[149:150], -v[145:146]
	ds_bpermute_b32 v149, v130, v137 offset:64
	ds_bpermute_b32 v150, v130, v138 offset:64
	v_mul_f64_e32 v[145:146], v[177:178], v[145:146]
	s_wait_dscnt 0x0
	s_delay_alu instid0(VALU_DEP_1)
	v_fma_f64 v[3:4], v[145:146], v[149:150], v[3:4]
	scratch_load_b64 v[149:150], off, off offset:580 th:TH_LOAD_LU ; 8-byte Folded Reload
	ds_bpermute_b32 v145, v130, v135 offset:68
	ds_bpermute_b32 v146, v130, v136 offset:68
	s_wait_loadcnt_dscnt 0x0
	v_add_f64_e64 v[145:146], v[149:150], -v[145:146]
	ds_bpermute_b32 v149, v130, v137 offset:68
	ds_bpermute_b32 v150, v130, v138 offset:68
	v_mul_f64_e32 v[145:146], v[193:194], v[145:146]
	s_wait_dscnt 0x0
	s_delay_alu instid0(VALU_DEP_1)
	v_fma_f64 v[3:4], v[145:146], v[149:150], v[3:4]
	scratch_load_b64 v[145:146], off, off   ; 8-byte Folded Reload
	ds_bpermute_b32 v149, v130, v135 offset:72
	ds_bpermute_b32 v150, v130, v136 offset:72
	s_wait_dscnt 0x0
	v_add_f64_e64 v[149:150], v[185:186], -v[149:150]
	s_delay_alu instid0(VALU_DEP_1) | instskip(SKIP_2) | instid1(VALU_DEP_1)
	v_mul_f64_e32 v[149:150], v[189:190], v[149:150]
	s_wait_loadcnt 0x0
	v_add_f64_e32 v[145:146], v[145:146], v[219:220]
	v_add_f64_e32 v[145:146], v[145:146], v[215:216]
	s_delay_alu instid0(VALU_DEP_1) | instskip(SKIP_2) | instid1(VALU_DEP_1)
	v_add_f64_e32 v[145:146], v[145:146], v[147:148]
	scratch_load_b64 v[147:148], off, off offset:564 th:TH_LOAD_LU ; 8-byte Folded Reload
	v_add_f64_e32 v[145:146], v[145:146], v[227:228]
	v_add_f64_e32 v[145:146], v[145:146], v[151:152]
	ds_bpermute_b32 v151, v130, v135 offset:76
	ds_bpermute_b32 v152, v130, v136 offset:76
	v_add_f64_e32 v[145:146], v[145:146], v[157:158]
	s_delay_alu instid0(VALU_DEP_1) | instskip(NEXT) | instid1(VALU_DEP_1)
	v_add_f64_e32 v[145:146], v[145:146], v[213:214]
	v_add_f64_e32 v[145:146], v[145:146], v[221:222]
	s_delay_alu instid0(VALU_DEP_1) | instskip(NEXT) | instid1(VALU_DEP_1)
	v_add_f64_e32 v[145:146], v[145:146], v[159:160]
	v_add_f64_e32 v[145:146], v[145:146], v[181:182]
	s_delay_alu instid0(VALU_DEP_1)
	v_add_f64_e32 v[145:146], v[145:146], v[183:184]
	s_wait_loadcnt_dscnt 0x0
	v_add_f64_e64 v[147:148], v[147:148], -v[151:152]
	ds_bpermute_b32 v151, v130, v135 offset:80
	ds_bpermute_b32 v152, v130, v136 offset:80
	v_add_f64_e32 v[145:146], v[145:146], v[163:164]
	s_wait_dscnt 0x0
	v_add_f64_e64 v[151:152], v[153:154], -v[151:152]
	ds_bpermute_b32 v153, v130, v137 offset:72
	ds_bpermute_b32 v154, v130, v138 offset:72
	v_mul_f64_e32 v[147:148], v[205:206], v[147:148]
	s_wait_dscnt 0x0
	v_fma_f64 v[3:4], v[149:150], v[153:154], v[3:4]
	ds_bpermute_b32 v149, v130, v135 offset:84
	ds_bpermute_b32 v150, v130, v136 offset:84
	;; [unrolled: 1-line block ×4, first 2 shown]
	v_add_f64_e32 v[145:146], v[145:146], v[161:162]
	v_mul_f64_e32 v[151:152], v[199:200], v[151:152]
	s_wait_dscnt 0x2
	v_add_f64_e64 v[149:150], v[233:234], -v[149:150]
	s_wait_dscnt 0x0
	v_fma_f64 v[3:4], v[147:148], v[153:154], v[3:4]
	ds_bpermute_b32 v147, v130, v135 offset:88
	ds_bpermute_b32 v148, v130, v136 offset:88
	ds_bpermute_b32 v153, v130, v137 offset:80
	ds_bpermute_b32 v154, v130, v138 offset:80
	v_add_f64_e32 v[145:146], v[145:146], v[167:168]
	s_wait_dscnt 0x2
	v_add_f64_e64 v[147:148], v[235:236], -v[147:148]
	v_mul_f64_e32 v[149:150], v[217:218], v[149:150]
	s_wait_dscnt 0x0
	v_fma_f64 v[3:4], v[151:152], v[153:154], v[3:4]
	ds_bpermute_b32 v151, v130, v135 offset:92
	ds_bpermute_b32 v152, v130, v136 offset:92
	ds_bpermute_b32 v153, v130, v137 offset:84
	ds_bpermute_b32 v154, v130, v138 offset:84
	v_add_f64_e32 v[145:146], v[145:146], v[165:166]
	s_wait_dscnt 0x2
	v_add_f64_e64 v[151:152], v[241:242], -v[151:152]
	v_mul_f64_e32 v[147:148], v[211:212], v[147:148]
	;; [unrolled: 10-line block ×7, first 2 shown]
	ds_bpermute_b32 v149, v130, v135 offset:116
	ds_bpermute_b32 v150, v130, v136 offset:116
	s_wait_dscnt 0x2
	v_fma_f64 v[3:4], v[151:152], v[153:154], v[3:4]
	ds_bpermute_b32 v151, v130, v137 offset:108
	ds_bpermute_b32 v152, v130, v138 offset:108
	s_wait_dscnt 0x2
	v_add_f64_e64 v[143:144], v[143:144], -v[149:150]
	ds_bpermute_b32 v149, v130, v137 offset:112
	ds_bpermute_b32 v150, v130, v138 offset:112
	v_add_f64_e32 v[145:146], v[145:146], v[199:200]
	v_mul_f64_e32 v[141:142], v[239:240], v[141:142]
	s_wait_dscnt 0x2
	v_fma_f64 v[3:4], v[147:148], v[151:152], v[3:4]
	ds_bpermute_b32 v147, v130, v135 offset:120
	ds_bpermute_b32 v148, v130, v136 offset:120
	;; [unrolled: 1-line block ×4, first 2 shown]
	v_mul_f64_e32 v[143:144], v[139:140], v[143:144]
	v_add_f64_e32 v[145:146], v[145:146], v[217:218]
	s_wait_dscnt 0x2
	v_add_f64_e64 v[147:148], v[171:172], -v[147:148]
	v_fma_f64 v[3:4], v[141:142], v[149:150], v[3:4]
	s_delay_alu instid0(VALU_DEP_3) | instskip(NEXT) | instid1(VALU_DEP_3)
	v_add_f64_e32 v[145:146], v[145:146], v[211:212]
	v_mul_f64_e32 v[147:148], v[253:254], v[147:148]
	s_delay_alu instid0(VALU_DEP_2) | instskip(NEXT) | instid1(VALU_DEP_1)
	v_add_f64_e32 v[145:146], v[145:146], v[229:230]
	v_add_f64_e32 v[145:146], v[145:146], v[223:224]
	s_delay_alu instid0(VALU_DEP_1) | instskip(NEXT) | instid1(VALU_DEP_1)
	v_add_f64_e32 v[145:146], v[145:146], v[237:238]
	v_add_f64_e32 v[145:146], v[145:146], v[231:232]
	s_delay_alu instid0(VALU_DEP_1) | instskip(NEXT) | instid1(VALU_DEP_1)
	v_add_f64_e32 v[145:146], v[145:146], v[245:246]
	v_add_f64_e32 v[141:142], v[145:146], v[239:240]
	ds_bpermute_b32 v145, v130, v137 offset:116
	ds_bpermute_b32 v146, v130, v138 offset:116
	s_wait_dscnt 0x0
	v_fma_f64 v[3:4], v[143:144], v[145:146], v[3:4]
	v_add_f64_e32 v[139:140], v[141:142], v[139:140]
	ds_bpermute_b32 v141, v130, v137 offset:120
	ds_bpermute_b32 v142, v130, v138 offset:120
	;; [unrolled: 1-line block ×4, first 2 shown]
	s_wait_dscnt 0x2
	v_fma_f64 v[161:162], v[147:148], v[141:142], v[3:4]
	v_add_f64_e32 v[139:140], v[139:140], v[253:254]
.LBB28_215:                             ;   in Loop: Header=BB28_147 Depth=1
	s_wait_alu 0xfffe
	s_and_b32 vcc_lo, exec_lo, s2
	s_wait_alu 0xfffe
	s_cbranch_vccz .LBB28_146
; %bb.216:                              ;   in Loop: Header=BB28_147 Depth=1
	s_load_b32 s2, s[10:11], 0x0
	v_mov_b32_e32 v135, 0
	v_mov_b32_e32 v136, 0
	s_wait_kmcnt 0x0
	s_cmp_lt_u32 ttmp9, s2
	s_cselect_b32 s2, 12, 18
	s_wait_alu 0xfffe
	s_add_nc_u64 s[24:25], s[10:11], s[2:3]
	s_load_u16 s2, s[24:25], 0x0
	s_clause 0x1
	scratch_load_b32 v0, off, off offset:596
	scratch_load_b32 v1, off, off offset:600
	s_wait_loadcnt 0x0
	s_wait_kmcnt 0x0
	v_mad_u32_u24 v1, v0, s2, v1
	s_mov_b32 s2, exec_lo
	s_delay_alu instid0(VALU_DEP_1) | instskip(NEXT) | instid1(VALU_DEP_1)
	v_and_b32_e32 v1, 31, v1
	v_add_co_u32 v1, vcc_lo, v133, v1
	s_wait_alu 0xfffd
	v_add_co_ci_u32_e64 v2, null, 0, v134, vcc_lo
	v_mov_b32_e32 v133, 0
	v_mov_b32_e32 v134, 0
	s_delay_alu instid0(VALU_DEP_3)
	v_cmpx_gt_i64_e64 s[4:5], v[1:2]
	s_cbranch_execz .LBB28_145
; %bb.217:                              ;   in Loop: Header=BB28_147 Depth=1
	v_lshlrev_b64_e32 v[1:2], 3, v[1:2]
	s_delay_alu instid0(VALU_DEP_1) | instskip(SKIP_1) | instid1(VALU_DEP_2)
	v_add_co_u32 v3, vcc_lo, s12, v1
	s_wait_alu 0xfffd
	v_add_co_ci_u32_e64 v4, null, s13, v2, vcc_lo
	v_add_co_u32 v1, vcc_lo, s14, v1
	s_wait_alu 0xfffd
	v_add_co_ci_u32_e64 v2, null, s15, v2, vcc_lo
	global_load_b64 v[133:134], v[3:4], off
	global_load_b64 v[135:136], v[1:2], off
	s_branch .LBB28_145
.LBB28_218:
	scratch_load_b32 v0, off, off offset:604 ; 4-byte Folded Reload
.LBB28_219:
	s_mov_b32 s2, ttmp9
	s_mov_b32 s3, 0
	s_wait_alu 0xfffe
	s_lshl_b64 s[2:3], s[2:3], 6
	s_wait_loadcnt 0x0
	s_wait_alu 0xfffe
	v_and_or_b32 v1, 0x3ff, v0, s2
	v_mov_b32_e32 v2, s3
	s_mov_b32 s2, exec_lo
	s_delay_alu instid0(VALU_DEP_1)
	v_cmpx_gt_i64_e64 s[6:7], v[1:2]
	s_cbranch_execz .LBB28_224
; %bb.220:
	s_clause 0x1
	s_load_u16 s4, s[0:1], 0x4e
	s_load_b128 s[0:3], s[0:1], 0x30
	v_bfe_u32 v3, v0, 10, 10
	v_mov_b32_e32 v4, 0
	v_lshlrev_b64_e32 v[0:1], 3, v[1:2]
	s_wait_kmcnt 0x0
	s_delay_alu instid0(VALU_DEP_2)
	v_mad_co_u64_u32 v[5:6], null, s4, ttmp7, v[3:4]
	s_cmp_eq_u64 s[0:1], 0
	v_mul_lo_u32 v3, v6, s6
	v_mul_lo_u32 v4, v5, s7
	s_cbranch_scc1 .LBB28_222
; %bb.221:
	scratch_load_b64 v[8:9], off, off offset:8 th:TH_LOAD_LU ; 8-byte Folded Reload
	v_mad_co_u64_u32 v[6:7], null, v5, s6, 0
	s_delay_alu instid0(VALU_DEP_1) | instskip(NEXT) | instid1(VALU_DEP_1)
	v_add3_u32 v7, v7, v4, v3
	v_lshlrev_b64_e32 v[6:7], 3, v[6:7]
	s_delay_alu instid0(VALU_DEP_1) | instskip(SKIP_1) | instid1(VALU_DEP_2)
	v_add_co_u32 v2, vcc_lo, s0, v6
	s_wait_alu 0xfffd
	v_add_co_ci_u32_e64 v7, null, s1, v7, vcc_lo
	s_delay_alu instid0(VALU_DEP_2) | instskip(SKIP_1) | instid1(VALU_DEP_2)
	v_add_co_u32 v6, vcc_lo, v2, v0
	s_wait_alu 0xfffd
	v_add_co_ci_u32_e64 v7, null, v7, v1, vcc_lo
	s_wait_loadcnt 0x0
	global_store_b64 v[6:7], v[8:9], off
.LBB28_222:
	s_cmp_eq_u64 s[2:3], 0
	s_cbranch_scc1 .LBB28_224
; %bb.223:
	v_mad_co_u64_u32 v[5:6], null, v5, s6, 0
	s_delay_alu instid0(VALU_DEP_1) | instskip(NEXT) | instid1(VALU_DEP_1)
	v_add3_u32 v6, v6, v4, v3
	v_lshlrev_b64_e32 v[2:3], 3, v[5:6]
	s_delay_alu instid0(VALU_DEP_1) | instskip(SKIP_1) | instid1(VALU_DEP_2)
	v_add_co_u32 v2, vcc_lo, s2, v2
	s_wait_alu 0xfffd
	v_add_co_ci_u32_e64 v3, null, s3, v3, vcc_lo
	s_delay_alu instid0(VALU_DEP_2) | instskip(SKIP_1) | instid1(VALU_DEP_2)
	v_add_co_u32 v0, vcc_lo, v2, v0
	s_wait_alu 0xfffd
	v_add_co_ci_u32_e64 v1, null, v3, v1, vcc_lo
	scratch_load_b64 v[2:3], off, off th:TH_LOAD_LU ; 8-byte Folded Reload
	s_wait_loadcnt 0x0
	global_store_b64 v[0:1], v[2:3], off
.LBB28_224:
	s_nop 0
	s_sendmsg sendmsg(MSG_DEALLOC_VGPRS)
	s_endpgm
	.section	.rodata,"a",@progbits
	.p2align	6, 0x0
	.amdhsa_kernel _ZN2at6native12_GLOBAL__N_135GammaBetaBackwardCUDAKernelTemplateIddLj64ELj1ELj32ELb1ELb0ELb0EEEvllPKT_S5_PKT0_S8_PS3_S9_
		.amdhsa_group_segment_fixed_size 0
		.amdhsa_private_segment_fixed_size 612
		.amdhsa_kernarg_size 320
		.amdhsa_user_sgpr_count 2
		.amdhsa_user_sgpr_dispatch_ptr 0
		.amdhsa_user_sgpr_queue_ptr 0
		.amdhsa_user_sgpr_kernarg_segment_ptr 1
		.amdhsa_user_sgpr_dispatch_id 0
		.amdhsa_user_sgpr_private_segment_size 0
		.amdhsa_wavefront_size32 1
		.amdhsa_uses_dynamic_stack 0
		.amdhsa_enable_private_segment 1
		.amdhsa_system_sgpr_workgroup_id_x 1
		.amdhsa_system_sgpr_workgroup_id_y 1
		.amdhsa_system_sgpr_workgroup_id_z 0
		.amdhsa_system_sgpr_workgroup_info 0
		.amdhsa_system_vgpr_workitem_id 1
		.amdhsa_next_free_vgpr 256
		.amdhsa_next_free_sgpr 36
		.amdhsa_reserve_vcc 1
		.amdhsa_float_round_mode_32 0
		.amdhsa_float_round_mode_16_64 0
		.amdhsa_float_denorm_mode_32 3
		.amdhsa_float_denorm_mode_16_64 3
		.amdhsa_fp16_overflow 0
		.amdhsa_workgroup_processor_mode 1
		.amdhsa_memory_ordered 1
		.amdhsa_forward_progress 1
		.amdhsa_inst_pref_size 255
		.amdhsa_round_robin_scheduling 0
		.amdhsa_exception_fp_ieee_invalid_op 0
		.amdhsa_exception_fp_denorm_src 0
		.amdhsa_exception_fp_ieee_div_zero 0
		.amdhsa_exception_fp_ieee_overflow 0
		.amdhsa_exception_fp_ieee_underflow 0
		.amdhsa_exception_fp_ieee_inexact 0
		.amdhsa_exception_int_div_zero 0
	.end_amdhsa_kernel
	.section	.text._ZN2at6native12_GLOBAL__N_135GammaBetaBackwardCUDAKernelTemplateIddLj64ELj1ELj32ELb1ELb0ELb0EEEvllPKT_S5_PKT0_S8_PS3_S9_,"axG",@progbits,_ZN2at6native12_GLOBAL__N_135GammaBetaBackwardCUDAKernelTemplateIddLj64ELj1ELj32ELb1ELb0ELb0EEEvllPKT_S5_PKT0_S8_PS3_S9_,comdat
.Lfunc_end28:
	.size	_ZN2at6native12_GLOBAL__N_135GammaBetaBackwardCUDAKernelTemplateIddLj64ELj1ELj32ELb1ELb0ELb0EEEvllPKT_S5_PKT0_S8_PS3_S9_, .Lfunc_end28-_ZN2at6native12_GLOBAL__N_135GammaBetaBackwardCUDAKernelTemplateIddLj64ELj1ELj32ELb1ELb0ELb0EEEvllPKT_S5_PKT0_S8_PS3_S9_
                                        ; -- End function
	.set _ZN2at6native12_GLOBAL__N_135GammaBetaBackwardCUDAKernelTemplateIddLj64ELj1ELj32ELb1ELb0ELb0EEEvllPKT_S5_PKT0_S8_PS3_S9_.num_vgpr, 256
	.set _ZN2at6native12_GLOBAL__N_135GammaBetaBackwardCUDAKernelTemplateIddLj64ELj1ELj32ELb1ELb0ELb0EEEvllPKT_S5_PKT0_S8_PS3_S9_.num_agpr, 0
	.set _ZN2at6native12_GLOBAL__N_135GammaBetaBackwardCUDAKernelTemplateIddLj64ELj1ELj32ELb1ELb0ELb0EEEvllPKT_S5_PKT0_S8_PS3_S9_.numbered_sgpr, 36
	.set _ZN2at6native12_GLOBAL__N_135GammaBetaBackwardCUDAKernelTemplateIddLj64ELj1ELj32ELb1ELb0ELb0EEEvllPKT_S5_PKT0_S8_PS3_S9_.num_named_barrier, 0
	.set _ZN2at6native12_GLOBAL__N_135GammaBetaBackwardCUDAKernelTemplateIddLj64ELj1ELj32ELb1ELb0ELb0EEEvllPKT_S5_PKT0_S8_PS3_S9_.private_seg_size, 612
	.set _ZN2at6native12_GLOBAL__N_135GammaBetaBackwardCUDAKernelTemplateIddLj64ELj1ELj32ELb1ELb0ELb0EEEvllPKT_S5_PKT0_S8_PS3_S9_.uses_vcc, 1
	.set _ZN2at6native12_GLOBAL__N_135GammaBetaBackwardCUDAKernelTemplateIddLj64ELj1ELj32ELb1ELb0ELb0EEEvllPKT_S5_PKT0_S8_PS3_S9_.uses_flat_scratch, 1
	.set _ZN2at6native12_GLOBAL__N_135GammaBetaBackwardCUDAKernelTemplateIddLj64ELj1ELj32ELb1ELb0ELb0EEEvllPKT_S5_PKT0_S8_PS3_S9_.has_dyn_sized_stack, 0
	.set _ZN2at6native12_GLOBAL__N_135GammaBetaBackwardCUDAKernelTemplateIddLj64ELj1ELj32ELb1ELb0ELb0EEEvllPKT_S5_PKT0_S8_PS3_S9_.has_recursion, 0
	.set _ZN2at6native12_GLOBAL__N_135GammaBetaBackwardCUDAKernelTemplateIddLj64ELj1ELj32ELb1ELb0ELb0EEEvllPKT_S5_PKT0_S8_PS3_S9_.has_indirect_call, 0
	.section	.AMDGPU.csdata,"",@progbits
; Kernel info:
; codeLenInByte = 44620
; TotalNumSgprs: 38
; NumVgprs: 256
; ScratchSize: 612
; MemoryBound: 0
; FloatMode: 240
; IeeeMode: 1
; LDSByteSize: 0 bytes/workgroup (compile time only)
; SGPRBlocks: 0
; VGPRBlocks: 31
; NumSGPRsForWavesPerEU: 38
; NumVGPRsForWavesPerEU: 256
; Occupancy: 5
; WaveLimiterHint : 0
; COMPUTE_PGM_RSRC2:SCRATCH_EN: 1
; COMPUTE_PGM_RSRC2:USER_SGPR: 2
; COMPUTE_PGM_RSRC2:TRAP_HANDLER: 0
; COMPUTE_PGM_RSRC2:TGID_X_EN: 1
; COMPUTE_PGM_RSRC2:TGID_Y_EN: 1
; COMPUTE_PGM_RSRC2:TGID_Z_EN: 0
; COMPUTE_PGM_RSRC2:TIDIG_COMP_CNT: 1
	.section	.text._ZN2at6native12_GLOBAL__N_135GammaBetaBackwardCUDAKernelTemplateIddLj64ELj1ELj8ELb1ELb1ELb0EEEvllPKT_S5_PKT0_S8_PS3_S9_,"axG",@progbits,_ZN2at6native12_GLOBAL__N_135GammaBetaBackwardCUDAKernelTemplateIddLj64ELj1ELj8ELb1ELb1ELb0EEEvllPKT_S5_PKT0_S8_PS3_S9_,comdat
	.globl	_ZN2at6native12_GLOBAL__N_135GammaBetaBackwardCUDAKernelTemplateIddLj64ELj1ELj8ELb1ELb1ELb0EEEvllPKT_S5_PKT0_S8_PS3_S9_ ; -- Begin function _ZN2at6native12_GLOBAL__N_135GammaBetaBackwardCUDAKernelTemplateIddLj64ELj1ELj8ELb1ELb1ELb0EEEvllPKT_S5_PKT0_S8_PS3_S9_
	.p2align	8
	.type	_ZN2at6native12_GLOBAL__N_135GammaBetaBackwardCUDAKernelTemplateIddLj64ELj1ELj8ELb1ELb1ELb0EEEvllPKT_S5_PKT0_S8_PS3_S9_,@function
_ZN2at6native12_GLOBAL__N_135GammaBetaBackwardCUDAKernelTemplateIddLj64ELj1ELj8ELb1ELb1ELb0EEEvllPKT_S5_PKT0_S8_PS3_S9_: ; @_ZN2at6native12_GLOBAL__N_135GammaBetaBackwardCUDAKernelTemplateIddLj64ELj1ELj8ELb1ELb1ELb0EEEvllPKT_S5_PKT0_S8_PS3_S9_
; %bb.0:
	s_load_b128 s[12:15], s[0:1], 0x0
	s_lshl_b32 s2, ttmp7, 3
	s_mov_b32 s3, 0
	v_bfe_u32 v14, v0, 10, 10
	s_add_nc_u64 s[20:21], s[0:1], 64
	s_wait_kmcnt 0x0
	v_cmp_gt_i64_e64 s4, s[12:13], s[2:3]
	s_and_b32 vcc_lo, exec_lo, s4
	s_cbranch_vccnz .LBB29_2
; %bb.1:
	v_bfe_u32 v1, v0, 10, 10
	s_add_nc_u64 s[4:5], s[0:1], 64
	s_mov_b32 s6, s3
	s_branch .LBB29_3
.LBB29_2:
	s_mov_b32 s6, -1
                                        ; implicit-def: $sgpr4_sgpr5
                                        ; implicit-def: $vgpr1
.LBB29_3:
	s_load_b128 s[16:19], s[0:1], 0x30
	v_mov_b32_e32 v6, 0
	v_dual_mov_b32 v7, 0 :: v_dual_mov_b32 v8, 0
	v_mov_b32_e32 v9, 0
	v_and_b32_e32 v15, 0x3ff, v0
	s_and_not1_b32 vcc_lo, exec_lo, s6
	s_cbranch_vccnz .LBB29_11
; %bb.4:
	s_load_b32 s22, s[0:1], 0x4c
	v_dual_mov_b32 v1, 0 :: v_dual_lshlrev_b32 v0, 3, v14
	s_clause 0x1
	s_load_b32 s24, s[0:1], 0x44
	s_load_b256 s[4:11], s[0:1], 0x10
	s_mov_b32 s23, 0
	v_dual_mov_b32 v16, 8 :: v_dual_mov_b32 v17, 4
	v_add_co_u32 v2, s0, v0, s2
	s_delay_alu instid0(VALU_DEP_1) | instskip(SKIP_1) | instid1(VALU_DEP_3)
	v_add_co_ci_u32_e64 v3, null, 0, 0, s0
	v_lshl_add_u32 v0, ttmp9, 6, v15
	v_mul_lo_u32 v8, s15, v2
	v_mad_co_u64_u32 v[4:5], null, s14, v2, 0
	s_delay_alu instid0(VALU_DEP_4)
	v_mul_lo_u32 v9, s14, v3
	v_dual_mov_b32 v18, 12 :: v_dual_mov_b32 v19, 16
	v_dual_mov_b32 v20, 20 :: v_dual_mov_b32 v21, 24
	s_wait_kmcnt 0x0
	s_and_b32 s0, s22, 0xffff
	s_lshl_b64 s[28:29], s[14:15], 3
	s_wait_alu 0xfffe
	v_mad_u32_u24 v6, v14, s0, v15
	v_add3_u32 v5, v5, v9, v8
	s_lshl_b32 s22, s24, 3
	s_delay_alu instid0(SALU_CYCLE_1) | instskip(NEXT) | instid1(VALU_DEP_2)
	s_mul_u64 s[26:27], s[14:15], s[22:23]
	v_and_b32_e32 v10, 31, v6
	v_lshlrev_b64_e32 v[6:7], 3, v[0:1]
	v_lshlrev_b64_e32 v[8:9], 3, v[4:5]
	v_mov_b32_e32 v0, 28
	s_lshl_b64 s[24:25], s[22:23], 3
	v_add_co_u32 v2, vcc_lo, v2, v10
	s_delay_alu instid0(VALU_DEP_1) | instskip(NEXT) | instid1(VALU_DEP_4)
	v_add_co_ci_u32_e64 v3, null, 0, v3, vcc_lo
	v_add_co_u32 v22, vcc_lo, v8, v6
	s_wait_alu 0xfffd
	v_add_co_ci_u32_e64 v23, null, v9, v7, vcc_lo
	s_delay_alu instid0(VALU_DEP_3)
	v_lshlrev_b64_e32 v[4:5], 3, v[2:3]
	v_mov_b32_e32 v8, 0
	v_dual_mov_b32 v6, 0 :: v_dual_mov_b32 v9, 0
	v_cmp_gt_u32_e64 s0, 8, v10
	v_mov_b32_e32 v7, 0
	s_lshl_b64 s[26:27], s[26:27], 3
	s_branch .LBB29_7
.LBB29_5:                               ;   in Loop: Header=BB29_7 Depth=1
	s_or_b32 exec_lo, exec_lo, s30
.LBB29_6:                               ;   in Loop: Header=BB29_7 Depth=1
	s_wait_alu 0xfffe
	s_or_b32 exec_lo, exec_lo, s1
	v_add_co_u32 v24, vcc_lo, s6, v22
	s_wait_alu 0xfffd
	v_add_co_ci_u32_e64 v25, null, s7, v23, vcc_lo
	s_wait_loadcnt 0x1
	ds_bpermute_b32 v56, v1, v12
	ds_bpermute_b32 v57, v1, v13
	s_wait_loadcnt 0x0
	ds_bpermute_b32 v58, v1, v10
	global_load_b64 v[26:27], v[24:25], off
	v_add_co_u32 v24, vcc_lo, v24, s28
	s_wait_alu 0xfffd
	v_add_co_ci_u32_e64 v25, null, s29, v25, vcc_lo
	v_add_co_u32 v28, vcc_lo, s4, v22
	s_wait_alu 0xfffd
	v_add_co_ci_u32_e64 v29, null, s5, v23, vcc_lo
	global_load_b64 v[30:31], v[24:25], off
	global_load_b64 v[32:33], v[28:29], off
	v_add_co_u32 v24, vcc_lo, v24, s28
	s_wait_alu 0xfffd
	v_add_co_ci_u32_e64 v25, null, s29, v25, vcc_lo
	v_add_co_u32 v28, vcc_lo, v28, s28
	s_wait_alu 0xfffd
	v_add_co_ci_u32_e64 v29, null, s29, v29, vcc_lo
	global_load_b64 v[34:35], v[24:25], off
	;; [unrolled: 8-line block ×7, first 2 shown]
	global_load_b64 v[54:55], v[28:29], off
	v_add_co_u32 v28, vcc_lo, v28, s28
	s_wait_alu 0xfffd
	v_add_co_ci_u32_e64 v29, null, s29, v29, vcc_lo
	ds_bpermute_b32 v59, v1, v11
	v_add_co_u32 v4, vcc_lo, v4, s24
	global_load_b64 v[28:29], v[28:29], off
	s_add_nc_u64 s[2:3], s[2:3], s[22:23]
	s_wait_alu 0xfffd
	v_add_co_ci_u32_e64 v5, null, s25, v5, vcc_lo
	v_add_co_u32 v2, vcc_lo, v2, s22
	s_wait_alu 0xfffe
	v_cmp_lt_i64_e64 s1, s[2:3], s[12:13]
	s_wait_alu 0xfffd
	v_add_co_ci_u32_e64 v3, null, 0, v3, vcc_lo
	v_add_co_u32 v22, vcc_lo, v22, s26
	s_wait_alu 0xfffd
	v_add_co_ci_u32_e64 v23, null, s27, v23, vcc_lo
	s_and_b32 vcc_lo, exec_lo, s1
	s_wait_loadcnt_dscnt 0xf02
	v_add_f64_e64 v[26:27], v[26:27], -v[56:57]
	ds_bpermute_b32 v56, v17, v12
	ds_bpermute_b32 v57, v17, v13
	s_wait_loadcnt 0xd
	v_add_f64_e32 v[6:7], v[6:7], v[32:33]
	s_wait_dscnt 0x0
	v_add_f64_e64 v[30:31], v[30:31], -v[56:57]
	ds_bpermute_b32 v56, v16, v12
	ds_bpermute_b32 v57, v16, v13
	v_mul_f64_e32 v[26:27], v[32:33], v[26:27]
	ds_bpermute_b32 v32, v17, v10
	ds_bpermute_b32 v33, v17, v11
	s_wait_loadcnt_dscnt 0xc02
	v_add_f64_e64 v[34:35], v[34:35], -v[56:57]
	s_wait_loadcnt 0xb
	v_add_f64_e32 v[6:7], v[6:7], v[36:37]
	v_mul_f64_e32 v[30:31], v[36:37], v[30:31]
	v_fma_f64 v[8:9], v[26:27], v[58:59], v[8:9]
	ds_bpermute_b32 v26, v18, v12
	ds_bpermute_b32 v27, v18, v13
	s_wait_loadcnt 0x9
	v_mul_f64_e32 v[34:35], v[40:41], v[34:35]
	v_add_f64_e32 v[6:7], v[6:7], v[40:41]
	s_wait_dscnt 0x0
	v_add_f64_e64 v[26:27], v[38:39], -v[26:27]
	v_fma_f64 v[8:9], v[30:31], v[32:33], v[8:9]
	ds_bpermute_b32 v30, v19, v12
	ds_bpermute_b32 v31, v19, v13
	;; [unrolled: 1-line block ×4, first 2 shown]
	s_wait_loadcnt 0x7
	v_add_f64_e32 v[6:7], v[6:7], v[44:45]
	s_wait_dscnt 0x2
	v_add_f64_e64 v[30:31], v[42:43], -v[30:31]
	v_mul_f64_e32 v[26:27], v[44:45], v[26:27]
	s_wait_dscnt 0x0
	v_fma_f64 v[8:9], v[34:35], v[32:33], v[8:9]
	ds_bpermute_b32 v32, v20, v12
	ds_bpermute_b32 v33, v20, v13
	ds_bpermute_b32 v34, v18, v10
	ds_bpermute_b32 v35, v18, v11
	s_wait_loadcnt 0x5
	v_add_f64_e32 v[6:7], v[6:7], v[48:49]
	s_wait_dscnt 0x2
	v_add_f64_e64 v[32:33], v[46:47], -v[32:33]
	v_mul_f64_e32 v[30:31], v[48:49], v[30:31]
	s_wait_dscnt 0x0
	v_fma_f64 v[8:9], v[26:27], v[34:35], v[8:9]
	ds_bpermute_b32 v26, v21, v12
	ds_bpermute_b32 v27, v21, v13
	ds_bpermute_b32 v34, v19, v10
	ds_bpermute_b32 v35, v19, v11
	ds_bpermute_b32 v12, v0, v12
	ds_bpermute_b32 v13, v0, v13
	s_wait_loadcnt 0x3
	v_add_f64_e32 v[6:7], v[6:7], v[52:53]
	s_wait_dscnt 0x4
	v_add_f64_e64 v[26:27], v[50:51], -v[26:27]
	v_mul_f64_e32 v[32:33], v[52:53], v[32:33]
	s_wait_loadcnt_dscnt 0x200
	v_add_f64_e64 v[12:13], v[24:25], -v[12:13]
	v_fma_f64 v[8:9], v[30:31], v[34:35], v[8:9]
	ds_bpermute_b32 v30, v20, v10
	ds_bpermute_b32 v31, v20, v11
	s_wait_loadcnt 0x1
	v_add_f64_e32 v[6:7], v[6:7], v[54:55]
	v_mul_f64_e32 v[24:25], v[54:55], v[26:27]
	ds_bpermute_b32 v26, v21, v10
	ds_bpermute_b32 v27, v21, v11
	;; [unrolled: 1-line block ×3, first 2 shown]
	s_wait_loadcnt 0x0
	v_mul_f64_e32 v[12:13], v[28:29], v[12:13]
	ds_bpermute_b32 v11, v0, v11
	s_wait_dscnt 0x4
	v_fma_f64 v[8:9], v[32:33], v[30:31], v[8:9]
	v_add_f64_e32 v[6:7], v[6:7], v[28:29]
	s_wait_dscnt 0x2
	s_delay_alu instid0(VALU_DEP_2) | instskip(SKIP_1) | instid1(VALU_DEP_1)
	v_fma_f64 v[8:9], v[24:25], v[26:27], v[8:9]
	s_wait_dscnt 0x0
	v_fma_f64 v[8:9], v[12:13], v[10:11], v[8:9]
	s_wait_alu 0xfffe
	s_cbranch_vccz .LBB29_10
.LBB29_7:                               ; =>This Inner Loop Header: Depth=1
	v_mov_b32_e32 v10, 0
	v_dual_mov_b32 v11, 0 :: v_dual_mov_b32 v12, 0
	v_mov_b32_e32 v13, 0
	s_and_saveexec_b32 s1, s0
	s_cbranch_execz .LBB29_6
; %bb.8:                                ;   in Loop: Header=BB29_7 Depth=1
	v_mov_b32_e32 v12, 0
	v_dual_mov_b32 v13, 0 :: v_dual_mov_b32 v10, 0
	v_mov_b32_e32 v11, 0
	s_mov_b32 s30, exec_lo
	v_cmpx_gt_i64_e64 s[12:13], v[2:3]
	s_cbranch_execz .LBB29_5
; %bb.9:                                ;   in Loop: Header=BB29_7 Depth=1
	v_add_co_u32 v10, vcc_lo, s8, v4
	s_wait_alu 0xfffd
	v_add_co_ci_u32_e64 v11, null, s9, v5, vcc_lo
	v_add_co_u32 v24, vcc_lo, s10, v4
	s_wait_alu 0xfffd
	v_add_co_ci_u32_e64 v25, null, s11, v5, vcc_lo
	global_load_b64 v[12:13], v[10:11], off
	global_load_b64 v[10:11], v[24:25], off
	s_branch .LBB29_5
.LBB29_10:
	v_mov_b32_e32 v1, v14
	s_mov_b64 s[4:5], s[20:21]
.LBB29_11:
	s_load_u16 s2, s[4:5], 0xe
	v_mov_b32_e32 v2, 0
	s_mov_b32 s0, ttmp9
	s_mov_b32 s1, 0
	s_wait_alu 0xfffe
	s_lshl_b64 s[0:1], s[0:1], 6
	s_wait_kmcnt 0x0
	s_cmp_eq_u64 s[16:17], 0
	s_wait_alu 0xfffe
	v_add_co_u32 v0, s0, s0, v15
	s_wait_alu 0xf1ff
	v_mad_co_u64_u32 v[2:3], null, s2, ttmp7, v[1:2]
	v_add_co_ci_u32_e64 v1, null, s1, 0, s0
	s_delay_alu instid0(VALU_DEP_1) | instskip(NEXT) | instid1(VALU_DEP_3)
	v_lshlrev_b64_e32 v[0:1], 3, v[0:1]
	v_mul_lo_u32 v3, v3, s14
	s_delay_alu instid0(VALU_DEP_4)
	v_mul_lo_u32 v4, v2, s15
	s_cbranch_scc1 .LBB29_13
; %bb.12:
	v_mad_co_u64_u32 v[10:11], null, v2, s14, 0
	s_delay_alu instid0(VALU_DEP_1) | instskip(NEXT) | instid1(VALU_DEP_1)
	v_add3_u32 v11, v11, v4, v3
	v_lshlrev_b64_e32 v[10:11], 3, v[10:11]
	s_delay_alu instid0(VALU_DEP_1) | instskip(SKIP_1) | instid1(VALU_DEP_2)
	v_add_co_u32 v5, vcc_lo, s16, v10
	s_wait_alu 0xfffd
	v_add_co_ci_u32_e64 v11, null, s17, v11, vcc_lo
	s_delay_alu instid0(VALU_DEP_2) | instskip(SKIP_1) | instid1(VALU_DEP_2)
	v_add_co_u32 v10, vcc_lo, v5, v0
	s_wait_alu 0xfffd
	v_add_co_ci_u32_e64 v11, null, v11, v1, vcc_lo
	global_store_b64 v[10:11], v[8:9], off
.LBB29_13:
	s_cmp_eq_u64 s[18:19], 0
	s_cbranch_scc1 .LBB29_15
; %bb.14:
	v_mad_co_u64_u32 v[8:9], null, v2, s14, 0
	s_delay_alu instid0(VALU_DEP_1) | instskip(NEXT) | instid1(VALU_DEP_1)
	v_add3_u32 v9, v9, v4, v3
	v_lshlrev_b64_e32 v[2:3], 3, v[8:9]
	s_delay_alu instid0(VALU_DEP_1) | instskip(SKIP_1) | instid1(VALU_DEP_2)
	v_add_co_u32 v2, vcc_lo, s18, v2
	s_wait_alu 0xfffd
	v_add_co_ci_u32_e64 v3, null, s19, v3, vcc_lo
	s_delay_alu instid0(VALU_DEP_2) | instskip(SKIP_1) | instid1(VALU_DEP_2)
	v_add_co_u32 v0, vcc_lo, v2, v0
	s_wait_alu 0xfffd
	v_add_co_ci_u32_e64 v1, null, v3, v1, vcc_lo
	global_store_b64 v[0:1], v[6:7], off
.LBB29_15:
	s_endpgm
	.section	.rodata,"a",@progbits
	.p2align	6, 0x0
	.amdhsa_kernel _ZN2at6native12_GLOBAL__N_135GammaBetaBackwardCUDAKernelTemplateIddLj64ELj1ELj8ELb1ELb1ELb0EEEvllPKT_S5_PKT0_S8_PS3_S9_
		.amdhsa_group_segment_fixed_size 0
		.amdhsa_private_segment_fixed_size 0
		.amdhsa_kernarg_size 320
		.amdhsa_user_sgpr_count 2
		.amdhsa_user_sgpr_dispatch_ptr 0
		.amdhsa_user_sgpr_queue_ptr 0
		.amdhsa_user_sgpr_kernarg_segment_ptr 1
		.amdhsa_user_sgpr_dispatch_id 0
		.amdhsa_user_sgpr_private_segment_size 0
		.amdhsa_wavefront_size32 1
		.amdhsa_uses_dynamic_stack 0
		.amdhsa_enable_private_segment 0
		.amdhsa_system_sgpr_workgroup_id_x 1
		.amdhsa_system_sgpr_workgroup_id_y 1
		.amdhsa_system_sgpr_workgroup_id_z 0
		.amdhsa_system_sgpr_workgroup_info 0
		.amdhsa_system_vgpr_workitem_id 1
		.amdhsa_next_free_vgpr 60
		.amdhsa_next_free_sgpr 31
		.amdhsa_reserve_vcc 1
		.amdhsa_float_round_mode_32 0
		.amdhsa_float_round_mode_16_64 0
		.amdhsa_float_denorm_mode_32 3
		.amdhsa_float_denorm_mode_16_64 3
		.amdhsa_fp16_overflow 0
		.amdhsa_workgroup_processor_mode 1
		.amdhsa_memory_ordered 1
		.amdhsa_forward_progress 1
		.amdhsa_inst_pref_size 16
		.amdhsa_round_robin_scheduling 0
		.amdhsa_exception_fp_ieee_invalid_op 0
		.amdhsa_exception_fp_denorm_src 0
		.amdhsa_exception_fp_ieee_div_zero 0
		.amdhsa_exception_fp_ieee_overflow 0
		.amdhsa_exception_fp_ieee_underflow 0
		.amdhsa_exception_fp_ieee_inexact 0
		.amdhsa_exception_int_div_zero 0
	.end_amdhsa_kernel
	.section	.text._ZN2at6native12_GLOBAL__N_135GammaBetaBackwardCUDAKernelTemplateIddLj64ELj1ELj8ELb1ELb1ELb0EEEvllPKT_S5_PKT0_S8_PS3_S9_,"axG",@progbits,_ZN2at6native12_GLOBAL__N_135GammaBetaBackwardCUDAKernelTemplateIddLj64ELj1ELj8ELb1ELb1ELb0EEEvllPKT_S5_PKT0_S8_PS3_S9_,comdat
.Lfunc_end29:
	.size	_ZN2at6native12_GLOBAL__N_135GammaBetaBackwardCUDAKernelTemplateIddLj64ELj1ELj8ELb1ELb1ELb0EEEvllPKT_S5_PKT0_S8_PS3_S9_, .Lfunc_end29-_ZN2at6native12_GLOBAL__N_135GammaBetaBackwardCUDAKernelTemplateIddLj64ELj1ELj8ELb1ELb1ELb0EEEvllPKT_S5_PKT0_S8_PS3_S9_
                                        ; -- End function
	.set _ZN2at6native12_GLOBAL__N_135GammaBetaBackwardCUDAKernelTemplateIddLj64ELj1ELj8ELb1ELb1ELb0EEEvllPKT_S5_PKT0_S8_PS3_S9_.num_vgpr, 60
	.set _ZN2at6native12_GLOBAL__N_135GammaBetaBackwardCUDAKernelTemplateIddLj64ELj1ELj8ELb1ELb1ELb0EEEvllPKT_S5_PKT0_S8_PS3_S9_.num_agpr, 0
	.set _ZN2at6native12_GLOBAL__N_135GammaBetaBackwardCUDAKernelTemplateIddLj64ELj1ELj8ELb1ELb1ELb0EEEvllPKT_S5_PKT0_S8_PS3_S9_.numbered_sgpr, 31
	.set _ZN2at6native12_GLOBAL__N_135GammaBetaBackwardCUDAKernelTemplateIddLj64ELj1ELj8ELb1ELb1ELb0EEEvllPKT_S5_PKT0_S8_PS3_S9_.num_named_barrier, 0
	.set _ZN2at6native12_GLOBAL__N_135GammaBetaBackwardCUDAKernelTemplateIddLj64ELj1ELj8ELb1ELb1ELb0EEEvllPKT_S5_PKT0_S8_PS3_S9_.private_seg_size, 0
	.set _ZN2at6native12_GLOBAL__N_135GammaBetaBackwardCUDAKernelTemplateIddLj64ELj1ELj8ELb1ELb1ELb0EEEvllPKT_S5_PKT0_S8_PS3_S9_.uses_vcc, 1
	.set _ZN2at6native12_GLOBAL__N_135GammaBetaBackwardCUDAKernelTemplateIddLj64ELj1ELj8ELb1ELb1ELb0EEEvllPKT_S5_PKT0_S8_PS3_S9_.uses_flat_scratch, 0
	.set _ZN2at6native12_GLOBAL__N_135GammaBetaBackwardCUDAKernelTemplateIddLj64ELj1ELj8ELb1ELb1ELb0EEEvllPKT_S5_PKT0_S8_PS3_S9_.has_dyn_sized_stack, 0
	.set _ZN2at6native12_GLOBAL__N_135GammaBetaBackwardCUDAKernelTemplateIddLj64ELj1ELj8ELb1ELb1ELb0EEEvllPKT_S5_PKT0_S8_PS3_S9_.has_recursion, 0
	.set _ZN2at6native12_GLOBAL__N_135GammaBetaBackwardCUDAKernelTemplateIddLj64ELj1ELj8ELb1ELb1ELb0EEEvllPKT_S5_PKT0_S8_PS3_S9_.has_indirect_call, 0
	.section	.AMDGPU.csdata,"",@progbits
; Kernel info:
; codeLenInByte = 1948
; TotalNumSgprs: 33
; NumVgprs: 60
; ScratchSize: 0
; MemoryBound: 0
; FloatMode: 240
; IeeeMode: 1
; LDSByteSize: 0 bytes/workgroup (compile time only)
; SGPRBlocks: 0
; VGPRBlocks: 7
; NumSGPRsForWavesPerEU: 33
; NumVGPRsForWavesPerEU: 60
; Occupancy: 16
; WaveLimiterHint : 0
; COMPUTE_PGM_RSRC2:SCRATCH_EN: 0
; COMPUTE_PGM_RSRC2:USER_SGPR: 2
; COMPUTE_PGM_RSRC2:TRAP_HANDLER: 0
; COMPUTE_PGM_RSRC2:TGID_X_EN: 1
; COMPUTE_PGM_RSRC2:TGID_Y_EN: 1
; COMPUTE_PGM_RSRC2:TGID_Z_EN: 0
; COMPUTE_PGM_RSRC2:TIDIG_COMP_CNT: 1
	.section	.text._ZN2at6native12_GLOBAL__N_135GammaBetaBackwardCUDAKernelTemplateIddLj64ELj1ELj8ELb1ELb0ELb0EEEvllPKT_S5_PKT0_S8_PS3_S9_,"axG",@progbits,_ZN2at6native12_GLOBAL__N_135GammaBetaBackwardCUDAKernelTemplateIddLj64ELj1ELj8ELb1ELb0ELb0EEEvllPKT_S5_PKT0_S8_PS3_S9_,comdat
	.globl	_ZN2at6native12_GLOBAL__N_135GammaBetaBackwardCUDAKernelTemplateIddLj64ELj1ELj8ELb1ELb0ELb0EEEvllPKT_S5_PKT0_S8_PS3_S9_ ; -- Begin function _ZN2at6native12_GLOBAL__N_135GammaBetaBackwardCUDAKernelTemplateIddLj64ELj1ELj8ELb1ELb0ELb0EEEvllPKT_S5_PKT0_S8_PS3_S9_
	.p2align	8
	.type	_ZN2at6native12_GLOBAL__N_135GammaBetaBackwardCUDAKernelTemplateIddLj64ELj1ELj8ELb1ELb0ELb0EEEvllPKT_S5_PKT0_S8_PS3_S9_,@function
_ZN2at6native12_GLOBAL__N_135GammaBetaBackwardCUDAKernelTemplateIddLj64ELj1ELj8ELb1ELb0ELb0EEEvllPKT_S5_PKT0_S8_PS3_S9_: ; @_ZN2at6native12_GLOBAL__N_135GammaBetaBackwardCUDAKernelTemplateIddLj64ELj1ELj8ELb1ELb0ELb0EEEvllPKT_S5_PKT0_S8_PS3_S9_
; %bb.0:
	s_clause 0x1
	s_load_b256 s[4:11], s[0:1], 0x0
	s_load_b128 s[12:15], s[0:1], 0x20
	s_lshl_b32 s30, ttmp9, 6
	s_mov_b32 s17, 0
	s_or_b32 s16, s30, 63
	s_wait_kmcnt 0x0
	v_cmp_le_i64_e64 s2, s[6:7], s[16:17]
	s_lshl_b32 s16, ttmp7, 3
	s_wait_alu 0xfffe
	v_cmp_gt_i64_e64 s31, s[4:5], s[16:17]
	s_and_b32 vcc_lo, exec_lo, s2
	v_cndmask_b32_e64 v1, 0, 1, s31
	s_delay_alu instid0(VALU_DEP_1)
	v_cmp_ne_u32_e64 s2, 1, v1
	s_cbranch_vccz .LBB30_48
; %bb.1:
	v_mov_b32_e32 v34, 0
	v_dual_mov_b32 v35, 0 :: v_dual_mov_b32 v36, 0
	v_mov_b32_e32 v37, 0
	s_and_b32 vcc_lo, exec_lo, s2
	s_cbranch_vccnz .LBB30_49
; %bb.2:
	v_bfe_u32 v46, v0, 10, 10
	v_dual_mov_b32 v1, 0 :: v_dual_and_b32 v48, 0x3ff, v0
	s_load_b32 s3, s[0:1], 0x44
	s_mov_b32 s19, 0
	s_delay_alu instid0(VALU_DEP_2) | instskip(NEXT) | instid1(VALU_DEP_2)
	v_dual_mov_b32 v36, 0 :: v_dual_lshlrev_b32 v47, 3, v46
	v_dual_mov_b32 v5, v1 :: v_dual_add_nc_u32 v4, s30, v48
	s_mov_b32 s23, s19
	s_delay_alu instid0(VALU_DEP_2) | instskip(NEXT) | instid1(VALU_DEP_1)
	v_add_co_u32 v10, s2, v47, s16
	v_add_co_ci_u32_e64 v11, null, 0, 0, s2
	s_delay_alu instid0(VALU_DEP_3) | instskip(NEXT) | instid1(VALU_DEP_3)
	v_cmp_gt_i64_e64 s2, s[6:7], v[4:5]
	v_mul_lo_u32 v6, s7, v10
	v_mad_co_u64_u32 v[2:3], null, s6, v10, 0
	s_delay_alu instid0(VALU_DEP_4)
	v_mul_lo_u32 v7, s6, v11
	v_lshlrev_b64_e32 v[38:39], 3, v[4:5]
	v_dual_mov_b32 v49, v1 :: v_dual_mov_b32 v34, 0
	v_mov_b32_e32 v37, 0
	s_wait_kmcnt 0x0
	s_lshl_b32 s22, s3, 3
	v_mov_b32_e32 v35, 0
	s_mul_u64 s[24:25], s[6:7], s[22:23]
	v_add3_u32 v3, v3, v7, v6
	v_add_co_u32 v6, vcc_lo, v10, 7
	s_delay_alu instid0(VALU_DEP_1)
	v_add_co_ci_u32_e64 v7, null, 0, v11, vcc_lo
	v_add_co_u32 v8, vcc_lo, v10, 6
	s_wait_alu 0xfffd
	v_add_co_ci_u32_e64 v9, null, 0, v11, vcc_lo
	v_lshlrev_b64_e32 v[4:5], 3, v[2:3]
	v_mul_lo_u32 v12, s7, v6
	v_mul_lo_u32 v13, s6, v7
	v_mad_co_u64_u32 v[6:7], null, s6, v6, 0
	v_mul_lo_u32 v14, s7, v8
	v_mul_lo_u32 v15, s6, v9
	v_mad_co_u64_u32 v[8:9], null, s6, v8, 0
	v_add_co_u32 v50, vcc_lo, s8, v4
	s_wait_alu 0xfffd
	v_add_co_ci_u32_e64 v51, null, s9, v5, vcc_lo
	v_add_co_u32 v52, vcc_lo, s10, v4
	v_add3_u32 v7, v7, v13, v12
	s_wait_alu 0xfffd
	v_add_co_ci_u32_e64 v53, null, s11, v5, vcc_lo
	v_add_co_u32 v12, vcc_lo, v10, 5
	v_add3_u32 v9, v9, v15, v14
	s_wait_alu 0xfffd
	v_add_co_ci_u32_e64 v13, null, 0, v11, vcc_lo
	v_lshlrev_b64_e32 v[4:5], 3, v[6:7]
	v_mul_lo_u32 v14, s7, v12
	v_lshlrev_b64_e32 v[6:7], 3, v[8:9]
	s_delay_alu instid0(VALU_DEP_4)
	v_mul_lo_u32 v13, s6, v13
	v_mad_co_u64_u32 v[8:9], null, s6, v12, 0
	v_add_co_u32 v54, vcc_lo, s8, v4
	s_wait_alu 0xfffd
	v_add_co_ci_u32_e64 v55, null, s9, v5, vcc_lo
	v_add_co_u32 v56, vcc_lo, s10, v4
	s_wait_alu 0xfffd
	v_add_co_ci_u32_e64 v57, null, s11, v5, vcc_lo
	v_add_co_u32 v58, vcc_lo, s8, v6
	v_add3_u32 v9, v9, v13, v14
	s_wait_alu 0xfffd
	v_add_co_ci_u32_e64 v59, null, s9, v7, vcc_lo
	v_add_co_u32 v12, vcc_lo, v10, 4
	v_add_co_u32 v60, s3, s10, v6
	s_wait_alu 0xfffd
	v_add_co_ci_u32_e64 v6, null, 0, v11, vcc_lo
	v_lshlrev_b64_e32 v[4:5], 3, v[8:9]
	v_add_co_u32 v8, vcc_lo, v10, 3
	s_wait_alu 0xfffd
	v_add_co_ci_u32_e64 v9, null, 0, v11, vcc_lo
	s_wait_alu 0xf1ff
	v_add_co_ci_u32_e64 v61, null, s11, v7, s3
	v_mul_lo_u32 v13, s7, v12
	v_mul_lo_u32 v14, s6, v6
	v_mad_co_u64_u32 v[6:7], null, s6, v12, 0
	v_mul_lo_u32 v12, s7, v8
	v_mul_lo_u32 v15, s6, v9
	v_mad_co_u64_u32 v[8:9], null, s6, v8, 0
	v_add_co_u32 v62, vcc_lo, s8, v4
	s_wait_alu 0xfffd
	v_add_co_ci_u32_e64 v63, null, s9, v5, vcc_lo
	v_add3_u32 v7, v7, v14, v13
	v_add_co_u32 v64, vcc_lo, s10, v4
	s_wait_alu 0xfffd
	v_add_co_ci_u32_e64 v65, null, s11, v5, vcc_lo
	v_add_co_u32 v10, vcc_lo, v10, 2
	v_add3_u32 v9, v9, v15, v12
	s_wait_alu 0xfffd
	v_add_co_ci_u32_e64 v11, null, 0, v11, vcc_lo
	v_lshlrev_b64_e32 v[4:5], 3, v[6:7]
	v_mul_lo_u32 v12, s7, v10
	v_lshlrev_b64_e32 v[6:7], 3, v[8:9]
	s_delay_alu instid0(VALU_DEP_4)
	v_mul_lo_u32 v11, s6, v11
	v_mad_co_u64_u32 v[8:9], null, s6, v10, 0
	v_add_co_u32 v66, vcc_lo, s8, v4
	s_wait_alu 0xfffd
	v_add_co_ci_u32_e64 v67, null, s9, v5, vcc_lo
	v_add_co_u32 v68, vcc_lo, s10, v4
	s_wait_alu 0xfffd
	v_add_co_ci_u32_e64 v69, null, s11, v5, vcc_lo
	;; [unrolled: 3-line block ×3, first 2 shown]
	v_add3_u32 v9, v9, v11, v12
	v_add_co_u32 v72, vcc_lo, s10, v6
	s_wait_alu 0xfffd
	v_add_co_ci_u32_e64 v73, null, s11, v7, vcc_lo
	v_add_co_u32 v2, vcc_lo, v2, s6
	s_wait_alu 0xfffd
	v_add_co_ci_u32_e64 v3, null, s7, v3, vcc_lo
	v_lshlrev_b64_e32 v[4:5], 3, v[8:9]
	s_add_nc_u64 s[20:21], s[0:1], 64
	s_lshl_b64 s[24:25], s[24:25], 3
	s_delay_alu instid0(VALU_DEP_2)
	v_lshlrev_b64_e32 v[2:3], 3, v[2:3]
	s_mov_b64 s[26:27], 7
	s_mov_b64 s[28:29], s[16:17]
	v_add_co_u32 v74, vcc_lo, s8, v4
	s_wait_alu 0xfffd
	v_add_co_ci_u32_e64 v75, null, s9, v5, vcc_lo
	v_add_co_u32 v76, vcc_lo, s10, v4
	s_wait_alu 0xfffd
	v_add_co_ci_u32_e64 v77, null, s11, v5, vcc_lo
	;; [unrolled: 3-line block ×4, first 2 shown]
	s_branch .LBB30_5
.LBB30_3:                               ;   in Loop: Header=BB30_5 Depth=1
	s_wait_alu 0xfffe
	s_or_b32 exec_lo, exec_lo, s3
	s_wait_loadcnt 0x1
	ds_bpermute_b32 v40, v1, v42
	ds_bpermute_b32 v41, v1, v43
	s_wait_loadcnt 0x0
	ds_bpermute_b32 v82, v1, v44
	ds_bpermute_b32 v83, v1, v45
	s_wait_dscnt 0x2
	v_add_f64_e64 v[18:19], v[18:19], -v[40:41]
	ds_bpermute_b32 v40, v1, v42 offset:4
	ds_bpermute_b32 v41, v1, v43 offset:4
	s_wait_dscnt 0x0
	v_add_f64_e64 v[20:21], v[20:21], -v[40:41]
	ds_bpermute_b32 v40, v1, v42 offset:8
	ds_bpermute_b32 v41, v1, v43 offset:8
	v_mul_f64_e32 v[18:19], v[2:3], v[18:19]
	v_add_f64_e32 v[2:3], v[34:35], v[2:3]
	ds_bpermute_b32 v34, v1, v42 offset:12
	ds_bpermute_b32 v35, v1, v43 offset:12
	s_wait_dscnt 0x2
	v_add_f64_e64 v[22:23], v[22:23], -v[40:41]
	v_mul_f64_e32 v[20:21], v[4:5], v[20:21]
	s_wait_dscnt 0x0
	v_add_f64_e64 v[24:25], v[24:25], -v[34:35]
	v_fma_f64 v[18:19], v[18:19], v[82:83], v[36:37]
	ds_bpermute_b32 v36, v1, v44 offset:4
	ds_bpermute_b32 v37, v1, v45 offset:4
	v_add_f64_e32 v[2:3], v[4:5], v[2:3]
	ds_bpermute_b32 v4, v1, v42 offset:16
	ds_bpermute_b32 v5, v1, v43 offset:16
	v_mul_f64_e32 v[22:23], v[6:7], v[22:23]
	v_mul_f64_e32 v[24:25], v[8:9], v[24:25]
	s_wait_dscnt 0x0
	v_add_f64_e64 v[4:5], v[26:27], -v[4:5]
	v_fma_f64 v[18:19], v[20:21], v[36:37], v[18:19]
	ds_bpermute_b32 v20, v1, v44 offset:8
	ds_bpermute_b32 v21, v1, v45 offset:8
	v_add_f64_e32 v[2:3], v[6:7], v[2:3]
	ds_bpermute_b32 v6, v1, v42 offset:20
	ds_bpermute_b32 v7, v1, v43 offset:20
	s_wait_dscnt 0x0
	v_add_f64_e64 v[6:7], v[28:29], -v[6:7]
	v_mul_f64_e32 v[4:5], v[10:11], v[4:5]
	v_fma_f64 v[18:19], v[22:23], v[20:21], v[18:19]
	ds_bpermute_b32 v20, v1, v44 offset:12
	ds_bpermute_b32 v21, v1, v45 offset:12
	v_add_f64_e32 v[2:3], v[8:9], v[2:3]
	ds_bpermute_b32 v8, v1, v42 offset:24
	ds_bpermute_b32 v9, v1, v43 offset:24
	s_wait_dscnt 0x0
	v_add_f64_e64 v[8:9], v[30:31], -v[8:9]
	v_mul_f64_e32 v[6:7], v[12:13], v[6:7]
	v_fma_f64 v[18:19], v[24:25], v[20:21], v[18:19]
	ds_bpermute_b32 v20, v1, v44 offset:16
	ds_bpermute_b32 v21, v1, v45 offset:16
	v_add_f64_e32 v[2:3], v[10:11], v[2:3]
	ds_bpermute_b32 v10, v1, v44 offset:20
	ds_bpermute_b32 v11, v1, v45 offset:20
	v_mul_f64_e32 v[8:9], v[14:15], v[8:9]
	s_wait_dscnt 0x2
	v_fma_f64 v[4:5], v[4:5], v[20:21], v[18:19]
	s_wait_dscnt 0x0
	s_delay_alu instid0(VALU_DEP_1)
	v_fma_f64 v[4:5], v[6:7], v[10:11], v[4:5]
	v_add_f64_e32 v[6:7], v[12:13], v[2:3]
	ds_bpermute_b32 v2, v1, v44 offset:24
	ds_bpermute_b32 v3, v1, v45 offset:24
	;; [unrolled: 1-line block ×4, first 2 shown]
	s_wait_dscnt 0x2
	v_fma_f64 v[2:3], v[8:9], v[2:3], v[4:5]
	v_add_f64_e32 v[4:5], v[14:15], v[6:7]
	ds_bpermute_b32 v6, v1, v42 offset:28
	ds_bpermute_b32 v7, v1, v43 offset:28
.LBB30_4:                               ;   in Loop: Header=BB30_5 Depth=1
	s_wait_dscnt 0x0
	v_add_f64_e64 v[6:7], v[32:33], -v[6:7]
	v_add_f64_e32 v[34:35], v[4:5], v[16:17]
	v_add_co_u32 v50, vcc_lo, v50, s24
	s_wait_alu 0xfffd
	v_add_co_ci_u32_e64 v51, null, s25, v51, vcc_lo
	v_add_co_u32 v52, vcc_lo, v52, s24
	s_wait_alu 0xfffd
	v_add_co_ci_u32_e64 v53, null, s25, v53, vcc_lo
	;; [unrolled: 3-line block ×9, first 2 shown]
	v_mul_f64_e32 v[4:5], v[16:17], v[6:7]
	v_add_co_u32 v68, vcc_lo, v68, s24
	s_wait_alu 0xfffd
	v_add_co_ci_u32_e64 v69, null, s25, v69, vcc_lo
	v_add_co_u32 v70, vcc_lo, v70, s24
	s_wait_alu 0xfffd
	v_add_co_ci_u32_e64 v71, null, s25, v71, vcc_lo
	;; [unrolled: 3-line block ×5, first 2 shown]
	v_add_co_u32 v78, vcc_lo, v78, s24
	s_add_nc_u64 s[28:29], s[28:29], s[22:23]
	s_wait_alu 0xfffd
	v_add_co_ci_u32_e64 v79, null, s25, v79, vcc_lo
	v_add_co_u32 v80, vcc_lo, v80, s24
	s_wait_alu 0xfffe
	v_cmp_lt_i64_e64 s3, s[28:29], s[4:5]
	s_wait_alu 0xfffd
	v_add_co_ci_u32_e64 v81, null, s25, v81, vcc_lo
	v_add_co_u32 v47, vcc_lo, v47, s22
	s_wait_alu 0xfffd
	v_add_co_ci_u32_e64 v49, null, 0, v49, vcc_lo
	s_and_b32 vcc_lo, exec_lo, s3
	s_add_nc_u64 s[26:27], s[26:27], s[22:23]
	v_fma_f64 v[36:37], v[4:5], v[44:45], v[2:3]
	s_wait_alu 0xfffe
	s_cbranch_vccz .LBB30_49
.LBB30_5:                               ; =>This Inner Loop Header: Depth=1
	s_add_nc_u64 s[34:35], s[16:17], s[26:27]
	v_add_co_u32 v40, vcc_lo, s16, v47
	s_wait_alu 0xfffe
	v_cmp_ge_i64_e64 s3, s[34:35], s[4:5]
	s_wait_alu 0xfffd
	v_add_co_ci_u32_e64 v41, null, 0, v49, vcc_lo
                                        ; implicit-def: $vgpr2_vgpr3_vgpr4_vgpr5_vgpr6_vgpr7_vgpr8_vgpr9_vgpr10_vgpr11_vgpr12_vgpr13_vgpr14_vgpr15_vgpr16_vgpr17
                                        ; implicit-def: $vgpr44_vgpr45
                                        ; implicit-def: $vgpr18_vgpr19_vgpr20_vgpr21_vgpr22_vgpr23_vgpr24_vgpr25_vgpr26_vgpr27_vgpr28_vgpr29_vgpr30_vgpr31_vgpr32_vgpr33
                                        ; implicit-def: $vgpr6
                                        ; implicit-def: $vgpr4_vgpr5
                                        ; implicit-def: $vgpr2_vgpr3
	s_and_b32 vcc_lo, exec_lo, s3
	s_mov_b32 s3, -1
	s_wait_alu 0xfffe
	s_cbranch_vccz .LBB30_27
; %bb.6:                                ;   in Loop: Header=BB30_5 Depth=1
	s_load_b32 s3, s[20:21], 0xc
	v_mov_b32_e32 v44, 0
	v_mov_b32_e32 v42, 0
	v_mov_b32_e32 v43, 0
	v_mov_b32_e32 v45, 0
	s_wait_kmcnt 0x0
	s_and_b32 s3, s3, 0xffff
	s_wait_alu 0xfffe
	v_mad_u32_u24 v2, v46, s3, v48
	s_mov_b32 s3, exec_lo
	s_delay_alu instid0(VALU_DEP_1) | instskip(NEXT) | instid1(VALU_DEP_1)
	v_and_b32_e32 v2, 31, v2
	v_cmpx_gt_u32_e32 8, v2
	s_cbranch_execz .LBB30_10
; %bb.7:                                ;   in Loop: Header=BB30_5 Depth=1
	v_add_co_u32 v2, vcc_lo, v40, v2
	v_mov_b32_e32 v42, 0
	v_dual_mov_b32 v43, 0 :: v_dual_mov_b32 v44, 0
	s_wait_alu 0xfffd
	v_add_co_ci_u32_e64 v3, null, 0, v41, vcc_lo
	v_mov_b32_e32 v45, 0
	s_mov_b32 s18, exec_lo
	s_delay_alu instid0(VALU_DEP_2)
	v_cmpx_gt_i64_e64 s[4:5], v[2:3]
	s_cbranch_execz .LBB30_9
; %bb.8:                                ;   in Loop: Header=BB30_5 Depth=1
	v_lshlrev_b64_e32 v[2:3], 3, v[2:3]
	s_delay_alu instid0(VALU_DEP_1) | instskip(SKIP_1) | instid1(VALU_DEP_2)
	v_add_co_u32 v4, vcc_lo, s12, v2
	s_wait_alu 0xfffd
	v_add_co_ci_u32_e64 v5, null, s13, v3, vcc_lo
	v_add_co_u32 v2, vcc_lo, s14, v2
	s_wait_alu 0xfffd
	v_add_co_ci_u32_e64 v3, null, s15, v3, vcc_lo
	global_load_b64 v[42:43], v[4:5], off
	global_load_b64 v[44:45], v[2:3], off
.LBB30_9:                               ;   in Loop: Header=BB30_5 Depth=1
	s_or_b32 exec_lo, exec_lo, s18
.LBB30_10:                              ;   in Loop: Header=BB30_5 Depth=1
	s_wait_alu 0xfffe
	s_or_b32 exec_lo, exec_lo, s3
	v_mov_b32_e32 v16, v1
	v_dual_mov_b32 v2, v1 :: v_dual_mov_b32 v3, v1
	v_dual_mov_b32 v4, v1 :: v_dual_mov_b32 v5, v1
	;; [unrolled: 1-line block ×7, first 2 shown]
	v_cmp_gt_i64_e32 vcc_lo, s[4:5], v[40:41]
	s_delay_alu instid0(VALU_DEP_3) | instskip(NEXT) | instid1(VALU_DEP_3)
	v_dual_mov_b32 v33, v16 :: v_dual_mov_b32 v30, v13
	v_dual_mov_b32 v31, v14 :: v_dual_mov_b32 v32, v15
	;; [unrolled: 1-line block ×8, first 2 shown]
	v_mov_b32_e32 v17, v16
	v_mov_b32_e32 v16, v15
	;; [unrolled: 1-line block ×16, first 2 shown]
	s_and_b32 s18, s2, vcc_lo
	s_delay_alu instid0(SALU_CYCLE_1)
	s_and_saveexec_b32 s3, s18
	s_cbranch_execz .LBB30_12
; %bb.11:                               ;   in Loop: Header=BB30_5 Depth=1
	v_add_co_u32 v2, vcc_lo, v50, v38
	s_wait_alu 0xfffd
	v_add_co_ci_u32_e64 v3, null, v51, v39, vcc_lo
	v_add_co_u32 v4, vcc_lo, v52, v38
	s_wait_alu 0xfffd
	v_add_co_ci_u32_e64 v5, null, v53, v39, vcc_lo
	global_load_b64 v[2:3], v[2:3], off
	global_load_b64 v[18:19], v[4:5], off
	v_dual_mov_b32 v4, v1 :: v_dual_mov_b32 v5, v1
	v_dual_mov_b32 v6, v1 :: v_dual_mov_b32 v7, v1
	;; [unrolled: 1-line block ×14, first 2 shown]
.LBB30_12:                              ;   in Loop: Header=BB30_5 Depth=1
	s_wait_alu 0xfffe
	s_or_b32 exec_lo, exec_lo, s3
	v_add_co_u32 v82, vcc_lo, v40, 1
	s_wait_alu 0xfffd
	v_add_co_ci_u32_e64 v83, null, 0, v41, vcc_lo
	s_delay_alu instid0(VALU_DEP_1) | instskip(SKIP_1) | instid1(SALU_CYCLE_1)
	v_cmp_gt_i64_e32 vcc_lo, s[4:5], v[82:83]
	s_and_b32 s18, s2, vcc_lo
	s_and_saveexec_b32 s3, s18
	s_cbranch_execz .LBB30_14
; %bb.13:                               ;   in Loop: Header=BB30_5 Depth=1
	v_add_co_u32 v4, vcc_lo, v78, v38
	s_wait_alu 0xfffd
	v_add_co_ci_u32_e64 v5, null, v79, v39, vcc_lo
	v_add_co_u32 v20, vcc_lo, v80, v38
	s_wait_alu 0xfffd
	v_add_co_ci_u32_e64 v21, null, v81, v39, vcc_lo
	global_load_b64 v[4:5], v[4:5], off
	global_load_b64 v[20:21], v[20:21], off
.LBB30_14:                              ;   in Loop: Header=BB30_5 Depth=1
	s_wait_alu 0xfffe
	s_or_b32 exec_lo, exec_lo, s3
	v_add_co_u32 v82, vcc_lo, v40, 2
	s_wait_alu 0xfffd
	v_add_co_ci_u32_e64 v83, null, 0, v41, vcc_lo
	s_delay_alu instid0(VALU_DEP_1) | instskip(SKIP_1) | instid1(SALU_CYCLE_1)
	v_cmp_gt_i64_e32 vcc_lo, s[4:5], v[82:83]
	s_and_b32 s18, s2, vcc_lo
	s_and_saveexec_b32 s3, s18
	s_cbranch_execz .LBB30_16
; %bb.15:                               ;   in Loop: Header=BB30_5 Depth=1
	v_add_co_u32 v6, vcc_lo, v74, v38
	s_wait_alu 0xfffd
	v_add_co_ci_u32_e64 v7, null, v75, v39, vcc_lo
	v_add_co_u32 v22, vcc_lo, v76, v38
	s_wait_alu 0xfffd
	v_add_co_ci_u32_e64 v23, null, v77, v39, vcc_lo
	global_load_b64 v[6:7], v[6:7], off
	global_load_b64 v[22:23], v[22:23], off
.LBB30_16:                              ;   in Loop: Header=BB30_5 Depth=1
	;; [unrolled: 20-line block ×7, first 2 shown]
	s_wait_alu 0xfffe
	s_or_b32 exec_lo, exec_lo, s3
	s_wait_loadcnt 0x1
	ds_bpermute_b32 v82, v1, v42
	ds_bpermute_b32 v83, v1, v43
	s_wait_loadcnt 0x0
	ds_bpermute_b32 v84, v1, v44
	ds_bpermute_b32 v85, v1, v45
	s_mov_b32 s3, 0
	s_wait_dscnt 0x2
	v_add_f64_e64 v[18:19], v[18:19], -v[82:83]
	ds_bpermute_b32 v82, v1, v42 offset:4
	ds_bpermute_b32 v83, v1, v43 offset:4
	s_wait_dscnt 0x0
	v_add_f64_e64 v[20:21], v[20:21], -v[82:83]
	ds_bpermute_b32 v82, v1, v42 offset:8
	ds_bpermute_b32 v83, v1, v43 offset:8
	v_mul_f64_e32 v[18:19], v[2:3], v[18:19]
	v_add_f64_e32 v[2:3], v[34:35], v[2:3]
	s_wait_dscnt 0x0
	v_add_f64_e64 v[22:23], v[22:23], -v[82:83]
	ds_bpermute_b32 v82, v1, v42 offset:12
	ds_bpermute_b32 v83, v1, v43 offset:12
	v_mul_f64_e32 v[20:21], v[4:5], v[20:21]
	s_wait_dscnt 0x0
	v_add_f64_e64 v[24:25], v[24:25], -v[82:83]
	v_fma_f64 v[18:19], v[18:19], v[84:85], v[36:37]
	ds_bpermute_b32 v84, v1, v44 offset:4
	ds_bpermute_b32 v85, v1, v45 offset:4
	v_add_f64_e32 v[2:3], v[4:5], v[2:3]
	ds_bpermute_b32 v4, v1, v42 offset:16
	ds_bpermute_b32 v5, v1, v43 offset:16
	v_mul_f64_e32 v[22:23], v[6:7], v[22:23]
	s_wait_dscnt 0x0
	v_add_f64_e64 v[4:5], v[26:27], -v[4:5]
	v_mul_f64_e32 v[24:25], v[8:9], v[24:25]
	v_fma_f64 v[18:19], v[20:21], v[84:85], v[18:19]
	ds_bpermute_b32 v20, v1, v44 offset:8
	ds_bpermute_b32 v21, v1, v45 offset:8
	v_add_f64_e32 v[2:3], v[6:7], v[2:3]
	ds_bpermute_b32 v6, v1, v42 offset:20
	ds_bpermute_b32 v7, v1, v43 offset:20
	s_wait_dscnt 0x0
	v_add_f64_e64 v[6:7], v[28:29], -v[6:7]
	v_mul_f64_e32 v[4:5], v[10:11], v[4:5]
	v_fma_f64 v[18:19], v[22:23], v[20:21], v[18:19]
	ds_bpermute_b32 v20, v1, v44 offset:12
	ds_bpermute_b32 v21, v1, v45 offset:12
	v_add_f64_e32 v[2:3], v[8:9], v[2:3]
	ds_bpermute_b32 v8, v1, v42 offset:24
	ds_bpermute_b32 v9, v1, v43 offset:24
	;; [unrolled: 9-line block ×3, first 2 shown]
	v_mul_f64_e32 v[8:9], v[14:15], v[8:9]
	s_wait_dscnt 0x2
	v_fma_f64 v[4:5], v[4:5], v[20:21], v[18:19]
	s_wait_dscnt 0x0
	s_delay_alu instid0(VALU_DEP_1)
	v_fma_f64 v[4:5], v[6:7], v[10:11], v[4:5]
	v_add_f64_e32 v[6:7], v[12:13], v[2:3]
	ds_bpermute_b32 v2, v1, v44 offset:24
	ds_bpermute_b32 v3, v1, v45 offset:24
	;; [unrolled: 1-line block ×4, first 2 shown]
	s_wait_dscnt 0x2
	v_fma_f64 v[2:3], v[8:9], v[2:3], v[4:5]
	v_add_f64_e32 v[4:5], v[14:15], v[6:7]
	ds_bpermute_b32 v6, v1, v42 offset:28
	ds_bpermute_b32 v7, v1, v43 offset:28
.LBB30_27:                              ;   in Loop: Header=BB30_5 Depth=1
	s_wait_alu 0xfffe
	s_and_b32 vcc_lo, exec_lo, s3
	s_wait_alu 0xfffe
	s_cbranch_vccz .LBB30_4
; %bb.28:                               ;   in Loop: Header=BB30_5 Depth=1
	s_load_b32 s3, s[20:21], 0x0
	s_wait_dscnt 0x2
	v_mov_b32_e32 v44, 0
	v_mov_b32_e32 v42, 0
	;; [unrolled: 1-line block ×4, first 2 shown]
	s_wait_kmcnt 0x0
	s_cmp_lt_u32 ttmp9, s3
	s_cselect_b32 s18, 12, 18
	s_delay_alu instid0(SALU_CYCLE_1) | instskip(SKIP_4) | instid1(VALU_DEP_1)
	s_add_nc_u64 s[34:35], s[20:21], s[18:19]
	s_load_u16 s3, s[34:35], 0x0
	s_wait_kmcnt 0x0
	v_mad_u32_u24 v2, v46, s3, v48
	s_mov_b32 s3, exec_lo
	v_and_b32_e32 v2, 31, v2
	s_delay_alu instid0(VALU_DEP_1)
	v_cmpx_gt_u32_e32 8, v2
	s_cbranch_execz .LBB30_32
; %bb.29:                               ;   in Loop: Header=BB30_5 Depth=1
	v_add_co_u32 v2, vcc_lo, v40, v2
	v_mov_b32_e32 v42, 0
	v_dual_mov_b32 v43, 0 :: v_dual_mov_b32 v44, 0
	s_wait_alu 0xfffd
	v_add_co_ci_u32_e64 v3, null, 0, v41, vcc_lo
	v_mov_b32_e32 v45, 0
	s_mov_b32 s18, exec_lo
	s_delay_alu instid0(VALU_DEP_2)
	v_cmpx_gt_i64_e64 s[4:5], v[2:3]
	s_cbranch_execz .LBB30_31
; %bb.30:                               ;   in Loop: Header=BB30_5 Depth=1
	v_lshlrev_b64_e32 v[2:3], 3, v[2:3]
	s_delay_alu instid0(VALU_DEP_1) | instskip(SKIP_1) | instid1(VALU_DEP_2)
	v_add_co_u32 v4, vcc_lo, s12, v2
	s_wait_alu 0xfffd
	v_add_co_ci_u32_e64 v5, null, s13, v3, vcc_lo
	v_add_co_u32 v2, vcc_lo, s14, v2
	s_wait_alu 0xfffd
	v_add_co_ci_u32_e64 v3, null, s15, v3, vcc_lo
	global_load_b64 v[42:43], v[4:5], off
	global_load_b64 v[44:45], v[2:3], off
.LBB30_31:                              ;   in Loop: Header=BB30_5 Depth=1
	s_or_b32 exec_lo, exec_lo, s18
.LBB30_32:                              ;   in Loop: Header=BB30_5 Depth=1
	s_wait_alu 0xfffe
	s_or_b32 exec_lo, exec_lo, s3
	v_mov_b32_e32 v16, v1
	v_dual_mov_b32 v2, v1 :: v_dual_mov_b32 v3, v1
	v_dual_mov_b32 v4, v1 :: v_dual_mov_b32 v5, v1
	s_wait_dscnt 0x0
	v_dual_mov_b32 v6, v1 :: v_dual_mov_b32 v7, v1
	v_dual_mov_b32 v8, v1 :: v_dual_mov_b32 v9, v1
	;; [unrolled: 1-line block ×5, first 2 shown]
	v_mov_b32_e32 v33, v16
	s_delay_alu instid0(VALU_DEP_3) | instskip(NEXT) | instid1(VALU_DEP_3)
	v_dual_mov_b32 v29, v12 :: v_dual_mov_b32 v28, v11
	v_dual_mov_b32 v31, v14 :: v_dual_mov_b32 v30, v13
	s_delay_alu instid0(VALU_DEP_4)
	v_dual_mov_b32 v32, v15 :: v_dual_mov_b32 v27, v10
	v_dual_mov_b32 v26, v9 :: v_dual_mov_b32 v25, v8
	;; [unrolled: 1-line block ×6, first 2 shown]
	v_mov_b32_e32 v16, v15
	v_mov_b32_e32 v15, v14
	;; [unrolled: 1-line block ×15, first 2 shown]
	s_and_saveexec_b32 s3, s2
	s_cbranch_execnz .LBB30_40
; %bb.33:                               ;   in Loop: Header=BB30_5 Depth=1
	s_wait_alu 0xfffe
	s_or_b32 exec_lo, exec_lo, s3
	s_and_saveexec_b32 s3, s2
	s_cbranch_execnz .LBB30_41
.LBB30_34:                              ;   in Loop: Header=BB30_5 Depth=1
	s_wait_alu 0xfffe
	s_or_b32 exec_lo, exec_lo, s3
	s_and_saveexec_b32 s3, s2
	s_cbranch_execnz .LBB30_42
.LBB30_35:                              ;   in Loop: Header=BB30_5 Depth=1
	s_wait_alu 0xfffe
	s_or_b32 exec_lo, exec_lo, s3
	s_and_saveexec_b32 s3, s2
	s_cbranch_execnz .LBB30_43
.LBB30_36:                              ;   in Loop: Header=BB30_5 Depth=1
	s_wait_alu 0xfffe
	s_or_b32 exec_lo, exec_lo, s3
	s_and_saveexec_b32 s3, s2
	s_cbranch_execnz .LBB30_44
.LBB30_37:                              ;   in Loop: Header=BB30_5 Depth=1
	s_wait_alu 0xfffe
	s_or_b32 exec_lo, exec_lo, s3
	s_and_saveexec_b32 s3, s2
	s_cbranch_execnz .LBB30_45
.LBB30_38:                              ;   in Loop: Header=BB30_5 Depth=1
	s_wait_alu 0xfffe
	s_or_b32 exec_lo, exec_lo, s3
	s_and_saveexec_b32 s3, s2
	s_cbranch_execnz .LBB30_46
.LBB30_39:                              ;   in Loop: Header=BB30_5 Depth=1
	s_wait_alu 0xfffe
	s_or_b32 exec_lo, exec_lo, s3
	s_and_saveexec_b32 s3, s2
	s_cbranch_execz .LBB30_3
	s_branch .LBB30_47
.LBB30_40:                              ;   in Loop: Header=BB30_5 Depth=1
	v_add_co_u32 v2, vcc_lo, v50, v38
	s_wait_alu 0xfffd
	v_add_co_ci_u32_e64 v3, null, v51, v39, vcc_lo
	v_add_co_u32 v4, vcc_lo, v52, v38
	s_wait_alu 0xfffd
	v_add_co_ci_u32_e64 v5, null, v53, v39, vcc_lo
	global_load_b64 v[2:3], v[2:3], off
	global_load_b64 v[18:19], v[4:5], off
	v_dual_mov_b32 v4, v1 :: v_dual_mov_b32 v5, v1
	v_dual_mov_b32 v6, v1 :: v_dual_mov_b32 v7, v1
	;; [unrolled: 1-line block ×14, first 2 shown]
	s_wait_alu 0xfffe
	s_or_b32 exec_lo, exec_lo, s3
	s_and_saveexec_b32 s3, s2
	s_cbranch_execz .LBB30_34
.LBB30_41:                              ;   in Loop: Header=BB30_5 Depth=1
	v_add_co_u32 v4, vcc_lo, v78, v38
	s_wait_alu 0xfffd
	v_add_co_ci_u32_e64 v5, null, v79, v39, vcc_lo
	v_add_co_u32 v20, vcc_lo, v80, v38
	s_wait_alu 0xfffd
	v_add_co_ci_u32_e64 v21, null, v81, v39, vcc_lo
	global_load_b64 v[4:5], v[4:5], off
	global_load_b64 v[20:21], v[20:21], off
	s_wait_alu 0xfffe
	s_or_b32 exec_lo, exec_lo, s3
	s_and_saveexec_b32 s3, s2
	s_cbranch_execz .LBB30_35
.LBB30_42:                              ;   in Loop: Header=BB30_5 Depth=1
	v_add_co_u32 v6, vcc_lo, v74, v38
	s_wait_alu 0xfffd
	v_add_co_ci_u32_e64 v7, null, v75, v39, vcc_lo
	v_add_co_u32 v22, vcc_lo, v76, v38
	s_wait_alu 0xfffd
	v_add_co_ci_u32_e64 v23, null, v77, v39, vcc_lo
	global_load_b64 v[6:7], v[6:7], off
	global_load_b64 v[22:23], v[22:23], off
	s_wait_alu 0xfffe
	s_or_b32 exec_lo, exec_lo, s3
	s_and_saveexec_b32 s3, s2
	s_cbranch_execz .LBB30_36
.LBB30_43:                              ;   in Loop: Header=BB30_5 Depth=1
	v_add_co_u32 v8, vcc_lo, v70, v38
	s_wait_alu 0xfffd
	v_add_co_ci_u32_e64 v9, null, v71, v39, vcc_lo
	v_add_co_u32 v24, vcc_lo, v72, v38
	s_wait_alu 0xfffd
	v_add_co_ci_u32_e64 v25, null, v73, v39, vcc_lo
	global_load_b64 v[8:9], v[8:9], off
	global_load_b64 v[24:25], v[24:25], off
	s_wait_alu 0xfffe
	s_or_b32 exec_lo, exec_lo, s3
	s_and_saveexec_b32 s3, s2
	s_cbranch_execz .LBB30_37
.LBB30_44:                              ;   in Loop: Header=BB30_5 Depth=1
	v_add_co_u32 v10, vcc_lo, v66, v38
	s_wait_alu 0xfffd
	v_add_co_ci_u32_e64 v11, null, v67, v39, vcc_lo
	v_add_co_u32 v26, vcc_lo, v68, v38
	s_wait_alu 0xfffd
	v_add_co_ci_u32_e64 v27, null, v69, v39, vcc_lo
	global_load_b64 v[10:11], v[10:11], off
	global_load_b64 v[26:27], v[26:27], off
	s_wait_alu 0xfffe
	s_or_b32 exec_lo, exec_lo, s3
	s_and_saveexec_b32 s3, s2
	s_cbranch_execz .LBB30_38
.LBB30_45:                              ;   in Loop: Header=BB30_5 Depth=1
	v_add_co_u32 v12, vcc_lo, v62, v38
	s_wait_alu 0xfffd
	v_add_co_ci_u32_e64 v13, null, v63, v39, vcc_lo
	v_add_co_u32 v28, vcc_lo, v64, v38
	s_wait_alu 0xfffd
	v_add_co_ci_u32_e64 v29, null, v65, v39, vcc_lo
	global_load_b64 v[12:13], v[12:13], off
	global_load_b64 v[28:29], v[28:29], off
	s_wait_alu 0xfffe
	s_or_b32 exec_lo, exec_lo, s3
	s_and_saveexec_b32 s3, s2
	s_cbranch_execz .LBB30_39
.LBB30_46:                              ;   in Loop: Header=BB30_5 Depth=1
	v_add_co_u32 v14, vcc_lo, v58, v38
	s_wait_alu 0xfffd
	v_add_co_ci_u32_e64 v15, null, v59, v39, vcc_lo
	v_add_co_u32 v30, vcc_lo, v60, v38
	s_wait_alu 0xfffd
	v_add_co_ci_u32_e64 v31, null, v61, v39, vcc_lo
	global_load_b64 v[14:15], v[14:15], off
	global_load_b64 v[30:31], v[30:31], off
	s_wait_alu 0xfffe
	s_or_b32 exec_lo, exec_lo, s3
	s_and_saveexec_b32 s3, s2
	s_cbranch_execz .LBB30_3
.LBB30_47:                              ;   in Loop: Header=BB30_5 Depth=1
	v_add_co_u32 v16, vcc_lo, v54, v38
	s_wait_alu 0xfffd
	v_add_co_ci_u32_e64 v17, null, v55, v39, vcc_lo
	v_add_co_u32 v32, vcc_lo, v56, v38
	s_wait_alu 0xfffd
	v_add_co_ci_u32_e64 v33, null, v57, v39, vcc_lo
	global_load_b64 v[16:17], v[16:17], off
	global_load_b64 v[32:33], v[32:33], off
	s_branch .LBB30_3
.LBB30_48:
                                        ; implicit-def: $vgpr34_vgpr35
                                        ; implicit-def: $vgpr36_vgpr37
	s_branch .LBB30_50
.LBB30_49:
	s_cbranch_execnz .LBB30_81
.LBB30_50:
	v_mov_b32_e32 v34, 0
	v_dual_mov_b32 v35, 0 :: v_dual_mov_b32 v36, 0
	v_mov_b32_e32 v37, 0
	s_and_not1_b32 vcc_lo, exec_lo, s31
	s_wait_alu 0xfffe
	s_cbranch_vccnz .LBB30_81
; %bb.51:
	v_bfe_u32 v74, v0, 10, 10
	v_dual_mov_b32 v1, 0 :: v_dual_and_b32 v76, 0x3ff, v0
	s_lshl_b64 s[22:23], s[16:17], 3
	s_mov_b32 s3, 0
	s_delay_alu instid0(VALU_DEP_2) | instskip(NEXT) | instid1(VALU_DEP_2)
	v_dual_mov_b32 v36, 0 :: v_dual_lshlrev_b32 v75, 3, v74
	v_dual_mov_b32 v77, v1 :: v_dual_lshlrev_b32 v8, 6, v74
	v_dual_mov_b32 v5, v1 :: v_dual_add_nc_u32 v4, s30, v76
	s_delay_alu instid0(VALU_DEP_3) | instskip(SKIP_2) | instid1(VALU_DEP_3)
	v_add_co_u32 v10, s2, v75, s16
	s_wait_alu 0xf1ff
	v_add_co_ci_u32_e64 v11, null, 0, 0, s2
	v_lshlrev_b64_e32 v[38:39], 3, v[4:5]
	s_delay_alu instid0(VALU_DEP_3) | instskip(SKIP_1) | instid1(VALU_DEP_4)
	v_mul_lo_u32 v6, s7, v10
	v_mad_co_u64_u32 v[2:3], null, s6, v10, 0
	v_mul_lo_u32 v7, s6, v11
	s_load_b32 s2, s[0:1], 0x44
	s_mov_b32 s21, s3
	v_dual_mov_b32 v37, 0 :: v_dual_mov_b32 v34, 0
	v_mov_b32_e32 v35, 0
	s_add_nc_u64 s[18:19], s[0:1], 64
	s_delay_alu instid0(VALU_DEP_3) | instskip(SKIP_1) | instid1(VALU_DEP_1)
	v_add3_u32 v3, v3, v7, v6
	v_add_co_u32 v6, s20, v8, s22
	v_add_co_ci_u32_e64 v7, null, 0, s23, s20
	s_delay_alu instid0(VALU_DEP_3) | instskip(NEXT) | instid1(VALU_DEP_3)
	v_lshlrev_b64_e32 v[4:5], 3, v[2:3]
	v_add_co_u32 v8, vcc_lo, v6, 8
	s_wait_alu 0xfffd
	s_delay_alu instid0(VALU_DEP_3) | instskip(NEXT) | instid1(VALU_DEP_3)
	v_add_co_ci_u32_e64 v9, null, 0, v7, vcc_lo
	v_add_co_u32 v78, vcc_lo, s8, v4
	s_wait_alu 0xfffd
	v_add_co_ci_u32_e64 v79, null, s9, v5, vcc_lo
	v_add_co_u32 v80, vcc_lo, s10, v4
	s_wait_alu 0xfffd
	;; [unrolled: 3-line block ×5, first 2 shown]
	v_add_co_ci_u32_e64 v18, null, 0, v7, vcc_lo
	v_add_co_u32 v19, vcc_lo, v6, 40
	v_mad_co_u64_u32 v[42:43], null, s6, v4, s[8:9]
	v_mul_lo_u32 v5, s6, v5
	v_mul_lo_u32 v15, s7, v4
	v_mad_co_u64_u32 v[56:57], null, s6, v4, s[10:11]
	s_wait_alu 0xfffd
	v_add_co_ci_u32_e64 v20, null, 0, v7, vcc_lo
	v_add_co_u32 v22, vcc_lo, v6, 48
	s_wait_alu 0xfffd
	v_add_co_ci_u32_e64 v24, null, 0, v7, vcc_lo
	v_add_co_u32 v6, vcc_lo, v6, 56
	v_mad_co_u64_u32 v[40:41], null, s6, v8, s[8:9]
	v_mul_lo_u32 v9, s6, v9
	v_mul_lo_u32 v12, s7, v8
	v_mad_co_u64_u32 v[54:55], null, s6, v8, s[10:11]
	s_wait_alu 0xfffd
	v_add_co_ci_u32_e64 v7, null, 0, v7, vcc_lo
	v_add_co_u32 v4, vcc_lo, v10, 7
	v_add3_u32 v43, v15, v43, v5
	v_add3_u32 v57, v15, v57, v5
	s_wait_alu 0xfffd
	v_add_co_ci_u32_e64 v5, null, 0, v11, vcc_lo
	v_mul_lo_u32 v26, s6, v7
	v_add_co_u32 v7, vcc_lo, v10, 6
	v_add3_u32 v41, v12, v41, v9
	v_add3_u32 v55, v12, v55, v9
	s_wait_alu 0xfffd
	v_add_co_ci_u32_e64 v12, null, 0, v11, vcc_lo
	v_mul_lo_u32 v8, s7, v4
	v_mul_lo_u32 v9, s6, v5
	v_mad_co_u64_u32 v[4:5], null, s6, v4, 0
	v_mad_co_u64_u32 v[44:45], null, s6, v13, s[8:9]
	v_mul_lo_u32 v17, s7, v13
	v_mad_co_u64_u32 v[52:53], null, s6, v6, s[8:9]
	v_mul_lo_u32 v27, s7, v6
	v_mad_co_u64_u32 v[58:59], null, s6, v13, s[10:11]
	v_mad_co_u64_u32 v[66:67], null, s6, v6, s[10:11]
	v_mul_lo_u32 v13, s7, v7
	v_mul_lo_u32 v12, s6, v12
	v_mad_co_u64_u32 v[6:7], null, s6, v7, 0
	v_add3_u32 v5, v5, v9, v8
	v_add_co_u32 v8, vcc_lo, v10, 5
	s_wait_alu 0xfffd
	v_add_co_ci_u32_e64 v9, null, 0, v11, vcc_lo
	s_delay_alu instid0(VALU_DEP_3) | instskip(SKIP_2) | instid1(VALU_DEP_4)
	v_lshlrev_b64_e32 v[4:5], 3, v[4:5]
	v_add3_u32 v7, v7, v12, v13
	v_mul_lo_u32 v12, s7, v8
	v_mul_lo_u32 v13, s6, v9
	v_mad_co_u64_u32 v[8:9], null, s6, v8, 0
	s_delay_alu instid0(VALU_DEP_4)
	v_lshlrev_b64_e32 v[6:7], 3, v[6:7]
	v_add_co_u32 v82, vcc_lo, s8, v4
	s_wait_alu 0xfffd
	v_add_co_ci_u32_e64 v83, null, s9, v5, vcc_lo
	v_add_co_u32 v84, vcc_lo, s10, v4
	s_wait_alu 0xfffd
	v_add_co_ci_u32_e64 v85, null, s11, v5, vcc_lo
	v_add_co_u32 v86, vcc_lo, s8, v6
	v_mul_lo_u32 v14, s6, v14
	v_add3_u32 v9, v9, v13, v12
	s_wait_alu 0xfffd
	v_add_co_ci_u32_e64 v87, null, s9, v7, vcc_lo
	v_add_co_u32 v12, vcc_lo, v10, 4
	s_wait_kmcnt 0x0
	s_lshl_b32 s20, s2, 3
	v_add_co_u32 v88, s2, s10, v6
	s_wait_alu 0xfffd
	v_add_co_ci_u32_e64 v6, null, 0, v11, vcc_lo
	v_lshlrev_b64_e32 v[4:5], 3, v[8:9]
	v_add_co_u32 v8, vcc_lo, v10, 3
	s_wait_alu 0xfffd
	v_add_co_ci_u32_e64 v9, null, 0, v11, vcc_lo
	v_add3_u32 v45, v17, v45, v14
	v_add3_u32 v59, v17, v59, v14
	s_wait_alu 0xf1ff
	v_add_co_ci_u32_e64 v89, null, s11, v7, s2
	v_mul_lo_u32 v13, s7, v12
	v_mul_lo_u32 v14, s6, v6
	v_mad_co_u64_u32 v[6:7], null, s6, v12, 0
	v_mul_lo_u32 v12, s7, v8
	v_mul_lo_u32 v15, s6, v9
	v_mad_co_u64_u32 v[8:9], null, s6, v8, 0
	v_add_co_u32 v90, vcc_lo, s8, v4
	s_wait_alu 0xfffd
	v_add_co_ci_u32_e64 v91, null, s9, v5, vcc_lo
	v_add3_u32 v7, v7, v14, v13
	v_add_co_u32 v92, vcc_lo, s10, v4
	s_wait_alu 0xfffd
	v_add_co_ci_u32_e64 v93, null, s11, v5, vcc_lo
	v_add_co_u32 v10, vcc_lo, v10, 2
	v_add3_u32 v9, v9, v15, v12
	s_wait_alu 0xfffd
	v_add_co_ci_u32_e64 v11, null, 0, v11, vcc_lo
	v_lshlrev_b64_e32 v[4:5], 3, v[6:7]
	v_mul_lo_u32 v12, s7, v10
	v_lshlrev_b64_e32 v[6:7], 3, v[8:9]
	s_delay_alu instid0(VALU_DEP_4)
	v_mul_lo_u32 v11, s6, v11
	v_mad_co_u64_u32 v[8:9], null, s6, v10, 0
	v_add_co_u32 v94, vcc_lo, s8, v4
	s_wait_alu 0xfffd
	v_add_co_ci_u32_e64 v95, null, s9, v5, vcc_lo
	v_add_co_u32 v96, vcc_lo, s10, v4
	s_wait_alu 0xfffd
	v_add_co_ci_u32_e64 v97, null, s11, v5, vcc_lo
	;; [unrolled: 3-line block ×3, first 2 shown]
	v_add3_u32 v9, v9, v11, v12
	v_add_co_u32 v100, vcc_lo, s10, v6
	s_wait_alu 0xfffd
	v_add_co_ci_u32_e64 v101, null, s11, v7, vcc_lo
	v_add_co_u32 v2, vcc_lo, v2, s6
	s_wait_alu 0xfffd
	v_add_co_ci_u32_e64 v3, null, s7, v3, vcc_lo
	v_lshlrev_b64_e32 v[4:5], 3, v[8:9]
	v_mad_co_u64_u32 v[46:47], null, s6, v16, s[8:9]
	s_delay_alu instid0(VALU_DEP_3)
	v_lshlrev_b64_e32 v[2:3], 3, v[2:3]
	v_mul_lo_u32 v18, s6, v18
	v_mul_lo_u32 v21, s7, v16
	v_mad_co_u64_u32 v[48:49], null, s6, v19, s[8:9]
	v_mul_lo_u32 v20, s6, v20
	v_mul_lo_u32 v23, s7, v19
	v_mad_co_u64_u32 v[50:51], null, s6, v22, s[8:9]
	;; [unrolled: 3-line block ×3, first 2 shown]
	v_mad_co_u64_u32 v[62:63], null, s6, v19, s[10:11]
	v_mad_co_u64_u32 v[64:65], null, s6, v22, s[10:11]
	v_add_co_u32 v102, vcc_lo, s8, v4
	s_wait_alu 0xfffd
	v_add_co_ci_u32_e64 v103, null, s9, v5, vcc_lo
	v_add_co_u32 v104, vcc_lo, s10, v4
	s_wait_alu 0xfffd
	v_add_co_ci_u32_e64 v105, null, s11, v5, vcc_lo
	;; [unrolled: 3-line block ×3, first 2 shown]
	v_add_co_u32 v108, vcc_lo, s10, v2
	v_add3_u32 v47, v21, v47, v18
	v_add3_u32 v49, v23, v49, v20
	v_add3_u32 v51, v25, v51, v24
	v_add3_u32 v53, v27, v53, v26
	v_add3_u32 v61, v21, v61, v18
	v_add3_u32 v63, v23, v63, v20
	v_add3_u32 v65, v25, v65, v24
	v_add3_u32 v67, v27, v67, v26
	s_wait_alu 0xfffd
	v_add_co_ci_u32_e64 v109, null, s11, v3, vcc_lo
	s_wait_alu 0xfffe
	s_mul_u64 s[22:23], s[6:7], s[20:21]
	s_mov_b64 s[10:11], 7
	s_wait_alu 0xfffe
	s_lshl_b64 s[8:9], s[22:23], 3
	s_mov_b64 s[22:23], s[16:17]
	s_branch .LBB30_55
.LBB30_52:                              ;   in Loop: Header=BB30_55 Depth=1
	s_wait_alu 0xfffe
	s_or_b32 exec_lo, exec_lo, s24
.LBB30_53:                              ;   in Loop: Header=BB30_55 Depth=1
	s_wait_alu 0xfffe
	s_or_b32 exec_lo, exec_lo, s2
	v_add_co_u32 v6, vcc_lo, v80, v38
	s_wait_alu 0xfffd
	v_add_co_ci_u32_e64 v7, null, v81, v39, vcc_lo
	v_add_co_u32 v8, vcc_lo, v54, v38
	s_wait_alu 0xfffd
	v_add_co_ci_u32_e64 v9, null, v55, v39, vcc_lo
	global_load_b64 v[6:7], v[6:7], off
	v_add_co_u32 v10, vcc_lo, v78, v38
	s_wait_alu 0xfffd
	v_add_co_ci_u32_e64 v11, null, v79, v39, vcc_lo
	global_load_b64 v[8:9], v[8:9], off
	global_load_b64 v[10:11], v[10:11], off
	v_add_co_u32 v12, vcc_lo, v56, v38
	s_wait_alu 0xfffd
	v_add_co_ci_u32_e64 v13, null, v57, v39, vcc_lo
	v_add_co_u32 v14, vcc_lo, v40, v38
	s_wait_alu 0xfffd
	v_add_co_ci_u32_e64 v15, null, v41, v39, vcc_lo
	global_load_b64 v[12:13], v[12:13], off
	global_load_b64 v[14:15], v[14:15], off
	v_add_co_u32 v16, vcc_lo, v58, v38
	s_wait_alu 0xfffd
	v_add_co_ci_u32_e64 v17, null, v59, v39, vcc_lo
	;; [unrolled: 8-line block ×5, first 2 shown]
	v_add_co_u32 v30, vcc_lo, v64, v38
	s_wait_alu 0xfffd
	v_add_co_ci_u32_e64 v31, null, v65, v39, vcc_lo
	v_add_co_u32 v32, vcc_lo, v66, v38
	s_wait_alu 0xfffd
	v_add_co_ci_u32_e64 v33, null, v67, v39, vcc_lo
	global_load_b64 v[30:31], v[30:31], off
	global_load_b64 v[68:69], v[16:17], off
	;; [unrolled: 1-line block ×3, first 2 shown]
	v_add_co_u32 v16, vcc_lo, v50, v38
	s_wait_alu 0xfffd
	v_add_co_ci_u32_e64 v17, null, v51, v39, vcc_lo
	v_add_co_u32 v70, vcc_lo, v52, v38
	s_wait_alu 0xfffd
	v_add_co_ci_u32_e64 v71, null, v53, v39, vcc_lo
	global_load_b64 v[72:73], v[16:17], off
	global_load_b64 v[16:17], v[70:71], off
	s_wait_loadcnt 0x11
	ds_bpermute_b32 v70, v1, v4
	ds_bpermute_b32 v71, v1, v5
	s_wait_loadcnt 0x10
	ds_bpermute_b32 v110, v1, v2
	ds_bpermute_b32 v111, v1, v3
	s_wait_loadcnt_dscnt 0xf02
	v_add_f64_e64 v[6:7], v[6:7], -v[70:71]
	ds_bpermute_b32 v70, v1, v4 offset:4
	ds_bpermute_b32 v71, v1, v5 offset:4
	s_wait_loadcnt_dscnt 0xe00
	v_add_f64_e64 v[8:9], v[8:9], -v[70:71]
	ds_bpermute_b32 v70, v1, v4 offset:8
	ds_bpermute_b32 v71, v1, v5 offset:8
	s_wait_loadcnt 0xd
	v_mul_f64_e32 v[6:7], v[10:11], v[6:7]
	v_add_f64_e32 v[10:11], v[34:35], v[10:11]
	ds_bpermute_b32 v34, v1, v4 offset:12
	ds_bpermute_b32 v35, v1, v5 offset:12
	s_wait_loadcnt_dscnt 0xc02
	v_add_f64_e64 v[12:13], v[12:13], -v[70:71]
	s_wait_loadcnt 0xb
	v_mul_f64_e32 v[8:9], v[14:15], v[8:9]
	s_wait_loadcnt_dscnt 0xa00
	v_add_f64_e64 v[20:21], v[20:21], -v[34:35]
	v_fma_f64 v[6:7], v[6:7], v[110:111], v[36:37]
	ds_bpermute_b32 v36, v1, v2 offset:4
	ds_bpermute_b32 v37, v1, v3 offset:4
	v_add_f64_e32 v[10:11], v[10:11], v[14:15]
	ds_bpermute_b32 v14, v1, v2 offset:8
	ds_bpermute_b32 v15, v1, v3 offset:8
	s_wait_loadcnt 0x9
	v_mul_f64_e32 v[12:13], v[18:19], v[12:13]
	s_wait_loadcnt 0x7
	v_mul_f64_e32 v[20:21], v[22:23], v[20:21]
	s_wait_dscnt 0x2
	v_fma_f64 v[6:7], v[8:9], v[36:37], v[6:7]
	ds_bpermute_b32 v8, v1, v4 offset:16
	ds_bpermute_b32 v9, v1, v5 offset:16
	v_add_f64_e32 v[10:11], v[10:11], v[18:19]
	ds_bpermute_b32 v18, v1, v2 offset:16
	ds_bpermute_b32 v19, v1, v3 offset:16
	s_wait_dscnt 0x2
	v_add_f64_e64 v[8:9], v[24:25], -v[8:9]
	v_fma_f64 v[6:7], v[12:13], v[14:15], v[6:7]
	ds_bpermute_b32 v12, v1, v4 offset:20
	ds_bpermute_b32 v13, v1, v5 offset:20
	;; [unrolled: 1-line block ×4, first 2 shown]
	v_add_f64_e32 v[10:11], v[10:11], v[22:23]
	s_wait_loadcnt_dscnt 0x602
	v_add_f64_e64 v[12:13], v[28:29], -v[12:13]
	s_wait_loadcnt 0x5
	v_mul_f64_e32 v[8:9], v[26:27], v[8:9]
	s_wait_dscnt 0x0
	v_fma_f64 v[6:7], v[20:21], v[14:15], v[6:7]
	ds_bpermute_b32 v14, v1, v4 offset:24
	ds_bpermute_b32 v15, v1, v5 offset:24
	;; [unrolled: 1-line block ×4, first 2 shown]
	v_add_f64_e32 v[10:11], v[10:11], v[26:27]
	s_wait_loadcnt_dscnt 0x402
	v_add_f64_e64 v[14:15], v[30:31], -v[14:15]
	s_wait_loadcnt 0x3
	v_mul_f64_e32 v[12:13], v[68:69], v[12:13]
	s_wait_loadcnt_dscnt 0x200
	v_add_f64_e64 v[4:5], v[32:33], -v[4:5]
	v_fma_f64 v[6:7], v[8:9], v[18:19], v[6:7]
	ds_bpermute_b32 v8, v1, v2 offset:20
	ds_bpermute_b32 v9, v1, v3 offset:20
	v_add_f64_e32 v[10:11], v[10:11], v[68:69]
	s_wait_loadcnt 0x1
	v_mul_f64_e32 v[14:15], v[72:73], v[14:15]
	s_wait_loadcnt 0x0
	v_mul_f64_e32 v[4:5], v[16:17], v[4:5]
	s_wait_dscnt 0x0
	v_fma_f64 v[6:7], v[12:13], v[8:9], v[6:7]
	ds_bpermute_b32 v8, v1, v2 offset:24
	ds_bpermute_b32 v9, v1, v3 offset:24
	;; [unrolled: 1-line block ×4, first 2 shown]
	v_add_f64_e32 v[2:3], v[10:11], v[72:73]
	s_wait_dscnt 0x0
	v_mul_f64_e32 v[4:5], v[4:5], v[12:13]
	v_fma_f64 v[6:7], v[14:15], v[8:9], v[6:7]
.LBB30_54:                              ;   in Loop: Header=BB30_55 Depth=1
	v_add_co_u32 v78, vcc_lo, v78, s8
	s_wait_alu 0xfffd
	v_add_co_ci_u32_e64 v79, null, s9, v79, vcc_lo
	v_add_co_u32 v80, vcc_lo, v80, s8
	s_wait_alu 0xfffd
	v_add_co_ci_u32_e64 v81, null, s9, v81, vcc_lo
	;; [unrolled: 3-line block ×14, first 2 shown]
	v_add_co_u32 v62, vcc_lo, v62, s8
	v_add_f64_e32 v[36:37], v[6:7], v[4:5]
	v_add_f64_e32 v[34:35], v[2:3], v[16:17]
	s_wait_alu 0xfffd
	v_add_co_ci_u32_e64 v63, null, s9, v63, vcc_lo
	v_add_co_u32 v64, vcc_lo, v64, s8
	s_wait_alu 0xfffd
	v_add_co_ci_u32_e64 v65, null, s9, v65, vcc_lo
	v_add_co_u32 v66, vcc_lo, v66, s8
	;; [unrolled: 3-line block ×14, first 2 shown]
	s_add_nc_u64 s[22:23], s[22:23], s[20:21]
	s_wait_alu 0xfffd
	v_add_co_ci_u32_e64 v105, null, s9, v105, vcc_lo
	v_add_co_u32 v106, vcc_lo, v106, s8
	s_wait_alu 0xfffe
	v_cmp_ge_i64_e64 s2, s[22:23], s[4:5]
	s_wait_alu 0xfffd
	v_add_co_ci_u32_e64 v107, null, s9, v107, vcc_lo
	v_add_co_u32 v108, vcc_lo, v108, s8
	s_wait_alu 0xfffd
	v_add_co_ci_u32_e64 v109, null, s9, v109, vcc_lo
	s_and_b32 vcc_lo, exec_lo, s2
	s_add_nc_u64 s[10:11], s[10:11], s[20:21]
	s_wait_alu 0xfffe
	s_cbranch_vccnz .LBB30_81
.LBB30_55:                              ; =>This Inner Loop Header: Depth=1
	s_add_nc_u64 s[24:25], s[16:17], s[10:11]
	v_add_co_u32 v68, vcc_lo, s16, v75
	s_wait_alu 0xfffe
	v_cmp_ge_i64_e64 s2, s[24:25], s[4:5]
	s_wait_alu 0xfffd
	v_add_co_ci_u32_e64 v69, null, 0, v77, vcc_lo
                                        ; implicit-def: $vgpr16_vgpr17
                                        ; implicit-def: $vgpr4_vgpr5
                                        ; implicit-def: $vgpr2_vgpr3
                                        ; implicit-def: $vgpr6_vgpr7
	s_and_b32 vcc_lo, exec_lo, s2
	s_mov_b32 s2, -1
	s_wait_alu 0xfffe
	s_cbranch_vccz .LBB30_77
; %bb.56:                               ;   in Loop: Header=BB30_55 Depth=1
	s_load_b32 s2, s[18:19], 0xc
	v_mov_b32_e32 v70, 0
	v_mov_b32_e32 v72, 0
	;; [unrolled: 1-line block ×4, first 2 shown]
	s_wait_kmcnt 0x0
	s_and_b32 s2, s2, 0xffff
	s_wait_alu 0xfffe
	v_mad_u32_u24 v2, v74, s2, v76
	s_mov_b32 s2, exec_lo
	s_delay_alu instid0(VALU_DEP_1) | instskip(NEXT) | instid1(VALU_DEP_1)
	v_and_b32_e32 v2, 31, v2
	v_cmpx_gt_u32_e32 8, v2
	s_cbranch_execz .LBB30_60
; %bb.57:                               ;   in Loop: Header=BB30_55 Depth=1
	v_add_co_u32 v2, vcc_lo, v68, v2
	v_mov_b32_e32 v72, 0
	v_dual_mov_b32 v73, 0 :: v_dual_mov_b32 v70, 0
	s_wait_alu 0xfffd
	v_add_co_ci_u32_e64 v3, null, 0, v69, vcc_lo
	v_mov_b32_e32 v71, 0
	s_mov_b32 s24, exec_lo
	s_delay_alu instid0(VALU_DEP_2)
	v_cmpx_gt_i64_e64 s[4:5], v[2:3]
	s_cbranch_execz .LBB30_59
; %bb.58:                               ;   in Loop: Header=BB30_55 Depth=1
	v_lshlrev_b64_e32 v[2:3], 3, v[2:3]
	s_delay_alu instid0(VALU_DEP_1) | instskip(SKIP_1) | instid1(VALU_DEP_2)
	v_add_co_u32 v4, vcc_lo, s12, v2
	s_wait_alu 0xfffd
	v_add_co_ci_u32_e64 v5, null, s13, v3, vcc_lo
	v_add_co_u32 v2, vcc_lo, s14, v2
	s_wait_alu 0xfffd
	v_add_co_ci_u32_e64 v3, null, s15, v3, vcc_lo
	global_load_b64 v[72:73], v[4:5], off
	global_load_b64 v[70:71], v[2:3], off
.LBB30_59:                              ;   in Loop: Header=BB30_55 Depth=1
	s_wait_alu 0xfffe
	s_or_b32 exec_lo, exec_lo, s24
.LBB30_60:                              ;   in Loop: Header=BB30_55 Depth=1
	s_wait_alu 0xfffe
	s_or_b32 exec_lo, exec_lo, s2
	v_mov_b32_e32 v16, v1
	v_dual_mov_b32 v2, v1 :: v_dual_mov_b32 v3, v1
	v_dual_mov_b32 v4, v1 :: v_dual_mov_b32 v5, v1
	;; [unrolled: 1-line block ×7, first 2 shown]
	v_mov_b32_e32 v33, v16
	s_delay_alu instid0(VALU_DEP_3) | instskip(NEXT) | instid1(VALU_DEP_3)
	v_dual_mov_b32 v29, v12 :: v_dual_mov_b32 v28, v11
	v_dual_mov_b32 v31, v14 :: v_dual_mov_b32 v30, v13
	s_delay_alu instid0(VALU_DEP_4)
	v_dual_mov_b32 v32, v15 :: v_dual_mov_b32 v27, v10
	v_dual_mov_b32 v26, v9 :: v_dual_mov_b32 v25, v8
	;; [unrolled: 1-line block ×6, first 2 shown]
	v_mov_b32_e32 v16, v15
	v_mov_b32_e32 v15, v14
	;; [unrolled: 1-line block ×15, first 2 shown]
	s_mov_b32 s2, exec_lo
	v_cmpx_gt_i64_e64 s[4:5], v[68:69]
	s_cbranch_execz .LBB30_62
; %bb.61:                               ;   in Loop: Header=BB30_55 Depth=1
	v_add_co_u32 v2, vcc_lo, v78, v38
	s_wait_alu 0xfffd
	v_add_co_ci_u32_e64 v3, null, v79, v39, vcc_lo
	v_add_co_u32 v4, vcc_lo, v80, v38
	s_wait_alu 0xfffd
	v_add_co_ci_u32_e64 v5, null, v81, v39, vcc_lo
	global_load_b64 v[2:3], v[2:3], off
	global_load_b64 v[18:19], v[4:5], off
	v_dual_mov_b32 v4, v1 :: v_dual_mov_b32 v5, v1
	v_dual_mov_b32 v6, v1 :: v_dual_mov_b32 v7, v1
	;; [unrolled: 1-line block ×14, first 2 shown]
.LBB30_62:                              ;   in Loop: Header=BB30_55 Depth=1
	s_wait_alu 0xfffe
	s_or_b32 exec_lo, exec_lo, s2
	v_add_co_u32 v110, vcc_lo, v68, 1
	s_wait_alu 0xfffd
	v_add_co_ci_u32_e64 v111, null, 0, v69, vcc_lo
	s_mov_b32 s2, exec_lo
	v_cmpx_gt_i64_e64 s[4:5], v[110:111]
	s_cbranch_execz .LBB30_64
; %bb.63:                               ;   in Loop: Header=BB30_55 Depth=1
	v_add_co_u32 v4, vcc_lo, v106, v38
	s_wait_alu 0xfffd
	v_add_co_ci_u32_e64 v5, null, v107, v39, vcc_lo
	v_add_co_u32 v20, vcc_lo, v108, v38
	s_wait_alu 0xfffd
	v_add_co_ci_u32_e64 v21, null, v109, v39, vcc_lo
	global_load_b64 v[4:5], v[4:5], off
	global_load_b64 v[20:21], v[20:21], off
.LBB30_64:                              ;   in Loop: Header=BB30_55 Depth=1
	s_wait_alu 0xfffe
	s_or_b32 exec_lo, exec_lo, s2
	v_add_co_u32 v110, vcc_lo, v68, 2
	s_wait_alu 0xfffd
	v_add_co_ci_u32_e64 v111, null, 0, v69, vcc_lo
	s_mov_b32 s2, exec_lo
	v_cmpx_gt_i64_e64 s[4:5], v[110:111]
	s_cbranch_execz .LBB30_66
; %bb.65:                               ;   in Loop: Header=BB30_55 Depth=1
	v_add_co_u32 v6, vcc_lo, v102, v38
	s_wait_alu 0xfffd
	v_add_co_ci_u32_e64 v7, null, v103, v39, vcc_lo
	v_add_co_u32 v22, vcc_lo, v104, v38
	s_wait_alu 0xfffd
	v_add_co_ci_u32_e64 v23, null, v105, v39, vcc_lo
	global_load_b64 v[6:7], v[6:7], off
	global_load_b64 v[22:23], v[22:23], off
.LBB30_66:                              ;   in Loop: Header=BB30_55 Depth=1
	;; [unrolled: 18-line block ×7, first 2 shown]
	s_wait_alu 0xfffe
	s_or_b32 exec_lo, exec_lo, s2
	s_wait_loadcnt 0x1
	ds_bpermute_b32 v110, v1, v72
	ds_bpermute_b32 v111, v1, v73
	s_wait_loadcnt 0x0
	ds_bpermute_b32 v112, v1, v70
	ds_bpermute_b32 v113, v1, v71
	s_mov_b32 s2, 0
	s_wait_dscnt 0x2
	v_add_f64_e64 v[18:19], v[18:19], -v[110:111]
	ds_bpermute_b32 v110, v1, v72 offset:4
	ds_bpermute_b32 v111, v1, v73 offset:4
	s_wait_dscnt 0x0
	v_add_f64_e64 v[20:21], v[20:21], -v[110:111]
	ds_bpermute_b32 v110, v1, v72 offset:8
	ds_bpermute_b32 v111, v1, v73 offset:8
	v_mul_f64_e32 v[18:19], v[2:3], v[18:19]
	v_add_f64_e32 v[2:3], v[34:35], v[2:3]
	s_wait_dscnt 0x0
	v_add_f64_e64 v[22:23], v[22:23], -v[110:111]
	ds_bpermute_b32 v110, v1, v72 offset:12
	ds_bpermute_b32 v111, v1, v73 offset:12
	v_mul_f64_e32 v[20:21], v[4:5], v[20:21]
	s_wait_dscnt 0x0
	v_add_f64_e64 v[24:25], v[24:25], -v[110:111]
	v_fma_f64 v[18:19], v[18:19], v[112:113], v[36:37]
	ds_bpermute_b32 v112, v1, v70 offset:4
	ds_bpermute_b32 v113, v1, v71 offset:4
	v_add_f64_e32 v[2:3], v[4:5], v[2:3]
	v_mul_f64_e32 v[4:5], v[6:7], v[22:23]
	ds_bpermute_b32 v22, v1, v70 offset:8
	ds_bpermute_b32 v23, v1, v71 offset:8
	v_mul_f64_e32 v[24:25], v[8:9], v[24:25]
	s_wait_dscnt 0x2
	v_fma_f64 v[18:19], v[20:21], v[112:113], v[18:19]
	ds_bpermute_b32 v20, v1, v72 offset:16
	ds_bpermute_b32 v21, v1, v73 offset:16
	v_add_f64_e32 v[2:3], v[6:7], v[2:3]
	ds_bpermute_b32 v6, v1, v72 offset:20
	ds_bpermute_b32 v7, v1, v73 offset:20
	s_wait_dscnt 0x2
	v_add_f64_e64 v[20:21], v[26:27], -v[20:21]
	s_wait_dscnt 0x0
	v_add_f64_e64 v[6:7], v[28:29], -v[6:7]
	v_fma_f64 v[4:5], v[4:5], v[22:23], v[18:19]
	ds_bpermute_b32 v18, v1, v70 offset:12
	ds_bpermute_b32 v19, v1, v71 offset:12
	v_add_f64_e32 v[2:3], v[8:9], v[2:3]
	ds_bpermute_b32 v8, v1, v72 offset:24
	ds_bpermute_b32 v9, v1, v73 offset:24
	;; [unrolled: 1-line block ×4, first 2 shown]
	v_mul_f64_e32 v[20:21], v[10:11], v[20:21]
	s_wait_dscnt 0x2
	v_add_f64_e64 v[8:9], v[30:31], -v[8:9]
	v_mul_f64_e32 v[6:7], v[12:13], v[6:7]
	v_fma_f64 v[4:5], v[24:25], v[18:19], v[4:5]
	ds_bpermute_b32 v18, v1, v70 offset:16
	ds_bpermute_b32 v19, v1, v71 offset:16
	v_add_f64_e32 v[2:3], v[10:11], v[2:3]
	s_wait_dscnt 0x2
	v_add_f64_e64 v[10:11], v[32:33], -v[22:23]
	v_mul_f64_e32 v[8:9], v[14:15], v[8:9]
	s_wait_dscnt 0x0
	v_fma_f64 v[4:5], v[20:21], v[18:19], v[4:5]
	ds_bpermute_b32 v18, v1, v70 offset:20
	ds_bpermute_b32 v19, v1, v71 offset:20
	v_add_f64_e32 v[2:3], v[12:13], v[2:3]
	v_mul_f64_e32 v[10:11], v[16:17], v[10:11]
	ds_bpermute_b32 v12, v1, v70 offset:28
	ds_bpermute_b32 v13, v1, v71 offset:28
	s_wait_dscnt 0x2
	v_fma_f64 v[4:5], v[6:7], v[18:19], v[4:5]
	ds_bpermute_b32 v6, v1, v70 offset:24
	ds_bpermute_b32 v7, v1, v71 offset:24
	v_add_f64_e32 v[2:3], v[14:15], v[2:3]
	s_wait_dscnt 0x0
	v_fma_f64 v[6:7], v[8:9], v[6:7], v[4:5]
	v_mul_f64_e32 v[4:5], v[10:11], v[12:13]
.LBB30_77:                              ;   in Loop: Header=BB30_55 Depth=1
	s_wait_alu 0xfffe
	s_and_b32 vcc_lo, exec_lo, s2
	s_wait_alu 0xfffe
	s_cbranch_vccz .LBB30_54
; %bb.78:                               ;   in Loop: Header=BB30_55 Depth=1
	s_load_b32 s2, s[18:19], 0x0
	v_mov_b32_e32 v4, 0
	v_mov_b32_e32 v5, 0
	s_wait_kmcnt 0x0
	s_cmp_lt_u32 ttmp9, s2
	s_cselect_b32 s2, 12, 18
	s_wait_alu 0xfffe
	s_add_nc_u64 s[24:25], s[18:19], s[2:3]
	s_load_u16 s2, s[24:25], 0x0
	s_wait_kmcnt 0x0
	v_mad_u32_u24 v2, v74, s2, v76
	s_mov_b32 s2, exec_lo
	s_delay_alu instid0(VALU_DEP_1) | instskip(SKIP_2) | instid1(VALU_DEP_3)
	v_and_b32_e32 v6, 31, v2
	v_mov_b32_e32 v2, 0
	v_mov_b32_e32 v3, 0
	v_cmpx_gt_u32_e32 8, v6
	s_cbranch_execz .LBB30_53
; %bb.79:                               ;   in Loop: Header=BB30_55 Depth=1
	v_add_co_u32 v6, vcc_lo, v68, v6
	v_mov_b32_e32 v4, 0
	v_dual_mov_b32 v5, 0 :: v_dual_mov_b32 v2, 0
	s_wait_alu 0xfffd
	v_add_co_ci_u32_e64 v7, null, 0, v69, vcc_lo
	v_mov_b32_e32 v3, 0
	s_mov_b32 s24, exec_lo
	s_delay_alu instid0(VALU_DEP_2)
	v_cmpx_gt_i64_e64 s[4:5], v[6:7]
	s_cbranch_execz .LBB30_52
; %bb.80:                               ;   in Loop: Header=BB30_55 Depth=1
	v_lshlrev_b64_e32 v[2:3], 3, v[6:7]
	s_delay_alu instid0(VALU_DEP_1) | instskip(SKIP_1) | instid1(VALU_DEP_2)
	v_add_co_u32 v4, vcc_lo, s12, v2
	s_wait_alu 0xfffd
	v_add_co_ci_u32_e64 v5, null, s13, v3, vcc_lo
	v_add_co_u32 v2, vcc_lo, s14, v2
	s_wait_alu 0xfffd
	v_add_co_ci_u32_e64 v3, null, s15, v3, vcc_lo
	global_load_b64 v[4:5], v[4:5], off
	global_load_b64 v[2:3], v[2:3], off
	s_branch .LBB30_52
.LBB30_81:
	s_mov_b32 s2, ttmp9
	s_mov_b32 s3, 0
	s_wait_alu 0xfffe
	s_lshl_b64 s[2:3], s[2:3], 6
	s_wait_alu 0xfffe
	v_and_or_b32 v4, 0x3ff, v0, s2
	v_mov_b32_e32 v5, s3
	s_mov_b32 s2, exec_lo
	s_delay_alu instid0(VALU_DEP_1)
	v_cmpx_gt_i64_e64 s[6:7], v[4:5]
	s_cbranch_execz .LBB30_86
; %bb.82:
	s_clause 0x1
	s_load_u16 s4, s[0:1], 0x4e
	s_load_b128 s[0:3], s[0:1], 0x30
	v_bfe_u32 v0, v0, 10, 10
	v_mov_b32_e32 v1, 0
	s_wait_kmcnt 0x0
	s_delay_alu instid0(VALU_DEP_1) | instskip(SKIP_2) | instid1(VALU_DEP_2)
	v_mad_co_u64_u32 v[2:3], null, s4, ttmp7, v[0:1]
	v_lshlrev_b64_e32 v[0:1], 3, v[4:5]
	s_cmp_eq_u64 s[0:1], 0
	v_mul_lo_u32 v3, v3, s6
	s_delay_alu instid0(VALU_DEP_3)
	v_mul_lo_u32 v6, v2, s7
	s_cbranch_scc1 .LBB30_84
; %bb.83:
	v_mad_co_u64_u32 v[4:5], null, v2, s6, 0
	s_delay_alu instid0(VALU_DEP_1) | instskip(NEXT) | instid1(VALU_DEP_1)
	v_add3_u32 v5, v5, v6, v3
	v_lshlrev_b64_e32 v[4:5], 3, v[4:5]
	s_delay_alu instid0(VALU_DEP_1) | instskip(SKIP_1) | instid1(VALU_DEP_2)
	v_add_co_u32 v4, vcc_lo, s0, v4
	s_wait_alu 0xfffd
	v_add_co_ci_u32_e64 v5, null, s1, v5, vcc_lo
	s_delay_alu instid0(VALU_DEP_2) | instskip(SKIP_1) | instid1(VALU_DEP_2)
	v_add_co_u32 v4, vcc_lo, v4, v0
	s_wait_alu 0xfffd
	v_add_co_ci_u32_e64 v5, null, v5, v1, vcc_lo
	global_store_b64 v[4:5], v[36:37], off
.LBB30_84:
	s_cmp_eq_u64 s[2:3], 0
	s_cbranch_scc1 .LBB30_86
; %bb.85:
	v_mad_co_u64_u32 v[4:5], null, v2, s6, 0
	s_delay_alu instid0(VALU_DEP_1) | instskip(NEXT) | instid1(VALU_DEP_1)
	v_add3_u32 v5, v5, v6, v3
	v_lshlrev_b64_e32 v[2:3], 3, v[4:5]
	s_delay_alu instid0(VALU_DEP_1) | instskip(SKIP_1) | instid1(VALU_DEP_2)
	v_add_co_u32 v2, vcc_lo, s2, v2
	s_wait_alu 0xfffd
	v_add_co_ci_u32_e64 v3, null, s3, v3, vcc_lo
	s_delay_alu instid0(VALU_DEP_2) | instskip(SKIP_1) | instid1(VALU_DEP_2)
	v_add_co_u32 v0, vcc_lo, v2, v0
	s_wait_alu 0xfffd
	v_add_co_ci_u32_e64 v1, null, v3, v1, vcc_lo
	global_store_b64 v[0:1], v[34:35], off
.LBB30_86:
	s_nop 0
	s_sendmsg sendmsg(MSG_DEALLOC_VGPRS)
	s_endpgm
	.section	.rodata,"a",@progbits
	.p2align	6, 0x0
	.amdhsa_kernel _ZN2at6native12_GLOBAL__N_135GammaBetaBackwardCUDAKernelTemplateIddLj64ELj1ELj8ELb1ELb0ELb0EEEvllPKT_S5_PKT0_S8_PS3_S9_
		.amdhsa_group_segment_fixed_size 0
		.amdhsa_private_segment_fixed_size 0
		.amdhsa_kernarg_size 320
		.amdhsa_user_sgpr_count 2
		.amdhsa_user_sgpr_dispatch_ptr 0
		.amdhsa_user_sgpr_queue_ptr 0
		.amdhsa_user_sgpr_kernarg_segment_ptr 1
		.amdhsa_user_sgpr_dispatch_id 0
		.amdhsa_user_sgpr_private_segment_size 0
		.amdhsa_wavefront_size32 1
		.amdhsa_uses_dynamic_stack 0
		.amdhsa_enable_private_segment 0
		.amdhsa_system_sgpr_workgroup_id_x 1
		.amdhsa_system_sgpr_workgroup_id_y 1
		.amdhsa_system_sgpr_workgroup_id_z 0
		.amdhsa_system_sgpr_workgroup_info 0
		.amdhsa_system_vgpr_workitem_id 1
		.amdhsa_next_free_vgpr 114
		.amdhsa_next_free_sgpr 36
		.amdhsa_reserve_vcc 1
		.amdhsa_float_round_mode_32 0
		.amdhsa_float_round_mode_16_64 0
		.amdhsa_float_denorm_mode_32 3
		.amdhsa_float_denorm_mode_16_64 3
		.amdhsa_fp16_overflow 0
		.amdhsa_workgroup_processor_mode 1
		.amdhsa_memory_ordered 1
		.amdhsa_forward_progress 1
		.amdhsa_inst_pref_size 84
		.amdhsa_round_robin_scheduling 0
		.amdhsa_exception_fp_ieee_invalid_op 0
		.amdhsa_exception_fp_denorm_src 0
		.amdhsa_exception_fp_ieee_div_zero 0
		.amdhsa_exception_fp_ieee_overflow 0
		.amdhsa_exception_fp_ieee_underflow 0
		.amdhsa_exception_fp_ieee_inexact 0
		.amdhsa_exception_int_div_zero 0
	.end_amdhsa_kernel
	.section	.text._ZN2at6native12_GLOBAL__N_135GammaBetaBackwardCUDAKernelTemplateIddLj64ELj1ELj8ELb1ELb0ELb0EEEvllPKT_S5_PKT0_S8_PS3_S9_,"axG",@progbits,_ZN2at6native12_GLOBAL__N_135GammaBetaBackwardCUDAKernelTemplateIddLj64ELj1ELj8ELb1ELb0ELb0EEEvllPKT_S5_PKT0_S8_PS3_S9_,comdat
.Lfunc_end30:
	.size	_ZN2at6native12_GLOBAL__N_135GammaBetaBackwardCUDAKernelTemplateIddLj64ELj1ELj8ELb1ELb0ELb0EEEvllPKT_S5_PKT0_S8_PS3_S9_, .Lfunc_end30-_ZN2at6native12_GLOBAL__N_135GammaBetaBackwardCUDAKernelTemplateIddLj64ELj1ELj8ELb1ELb0ELb0EEEvllPKT_S5_PKT0_S8_PS3_S9_
                                        ; -- End function
	.set _ZN2at6native12_GLOBAL__N_135GammaBetaBackwardCUDAKernelTemplateIddLj64ELj1ELj8ELb1ELb0ELb0EEEvllPKT_S5_PKT0_S8_PS3_S9_.num_vgpr, 114
	.set _ZN2at6native12_GLOBAL__N_135GammaBetaBackwardCUDAKernelTemplateIddLj64ELj1ELj8ELb1ELb0ELb0EEEvllPKT_S5_PKT0_S8_PS3_S9_.num_agpr, 0
	.set _ZN2at6native12_GLOBAL__N_135GammaBetaBackwardCUDAKernelTemplateIddLj64ELj1ELj8ELb1ELb0ELb0EEEvllPKT_S5_PKT0_S8_PS3_S9_.numbered_sgpr, 36
	.set _ZN2at6native12_GLOBAL__N_135GammaBetaBackwardCUDAKernelTemplateIddLj64ELj1ELj8ELb1ELb0ELb0EEEvllPKT_S5_PKT0_S8_PS3_S9_.num_named_barrier, 0
	.set _ZN2at6native12_GLOBAL__N_135GammaBetaBackwardCUDAKernelTemplateIddLj64ELj1ELj8ELb1ELb0ELb0EEEvllPKT_S5_PKT0_S8_PS3_S9_.private_seg_size, 0
	.set _ZN2at6native12_GLOBAL__N_135GammaBetaBackwardCUDAKernelTemplateIddLj64ELj1ELj8ELb1ELb0ELb0EEEvllPKT_S5_PKT0_S8_PS3_S9_.uses_vcc, 1
	.set _ZN2at6native12_GLOBAL__N_135GammaBetaBackwardCUDAKernelTemplateIddLj64ELj1ELj8ELb1ELb0ELb0EEEvllPKT_S5_PKT0_S8_PS3_S9_.uses_flat_scratch, 0
	.set _ZN2at6native12_GLOBAL__N_135GammaBetaBackwardCUDAKernelTemplateIddLj64ELj1ELj8ELb1ELb0ELb0EEEvllPKT_S5_PKT0_S8_PS3_S9_.has_dyn_sized_stack, 0
	.set _ZN2at6native12_GLOBAL__N_135GammaBetaBackwardCUDAKernelTemplateIddLj64ELj1ELj8ELb1ELb0ELb0EEEvllPKT_S5_PKT0_S8_PS3_S9_.has_recursion, 0
	.set _ZN2at6native12_GLOBAL__N_135GammaBetaBackwardCUDAKernelTemplateIddLj64ELj1ELj8ELb1ELb0ELb0EEEvllPKT_S5_PKT0_S8_PS3_S9_.has_indirect_call, 0
	.section	.AMDGPU.csdata,"",@progbits
; Kernel info:
; codeLenInByte = 10708
; TotalNumSgprs: 38
; NumVgprs: 114
; ScratchSize: 0
; MemoryBound: 1
; FloatMode: 240
; IeeeMode: 1
; LDSByteSize: 0 bytes/workgroup (compile time only)
; SGPRBlocks: 0
; VGPRBlocks: 14
; NumSGPRsForWavesPerEU: 38
; NumVGPRsForWavesPerEU: 114
; Occupancy: 12
; WaveLimiterHint : 0
; COMPUTE_PGM_RSRC2:SCRATCH_EN: 0
; COMPUTE_PGM_RSRC2:USER_SGPR: 2
; COMPUTE_PGM_RSRC2:TRAP_HANDLER: 0
; COMPUTE_PGM_RSRC2:TGID_X_EN: 1
; COMPUTE_PGM_RSRC2:TGID_Y_EN: 1
; COMPUTE_PGM_RSRC2:TGID_Z_EN: 0
; COMPUTE_PGM_RSRC2:TIDIG_COMP_CNT: 1
	.section	.text._ZN2at6native12_GLOBAL__N_135GammaBetaBackwardCUDAKernelTemplateIddLj64ELj8ELj64ELb0ELb1ELb0EEEvllPKT_S5_PKT0_S8_PS3_S9_,"axG",@progbits,_ZN2at6native12_GLOBAL__N_135GammaBetaBackwardCUDAKernelTemplateIddLj64ELj8ELj64ELb0ELb1ELb0EEEvllPKT_S5_PKT0_S8_PS3_S9_,comdat
	.globl	_ZN2at6native12_GLOBAL__N_135GammaBetaBackwardCUDAKernelTemplateIddLj64ELj8ELj64ELb0ELb1ELb0EEEvllPKT_S5_PKT0_S8_PS3_S9_ ; -- Begin function _ZN2at6native12_GLOBAL__N_135GammaBetaBackwardCUDAKernelTemplateIddLj64ELj8ELj64ELb0ELb1ELb0EEEvllPKT_S5_PKT0_S8_PS3_S9_
	.p2align	8
	.type	_ZN2at6native12_GLOBAL__N_135GammaBetaBackwardCUDAKernelTemplateIddLj64ELj8ELj64ELb0ELb1ELb0EEEvllPKT_S5_PKT0_S8_PS3_S9_,@function
_ZN2at6native12_GLOBAL__N_135GammaBetaBackwardCUDAKernelTemplateIddLj64ELj8ELj64ELb0ELb1ELb0EEEvllPKT_S5_PKT0_S8_PS3_S9_: ; @_ZN2at6native12_GLOBAL__N_135GammaBetaBackwardCUDAKernelTemplateIddLj64ELj8ELj64ELb0ELb1ELb0EEEvllPKT_S5_PKT0_S8_PS3_S9_
; %bb.0:
	s_load_b128 s[16:19], s[0:1], 0x0
	s_lshl_b32 s2, ttmp7, 6
	s_mov_b32 s3, 0
	v_bfe_u32 v15, v0, 10, 10
	s_wait_kmcnt 0x0
	v_cmp_gt_i64_e64 s4, s[16:17], s[2:3]
	s_and_b32 vcc_lo, exec_lo, s4
	s_cbranch_vccnz .LBB31_2
; %bb.1:
	v_bfe_u32 v1, v0, 10, 10
	s_mov_b32 s4, s3
	s_branch .LBB31_3
.LBB31_2:
	s_mov_b32 s4, -1
                                        ; implicit-def: $vgpr1
.LBB31_3:
	s_load_b128 s[12:15], s[0:1], 0x30
	v_mov_b32_e32 v10, 0
	v_dual_mov_b32 v11, 0 :: v_dual_mov_b32 v8, 0
	v_dual_mov_b32 v9, 0 :: v_dual_and_b32 v14, 0x3ff, v0
	s_and_not1_b32 vcc_lo, exec_lo, s4
	s_cbranch_vccnz .LBB31_11
; %bb.4:
	s_load_b32 s20, s[0:1], 0x4c
	v_dual_mov_b32 v1, 0 :: v_dual_lshlrev_b32 v0, 3, v15
	s_clause 0x1
	s_load_b32 s22, s[0:1], 0x44
	s_load_b256 s[4:11], s[0:1], 0x10
	s_mov_b32 s21, 0
	v_dual_mov_b32 v16, 8 :: v_dual_mov_b32 v17, 4
	v_add_co_u32 v2, s0, v0, s2
	s_delay_alu instid0(VALU_DEP_1) | instskip(SKIP_1) | instid1(VALU_DEP_3)
	v_add_co_ci_u32_e64 v3, null, 0, 0, s0
	v_lshl_add_u32 v0, ttmp9, 6, v14
	v_mul_lo_u32 v8, s19, v2
	v_mad_co_u64_u32 v[4:5], null, s18, v2, 0
	s_delay_alu instid0(VALU_DEP_4)
	v_mul_lo_u32 v9, s18, v3
	v_dual_mov_b32 v18, 12 :: v_dual_mov_b32 v19, 16
	v_dual_mov_b32 v20, 20 :: v_dual_mov_b32 v21, 24
	s_wait_kmcnt 0x0
	s_and_b32 s0, s20, 0xffff
	s_lshl_b32 s20, s22, 6
	s_wait_alu 0xfffe
	v_mad_u32_u24 v6, v15, s0, v14
	v_add3_u32 v5, v5, v9, v8
	s_mul_u64 s[24:25], s[18:19], s[20:21]
	s_lshl_b64 s[22:23], s[20:21], 3
	s_lshl_b64 s[24:25], s[24:25], 3
	v_and_b32_e32 v10, 31, v6
	v_lshlrev_b64_e32 v[6:7], 3, v[0:1]
	v_lshlrev_b64_e32 v[8:9], 3, v[4:5]
	v_mov_b32_e32 v0, 28
	s_lshl_b64 s[18:19], s[18:19], 3
	v_add_co_u32 v2, vcc_lo, v2, v10
	s_delay_alu instid0(VALU_DEP_1) | instskip(NEXT) | instid1(VALU_DEP_4)
	v_add_co_ci_u32_e64 v3, null, 0, v3, vcc_lo
	v_add_co_u32 v22, vcc_lo, v8, v6
	s_wait_alu 0xfffd
	v_add_co_ci_u32_e64 v23, null, v9, v7, vcc_lo
	v_mov_b32_e32 v8, 0
	v_lshlrev_b64_e32 v[4:5], 3, v[2:3]
	v_mov_b32_e32 v9, 0
	v_cmp_gt_u32_e64 s0, 8, v10
	v_mov_b32_e32 v10, 0
	v_mov_b32_e32 v11, 0
	s_branch .LBB31_7
.LBB31_5:                               ;   in Loop: Header=BB31_7 Depth=1
	s_or_b32 exec_lo, exec_lo, s26
.LBB31_6:                               ;   in Loop: Header=BB31_7 Depth=1
	s_wait_alu 0xfffe
	s_or_b32 exec_lo, exec_lo, s1
	v_add_co_u32 v24, vcc_lo, s6, v22
	s_wait_alu 0xfffd
	v_add_co_ci_u32_e64 v25, null, s7, v23, vcc_lo
	s_wait_loadcnt 0x1
	ds_bpermute_b32 v56, v1, v12
	ds_bpermute_b32 v57, v1, v13
	s_wait_loadcnt 0x0
	ds_bpermute_b32 v58, v1, v6
	global_load_b64 v[26:27], v[24:25], off
	v_add_co_u32 v24, vcc_lo, v24, s18
	s_wait_alu 0xfffd
	v_add_co_ci_u32_e64 v25, null, s19, v25, vcc_lo
	v_add_co_u32 v28, vcc_lo, s4, v22
	s_wait_alu 0xfffd
	v_add_co_ci_u32_e64 v29, null, s5, v23, vcc_lo
	global_load_b64 v[30:31], v[24:25], off
	global_load_b64 v[32:33], v[28:29], off
	v_add_co_u32 v24, vcc_lo, v24, s18
	s_wait_alu 0xfffd
	v_add_co_ci_u32_e64 v25, null, s19, v25, vcc_lo
	v_add_co_u32 v28, vcc_lo, v28, s18
	s_wait_alu 0xfffd
	v_add_co_ci_u32_e64 v29, null, s19, v29, vcc_lo
	global_load_b64 v[34:35], v[24:25], off
	;; [unrolled: 8-line block ×7, first 2 shown]
	global_load_b64 v[54:55], v[28:29], off
	v_add_co_u32 v28, vcc_lo, v28, s18
	s_wait_alu 0xfffd
	v_add_co_ci_u32_e64 v29, null, s19, v29, vcc_lo
	ds_bpermute_b32 v59, v1, v7
	v_add_co_u32 v4, vcc_lo, v4, s22
	global_load_b64 v[28:29], v[28:29], off
	s_add_nc_u64 s[2:3], s[2:3], s[20:21]
	s_wait_alu 0xfffd
	v_add_co_ci_u32_e64 v5, null, s23, v5, vcc_lo
	v_add_co_u32 v2, vcc_lo, v2, s20
	s_wait_alu 0xfffe
	v_cmp_lt_i64_e64 s1, s[2:3], s[16:17]
	s_wait_alu 0xfffd
	v_add_co_ci_u32_e64 v3, null, 0, v3, vcc_lo
	v_add_co_u32 v22, vcc_lo, v22, s24
	s_wait_alu 0xfffd
	v_add_co_ci_u32_e64 v23, null, s25, v23, vcc_lo
	s_and_b32 vcc_lo, exec_lo, s1
	s_wait_loadcnt_dscnt 0xf02
	v_add_f64_e64 v[26:27], v[26:27], -v[56:57]
	ds_bpermute_b32 v56, v17, v12
	ds_bpermute_b32 v57, v17, v13
	s_wait_loadcnt 0xd
	v_add_f64_e32 v[10:11], v[10:11], v[32:33]
	s_wait_dscnt 0x0
	v_add_f64_e64 v[30:31], v[30:31], -v[56:57]
	ds_bpermute_b32 v56, v16, v12
	ds_bpermute_b32 v57, v16, v13
	v_mul_f64_e32 v[26:27], v[32:33], v[26:27]
	ds_bpermute_b32 v32, v17, v6
	ds_bpermute_b32 v33, v17, v7
	s_wait_loadcnt_dscnt 0xc02
	v_add_f64_e64 v[34:35], v[34:35], -v[56:57]
	s_wait_loadcnt 0xb
	v_add_f64_e32 v[10:11], v[10:11], v[36:37]
	v_mul_f64_e32 v[30:31], v[36:37], v[30:31]
	v_fma_f64 v[8:9], v[26:27], v[58:59], v[8:9]
	ds_bpermute_b32 v26, v18, v12
	ds_bpermute_b32 v27, v18, v13
	s_wait_loadcnt 0x9
	v_mul_f64_e32 v[34:35], v[40:41], v[34:35]
	v_add_f64_e32 v[10:11], v[10:11], v[40:41]
	s_wait_dscnt 0x0
	v_add_f64_e64 v[26:27], v[38:39], -v[26:27]
	v_fma_f64 v[8:9], v[30:31], v[32:33], v[8:9]
	ds_bpermute_b32 v30, v19, v12
	ds_bpermute_b32 v31, v19, v13
	;; [unrolled: 1-line block ×4, first 2 shown]
	s_wait_loadcnt 0x7
	v_add_f64_e32 v[10:11], v[10:11], v[44:45]
	s_wait_dscnt 0x2
	v_add_f64_e64 v[30:31], v[42:43], -v[30:31]
	v_mul_f64_e32 v[26:27], v[44:45], v[26:27]
	s_wait_dscnt 0x0
	v_fma_f64 v[8:9], v[34:35], v[32:33], v[8:9]
	ds_bpermute_b32 v32, v20, v12
	ds_bpermute_b32 v33, v20, v13
	;; [unrolled: 1-line block ×4, first 2 shown]
	s_wait_loadcnt 0x5
	v_add_f64_e32 v[10:11], v[10:11], v[48:49]
	s_wait_dscnt 0x2
	v_add_f64_e64 v[32:33], v[46:47], -v[32:33]
	v_mul_f64_e32 v[30:31], v[48:49], v[30:31]
	s_wait_dscnt 0x0
	v_fma_f64 v[8:9], v[26:27], v[34:35], v[8:9]
	ds_bpermute_b32 v26, v21, v12
	ds_bpermute_b32 v27, v21, v13
	;; [unrolled: 1-line block ×6, first 2 shown]
	s_wait_loadcnt 0x3
	v_add_f64_e32 v[10:11], v[10:11], v[52:53]
	s_wait_dscnt 0x4
	v_add_f64_e64 v[26:27], v[50:51], -v[26:27]
	v_mul_f64_e32 v[32:33], v[52:53], v[32:33]
	s_wait_loadcnt_dscnt 0x200
	v_add_f64_e64 v[12:13], v[24:25], -v[12:13]
	v_fma_f64 v[8:9], v[30:31], v[34:35], v[8:9]
	ds_bpermute_b32 v30, v20, v6
	ds_bpermute_b32 v31, v20, v7
	s_wait_loadcnt 0x1
	v_add_f64_e32 v[10:11], v[10:11], v[54:55]
	v_mul_f64_e32 v[24:25], v[54:55], v[26:27]
	ds_bpermute_b32 v26, v21, v6
	ds_bpermute_b32 v27, v21, v7
	;; [unrolled: 1-line block ×3, first 2 shown]
	s_wait_loadcnt 0x0
	v_mul_f64_e32 v[12:13], v[28:29], v[12:13]
	ds_bpermute_b32 v7, v0, v7
	s_wait_dscnt 0x4
	v_fma_f64 v[8:9], v[32:33], v[30:31], v[8:9]
	v_add_f64_e32 v[10:11], v[10:11], v[28:29]
	s_wait_dscnt 0x2
	s_delay_alu instid0(VALU_DEP_2) | instskip(SKIP_1) | instid1(VALU_DEP_1)
	v_fma_f64 v[8:9], v[24:25], v[26:27], v[8:9]
	s_wait_dscnt 0x0
	v_fma_f64 v[8:9], v[12:13], v[6:7], v[8:9]
	s_wait_alu 0xfffe
	s_cbranch_vccz .LBB31_10
.LBB31_7:                               ; =>This Inner Loop Header: Depth=1
	v_mov_b32_e32 v6, 0
	v_dual_mov_b32 v7, 0 :: v_dual_mov_b32 v12, 0
	v_mov_b32_e32 v13, 0
	s_and_saveexec_b32 s1, s0
	s_cbranch_execz .LBB31_6
; %bb.8:                                ;   in Loop: Header=BB31_7 Depth=1
	v_mov_b32_e32 v12, 0
	v_dual_mov_b32 v13, 0 :: v_dual_mov_b32 v6, 0
	v_mov_b32_e32 v7, 0
	s_mov_b32 s26, exec_lo
	v_cmpx_gt_i64_e64 s[16:17], v[2:3]
	s_cbranch_execz .LBB31_5
; %bb.9:                                ;   in Loop: Header=BB31_7 Depth=1
	v_add_co_u32 v6, vcc_lo, s8, v4
	s_wait_alu 0xfffd
	v_add_co_ci_u32_e64 v7, null, s9, v5, vcc_lo
	v_add_co_u32 v24, vcc_lo, s10, v4
	s_wait_alu 0xfffd
	v_add_co_ci_u32_e64 v25, null, s11, v5, vcc_lo
	global_load_b64 v[12:13], v[6:7], off
	global_load_b64 v[6:7], v[24:25], off
	s_branch .LBB31_5
.LBB31_10:
	v_mov_b32_e32 v1, v15
.LBB31_11:
	s_delay_alu instid0(VALU_DEP_1) | instskip(SKIP_1) | instid1(VALU_DEP_1)
	v_mad_u32_u24 v0, 0x41, v1, v14
	s_mov_b32 s0, exec_lo
	v_lshl_add_u32 v2, v0, 3, 0
	v_sub_nc_u32_e32 v6, v0, v1
	ds_store_b64 v2, v[8:9]
	ds_store_b64 v2, v[10:11] offset:4160
	s_wait_dscnt 0x0
	s_barrier_signal -1
	s_barrier_wait -1
	global_inv scope:SCOPE_SE
	v_cmpx_gt_u32_e32 0x800, v6
	s_cbranch_execz .LBB31_43
; %bb.12:
	v_and_b32_e32 v0, 31, v14
	v_lshrrev_b32_e32 v8, 5, v6
                                        ; implicit-def: $vgpr2_vgpr3
	s_delay_alu instid0(VALU_DEP_2)
	v_cmp_gt_u32_e64 s0, 8, v0
	v_mul_u32_u24_e32 v7, 0x41, v0
                                        ; implicit-def: $vgpr0_vgpr1
	s_wait_alu 0xfffe
	s_and_saveexec_b32 s1, s0
	s_cbranch_execz .LBB31_14
; %bb.13:
	s_delay_alu instid0(VALU_DEP_1) | instskip(NEXT) | instid1(VALU_DEP_1)
	v_add_nc_u32_e32 v0, v8, v7
	v_lshl_add_u32 v0, v0, 3, 0
	ds_load_b64 v[2:3], v0
	ds_load_b64 v[0:1], v0 offset:4160
.LBB31_14:
	s_wait_alu 0xfffe
	s_or_b32 exec_lo, exec_lo, s1
	v_mbcnt_lo_u32_b32 v13, -1, 0
	s_mov_b32 s2, ttmp9
	s_mov_b32 s3, 0
	v_cmp_eq_u32_e64 s1, 0, v14
	s_wait_alu 0xfffe
	s_lshl_b64 s[2:3], s[2:3], 6
	v_xor_b32_e32 v4, 4, v13
	s_wait_kmcnt 0x0
	s_cmp_lg_u64 s[12:13], 0
	s_cselect_b32 s5, -1, 0
	s_cmp_lg_u64 s[14:15], 0
	v_cmp_gt_i32_e32 vcc_lo, 32, v4
	s_cselect_b32 s4, -1, 0
	s_wait_alu 0xfffd
	v_cndmask_b32_e32 v4, v13, v4, vcc_lo
	s_delay_alu instid0(VALU_DEP_1)
	v_lshlrev_b32_e32 v9, 2, v4
	s_wait_dscnt 0x1
	ds_bpermute_b32 v4, v9, v2
	ds_bpermute_b32 v5, v9, v3
	s_wait_dscnt 0x2
	ds_bpermute_b32 v10, v9, v0
	ds_bpermute_b32 v11, v9, v1
	s_wait_dscnt 0x2
	v_add_f64_e32 v[2:3], v[2:3], v[4:5]
	v_xor_b32_e32 v4, 2, v13
	s_wait_dscnt 0x0
	v_add_f64_e32 v[0:1], v[0:1], v[10:11]
	s_delay_alu instid0(VALU_DEP_2) | instskip(SKIP_2) | instid1(VALU_DEP_1)
	v_cmp_gt_i32_e32 vcc_lo, 32, v4
	s_wait_alu 0xfffd
	v_cndmask_b32_e32 v4, v13, v4, vcc_lo
	v_lshlrev_b32_e32 v10, 2, v4
	ds_bpermute_b32 v4, v10, v2
	ds_bpermute_b32 v5, v10, v3
	;; [unrolled: 1-line block ×4, first 2 shown]
	s_wait_dscnt 0x2
	v_add_f64_e32 v[2:3], v[2:3], v[4:5]
	s_wait_dscnt 0x0
	v_add_f64_e32 v[4:5], v[0:1], v[11:12]
	v_xor_b32_e32 v0, 1, v13
	s_delay_alu instid0(VALU_DEP_1) | instskip(SKIP_2) | instid1(VALU_DEP_1)
	v_cmp_gt_i32_e32 vcc_lo, 32, v0
	s_wait_alu 0xfffd
	v_cndmask_b32_e32 v0, v13, v0, vcc_lo
	v_lshlrev_b32_e32 v11, 2, v0
	ds_bpermute_b32 v0, v11, v2
	ds_bpermute_b32 v1, v11, v3
	;; [unrolled: 1-line block ×4, first 2 shown]
	s_wait_dscnt 0x2
	v_add_f64_e32 v[0:1], v[2:3], v[0:1]
	s_wait_dscnt 0x0
	v_add_f64_e32 v[2:3], v[4:5], v[12:13]
	s_and_saveexec_b32 s6, s1
	s_cbranch_execz .LBB31_19
; %bb.15:
	s_wait_alu 0xfffe
	v_mov_b32_e32 v5, s3
	v_or_b32_e32 v4, s2, v8
	s_and_not1_b32 vcc_lo, exec_lo, s5
	s_delay_alu instid0(VALU_DEP_1)
	v_lshlrev_b64_e32 v[4:5], 3, v[4:5]
	s_wait_alu 0xfffe
	s_cbranch_vccnz .LBB31_17
; %bb.16:
	s_delay_alu instid0(VALU_DEP_1) | instskip(SKIP_1) | instid1(VALU_DEP_2)
	v_add_co_u32 v12, vcc_lo, s12, v4
	s_wait_alu 0xfffd
	v_add_co_ci_u32_e64 v13, null, s13, v5, vcc_lo
	global_store_b64 v[12:13], v[0:1], off
.LBB31_17:
	s_and_not1_b32 vcc_lo, exec_lo, s4
	s_wait_alu 0xfffe
	s_cbranch_vccnz .LBB31_19
; %bb.18:
	v_add_co_u32 v4, vcc_lo, s14, v4
	s_wait_alu 0xfffd
	v_add_co_ci_u32_e64 v5, null, s15, v5, vcc_lo
	global_store_b64 v[4:5], v[2:3], off
.LBB31_19:
	s_wait_alu 0xfffe
	s_or_b32 exec_lo, exec_lo, s6
	v_cmp_gt_u32_e32 vcc_lo, 0x600, v6
	s_and_b32 exec_lo, exec_lo, vcc_lo
	s_cbranch_execz .LBB31_43
; %bb.20:
	s_and_saveexec_b32 s6, s0
	s_cbranch_execz .LBB31_22
; %bb.21:
	v_add_nc_u32_e32 v0, v8, v7
	s_delay_alu instid0(VALU_DEP_1)
	v_lshl_add_u32 v2, v0, 3, 0
	ds_load_b64 v[0:1], v2 offset:128
	ds_load_b64 v[2:3], v2 offset:4288
.LBB31_22:
	s_wait_alu 0xfffe
	s_or_b32 exec_lo, exec_lo, s6
	s_wait_dscnt 0x1
	ds_bpermute_b32 v4, v9, v0
	ds_bpermute_b32 v5, v9, v1
	s_wait_dscnt 0x2
	ds_bpermute_b32 v12, v9, v2
	ds_bpermute_b32 v13, v9, v3
	s_wait_dscnt 0x2
	v_add_f64_e32 v[0:1], v[0:1], v[4:5]
	s_wait_dscnt 0x0
	v_add_f64_e32 v[2:3], v[2:3], v[12:13]
	ds_bpermute_b32 v4, v10, v0
	ds_bpermute_b32 v5, v10, v1
	;; [unrolled: 1-line block ×4, first 2 shown]
	s_wait_dscnt 0x2
	v_add_f64_e32 v[0:1], v[0:1], v[4:5]
	s_wait_dscnt 0x0
	v_add_f64_e32 v[2:3], v[2:3], v[12:13]
	ds_bpermute_b32 v4, v11, v0
	ds_bpermute_b32 v5, v11, v1
	;; [unrolled: 1-line block ×4, first 2 shown]
	s_wait_dscnt 0x2
	v_add_f64_e32 v[0:1], v[0:1], v[4:5]
	s_wait_dscnt 0x0
	v_add_f64_e32 v[2:3], v[2:3], v[12:13]
	s_and_saveexec_b32 s6, s1
	s_cbranch_execz .LBB31_27
; %bb.23:
	s_and_not1_b32 vcc_lo, exec_lo, s5
	s_wait_alu 0xfffe
	s_cbranch_vccnz .LBB31_25
; %bb.24:
	v_add_co_u32 v4, s7, s2, v8
	s_wait_alu 0xf1ff
	v_add_co_ci_u32_e64 v5, null, s3, 0, s7
	s_delay_alu instid0(VALU_DEP_1) | instskip(NEXT) | instid1(VALU_DEP_1)
	v_lshlrev_b64_e32 v[4:5], 3, v[4:5]
	v_add_co_u32 v4, vcc_lo, s12, v4
	s_wait_alu 0xfffd
	s_delay_alu instid0(VALU_DEP_2)
	v_add_co_ci_u32_e64 v5, null, s13, v5, vcc_lo
	global_store_b64 v[4:5], v[0:1], off offset:128
.LBB31_25:
	s_and_not1_b32 vcc_lo, exec_lo, s4
	s_wait_alu 0xfffe
	s_cbranch_vccnz .LBB31_27
; %bb.26:
	v_add_co_u32 v4, s7, s2, v8
	s_wait_alu 0xf1ff
	v_add_co_ci_u32_e64 v5, null, s3, 0, s7
	s_delay_alu instid0(VALU_DEP_1) | instskip(NEXT) | instid1(VALU_DEP_1)
	v_lshlrev_b64_e32 v[4:5], 3, v[4:5]
	v_add_co_u32 v4, vcc_lo, s14, v4
	s_wait_alu 0xfffd
	s_delay_alu instid0(VALU_DEP_2)
	v_add_co_ci_u32_e64 v5, null, s15, v5, vcc_lo
	global_store_b64 v[4:5], v[2:3], off offset:128
.LBB31_27:
	s_wait_alu 0xfffe
	s_or_b32 exec_lo, exec_lo, s6
	v_cmp_gt_u32_e32 vcc_lo, 0x400, v6
	s_and_b32 exec_lo, exec_lo, vcc_lo
	s_cbranch_execz .LBB31_43
; %bb.28:
	s_and_saveexec_b32 s6, s0
	s_cbranch_execz .LBB31_30
; %bb.29:
	v_add_nc_u32_e32 v0, v8, v7
	s_delay_alu instid0(VALU_DEP_1)
	v_lshl_add_u32 v2, v0, 3, 0
	ds_load_b64 v[0:1], v2 offset:256
	ds_load_b64 v[2:3], v2 offset:4416
.LBB31_30:
	s_wait_alu 0xfffe
	s_or_b32 exec_lo, exec_lo, s6
	s_wait_dscnt 0x1
	ds_bpermute_b32 v4, v9, v0
	ds_bpermute_b32 v5, v9, v1
	s_wait_dscnt 0x2
	ds_bpermute_b32 v12, v9, v2
	ds_bpermute_b32 v13, v9, v3
	s_wait_dscnt 0x2
	v_add_f64_e32 v[0:1], v[0:1], v[4:5]
	s_wait_dscnt 0x0
	v_add_f64_e32 v[2:3], v[2:3], v[12:13]
	ds_bpermute_b32 v4, v10, v0
	ds_bpermute_b32 v5, v10, v1
	;; [unrolled: 1-line block ×4, first 2 shown]
	s_wait_dscnt 0x2
	v_add_f64_e32 v[0:1], v[0:1], v[4:5]
	s_wait_dscnt 0x0
	v_add_f64_e32 v[2:3], v[2:3], v[12:13]
	ds_bpermute_b32 v4, v11, v0
	ds_bpermute_b32 v5, v11, v1
	;; [unrolled: 1-line block ×4, first 2 shown]
	s_wait_dscnt 0x2
	v_add_f64_e32 v[0:1], v[0:1], v[4:5]
	s_wait_dscnt 0x0
	v_add_f64_e32 v[2:3], v[2:3], v[12:13]
	s_and_saveexec_b32 s6, s1
	s_cbranch_execz .LBB31_35
; %bb.31:
	s_and_not1_b32 vcc_lo, exec_lo, s5
	s_wait_alu 0xfffe
	s_cbranch_vccnz .LBB31_33
; %bb.32:
	v_add_co_u32 v4, s7, s2, v8
	s_wait_alu 0xf1ff
	v_add_co_ci_u32_e64 v5, null, s3, 0, s7
	s_delay_alu instid0(VALU_DEP_1) | instskip(NEXT) | instid1(VALU_DEP_1)
	v_lshlrev_b64_e32 v[4:5], 3, v[4:5]
	v_add_co_u32 v4, vcc_lo, s12, v4
	s_wait_alu 0xfffd
	s_delay_alu instid0(VALU_DEP_2)
	v_add_co_ci_u32_e64 v5, null, s13, v5, vcc_lo
	global_store_b64 v[4:5], v[0:1], off offset:256
.LBB31_33:
	s_and_not1_b32 vcc_lo, exec_lo, s4
	s_wait_alu 0xfffe
	s_cbranch_vccnz .LBB31_35
; %bb.34:
	v_add_co_u32 v4, s7, s2, v8
	s_wait_alu 0xf1ff
	v_add_co_ci_u32_e64 v5, null, s3, 0, s7
	s_delay_alu instid0(VALU_DEP_1) | instskip(NEXT) | instid1(VALU_DEP_1)
	v_lshlrev_b64_e32 v[4:5], 3, v[4:5]
	v_add_co_u32 v4, vcc_lo, s14, v4
	s_wait_alu 0xfffd
	s_delay_alu instid0(VALU_DEP_2)
	v_add_co_ci_u32_e64 v5, null, s15, v5, vcc_lo
	global_store_b64 v[4:5], v[2:3], off offset:256
.LBB31_35:
	s_wait_alu 0xfffe
	s_or_b32 exec_lo, exec_lo, s6
	v_cmp_gt_u32_e32 vcc_lo, 0x200, v6
	s_and_b32 exec_lo, exec_lo, vcc_lo
	s_cbranch_execz .LBB31_43
; %bb.36:
	s_and_saveexec_b32 s6, s0
	s_cbranch_execz .LBB31_38
; %bb.37:
	v_add_nc_u32_e32 v0, v8, v7
	s_delay_alu instid0(VALU_DEP_1)
	v_lshl_add_u32 v2, v0, 3, 0
	ds_load_b64 v[0:1], v2 offset:384
	ds_load_b64 v[2:3], v2 offset:4544
.LBB31_38:
	s_wait_alu 0xfffe
	s_or_b32 exec_lo, exec_lo, s6
	s_wait_dscnt 0x1
	ds_bpermute_b32 v4, v9, v0
	ds_bpermute_b32 v5, v9, v1
	s_wait_dscnt 0x2
	ds_bpermute_b32 v6, v9, v2
	ds_bpermute_b32 v7, v9, v3
	s_wait_dscnt 0x2
	v_add_f64_e32 v[0:1], v[0:1], v[4:5]
	s_wait_dscnt 0x0
	v_add_f64_e32 v[2:3], v[2:3], v[6:7]
	ds_bpermute_b32 v4, v10, v0
	ds_bpermute_b32 v5, v10, v1
	;; [unrolled: 1-line block ×4, first 2 shown]
	s_wait_dscnt 0x2
	v_add_f64_e32 v[4:5], v[0:1], v[4:5]
	s_wait_dscnt 0x0
	v_add_f64_e32 v[0:1], v[2:3], v[6:7]
	ds_bpermute_b32 v6, v11, v4
	ds_bpermute_b32 v7, v11, v5
	;; [unrolled: 1-line block ×4, first 2 shown]
	s_and_b32 exec_lo, exec_lo, s1
	s_cbranch_execz .LBB31_43
; %bb.39:
	s_and_not1_b32 vcc_lo, exec_lo, s5
	s_wait_alu 0xfffe
	s_cbranch_vccnz .LBB31_41
; %bb.40:
	s_wait_dscnt 0x2
	v_add_f64_e32 v[4:5], v[4:5], v[6:7]
	v_add_co_u32 v6, s0, s2, v8
	s_wait_alu 0xf1ff
	v_add_co_ci_u32_e64 v7, null, s3, 0, s0
	s_delay_alu instid0(VALU_DEP_1) | instskip(NEXT) | instid1(VALU_DEP_1)
	v_lshlrev_b64_e32 v[6:7], 3, v[6:7]
	v_add_co_u32 v6, vcc_lo, s12, v6
	s_wait_alu 0xfffd
	s_delay_alu instid0(VALU_DEP_2)
	v_add_co_ci_u32_e64 v7, null, s13, v7, vcc_lo
	global_store_b64 v[6:7], v[4:5], off offset:384
.LBB31_41:
	s_and_not1_b32 vcc_lo, exec_lo, s4
	s_wait_alu 0xfffe
	s_cbranch_vccnz .LBB31_43
; %bb.42:
	s_wait_dscnt 0x0
	v_add_f64_e32 v[0:1], v[0:1], v[2:3]
	v_add_co_u32 v2, s0, s2, v8
	s_wait_alu 0xf1ff
	v_add_co_ci_u32_e64 v3, null, s3, 0, s0
	s_delay_alu instid0(VALU_DEP_1) | instskip(NEXT) | instid1(VALU_DEP_1)
	v_lshlrev_b64_e32 v[2:3], 3, v[2:3]
	v_add_co_u32 v2, vcc_lo, s14, v2
	s_wait_alu 0xfffd
	s_delay_alu instid0(VALU_DEP_2)
	v_add_co_ci_u32_e64 v3, null, s15, v3, vcc_lo
	global_store_b64 v[2:3], v[0:1], off offset:384
.LBB31_43:
	s_endpgm
	.section	.rodata,"a",@progbits
	.p2align	6, 0x0
	.amdhsa_kernel _ZN2at6native12_GLOBAL__N_135GammaBetaBackwardCUDAKernelTemplateIddLj64ELj8ELj64ELb0ELb1ELb0EEEvllPKT_S5_PKT0_S8_PS3_S9_
		.amdhsa_group_segment_fixed_size 0
		.amdhsa_private_segment_fixed_size 0
		.amdhsa_kernarg_size 320
		.amdhsa_user_sgpr_count 2
		.amdhsa_user_sgpr_dispatch_ptr 0
		.amdhsa_user_sgpr_queue_ptr 0
		.amdhsa_user_sgpr_kernarg_segment_ptr 1
		.amdhsa_user_sgpr_dispatch_id 0
		.amdhsa_user_sgpr_private_segment_size 0
		.amdhsa_wavefront_size32 1
		.amdhsa_uses_dynamic_stack 0
		.amdhsa_enable_private_segment 0
		.amdhsa_system_sgpr_workgroup_id_x 1
		.amdhsa_system_sgpr_workgroup_id_y 1
		.amdhsa_system_sgpr_workgroup_id_z 0
		.amdhsa_system_sgpr_workgroup_info 0
		.amdhsa_system_vgpr_workitem_id 1
		.amdhsa_next_free_vgpr 60
		.amdhsa_next_free_sgpr 27
		.amdhsa_reserve_vcc 1
		.amdhsa_float_round_mode_32 0
		.amdhsa_float_round_mode_16_64 0
		.amdhsa_float_denorm_mode_32 3
		.amdhsa_float_denorm_mode_16_64 3
		.amdhsa_fp16_overflow 0
		.amdhsa_workgroup_processor_mode 1
		.amdhsa_memory_ordered 1
		.amdhsa_forward_progress 1
		.amdhsa_inst_pref_size 27
		.amdhsa_round_robin_scheduling 0
		.amdhsa_exception_fp_ieee_invalid_op 0
		.amdhsa_exception_fp_denorm_src 0
		.amdhsa_exception_fp_ieee_div_zero 0
		.amdhsa_exception_fp_ieee_overflow 0
		.amdhsa_exception_fp_ieee_underflow 0
		.amdhsa_exception_fp_ieee_inexact 0
		.amdhsa_exception_int_div_zero 0
	.end_amdhsa_kernel
	.section	.text._ZN2at6native12_GLOBAL__N_135GammaBetaBackwardCUDAKernelTemplateIddLj64ELj8ELj64ELb0ELb1ELb0EEEvllPKT_S5_PKT0_S8_PS3_S9_,"axG",@progbits,_ZN2at6native12_GLOBAL__N_135GammaBetaBackwardCUDAKernelTemplateIddLj64ELj8ELj64ELb0ELb1ELb0EEEvllPKT_S5_PKT0_S8_PS3_S9_,comdat
.Lfunc_end31:
	.size	_ZN2at6native12_GLOBAL__N_135GammaBetaBackwardCUDAKernelTemplateIddLj64ELj8ELj64ELb0ELb1ELb0EEEvllPKT_S5_PKT0_S8_PS3_S9_, .Lfunc_end31-_ZN2at6native12_GLOBAL__N_135GammaBetaBackwardCUDAKernelTemplateIddLj64ELj8ELj64ELb0ELb1ELb0EEEvllPKT_S5_PKT0_S8_PS3_S9_
                                        ; -- End function
	.set _ZN2at6native12_GLOBAL__N_135GammaBetaBackwardCUDAKernelTemplateIddLj64ELj8ELj64ELb0ELb1ELb0EEEvllPKT_S5_PKT0_S8_PS3_S9_.num_vgpr, 60
	.set _ZN2at6native12_GLOBAL__N_135GammaBetaBackwardCUDAKernelTemplateIddLj64ELj8ELj64ELb0ELb1ELb0EEEvllPKT_S5_PKT0_S8_PS3_S9_.num_agpr, 0
	.set _ZN2at6native12_GLOBAL__N_135GammaBetaBackwardCUDAKernelTemplateIddLj64ELj8ELj64ELb0ELb1ELb0EEEvllPKT_S5_PKT0_S8_PS3_S9_.numbered_sgpr, 27
	.set _ZN2at6native12_GLOBAL__N_135GammaBetaBackwardCUDAKernelTemplateIddLj64ELj8ELj64ELb0ELb1ELb0EEEvllPKT_S5_PKT0_S8_PS3_S9_.num_named_barrier, 0
	.set _ZN2at6native12_GLOBAL__N_135GammaBetaBackwardCUDAKernelTemplateIddLj64ELj8ELj64ELb0ELb1ELb0EEEvllPKT_S5_PKT0_S8_PS3_S9_.private_seg_size, 0
	.set _ZN2at6native12_GLOBAL__N_135GammaBetaBackwardCUDAKernelTemplateIddLj64ELj8ELj64ELb0ELb1ELb0EEEvllPKT_S5_PKT0_S8_PS3_S9_.uses_vcc, 1
	.set _ZN2at6native12_GLOBAL__N_135GammaBetaBackwardCUDAKernelTemplateIddLj64ELj8ELj64ELb0ELb1ELb0EEEvllPKT_S5_PKT0_S8_PS3_S9_.uses_flat_scratch, 0
	.set _ZN2at6native12_GLOBAL__N_135GammaBetaBackwardCUDAKernelTemplateIddLj64ELj8ELj64ELb0ELb1ELb0EEEvllPKT_S5_PKT0_S8_PS3_S9_.has_dyn_sized_stack, 0
	.set _ZN2at6native12_GLOBAL__N_135GammaBetaBackwardCUDAKernelTemplateIddLj64ELj8ELj64ELb0ELb1ELb0EEEvllPKT_S5_PKT0_S8_PS3_S9_.has_recursion, 0
	.set _ZN2at6native12_GLOBAL__N_135GammaBetaBackwardCUDAKernelTemplateIddLj64ELj8ELj64ELb0ELb1ELb0EEEvllPKT_S5_PKT0_S8_PS3_S9_.has_indirect_call, 0
	.section	.AMDGPU.csdata,"",@progbits
; Kernel info:
; codeLenInByte = 3364
; TotalNumSgprs: 29
; NumVgprs: 60
; ScratchSize: 0
; MemoryBound: 0
; FloatMode: 240
; IeeeMode: 1
; LDSByteSize: 0 bytes/workgroup (compile time only)
; SGPRBlocks: 0
; VGPRBlocks: 7
; NumSGPRsForWavesPerEU: 29
; NumVGPRsForWavesPerEU: 60
; Occupancy: 16
; WaveLimiterHint : 0
; COMPUTE_PGM_RSRC2:SCRATCH_EN: 0
; COMPUTE_PGM_RSRC2:USER_SGPR: 2
; COMPUTE_PGM_RSRC2:TRAP_HANDLER: 0
; COMPUTE_PGM_RSRC2:TGID_X_EN: 1
; COMPUTE_PGM_RSRC2:TGID_Y_EN: 1
; COMPUTE_PGM_RSRC2:TGID_Z_EN: 0
; COMPUTE_PGM_RSRC2:TIDIG_COMP_CNT: 1
	.section	.text._ZN2at6native12_GLOBAL__N_135GammaBetaBackwardCUDAKernelTemplateIddLj64ELj8ELj64ELb0ELb0ELb0EEEvllPKT_S5_PKT0_S8_PS3_S9_,"axG",@progbits,_ZN2at6native12_GLOBAL__N_135GammaBetaBackwardCUDAKernelTemplateIddLj64ELj8ELj64ELb0ELb0ELb0EEEvllPKT_S5_PKT0_S8_PS3_S9_,comdat
	.globl	_ZN2at6native12_GLOBAL__N_135GammaBetaBackwardCUDAKernelTemplateIddLj64ELj8ELj64ELb0ELb0ELb0EEEvllPKT_S5_PKT0_S8_PS3_S9_ ; -- Begin function _ZN2at6native12_GLOBAL__N_135GammaBetaBackwardCUDAKernelTemplateIddLj64ELj8ELj64ELb0ELb0ELb0EEEvllPKT_S5_PKT0_S8_PS3_S9_
	.p2align	8
	.type	_ZN2at6native12_GLOBAL__N_135GammaBetaBackwardCUDAKernelTemplateIddLj64ELj8ELj64ELb0ELb0ELb0EEEvllPKT_S5_PKT0_S8_PS3_S9_,@function
_ZN2at6native12_GLOBAL__N_135GammaBetaBackwardCUDAKernelTemplateIddLj64ELj8ELj64ELb0ELb0ELb0EEEvllPKT_S5_PKT0_S8_PS3_S9_: ; @_ZN2at6native12_GLOBAL__N_135GammaBetaBackwardCUDAKernelTemplateIddLj64ELj8ELj64ELb0ELb0ELb0EEEvllPKT_S5_PKT0_S8_PS3_S9_
; %bb.0:
	s_clause 0x1
	s_load_b256 s[4:11], s[0:1], 0x0
	s_load_b128 s[12:15], s[0:1], 0x20
	s_lshl_b32 s30, ttmp9, 6
	s_mov_b32 s17, 0
	s_or_b32 s16, s30, 63
	s_wait_kmcnt 0x0
	v_cmp_le_i64_e64 s2, s[6:7], s[16:17]
	s_lshl_b32 s16, ttmp7, 6
	s_wait_alu 0xfffe
	v_cmp_gt_i64_e64 s31, s[4:5], s[16:17]
	s_and_b32 vcc_lo, exec_lo, s2
	v_cndmask_b32_e64 v1, 0, 1, s31
	s_delay_alu instid0(VALU_DEP_1)
	v_cmp_ne_u32_e64 s2, 1, v1
	s_cbranch_vccz .LBB32_48
; %bb.1:
	v_mov_b32_e32 v36, 0
	v_dual_mov_b32 v37, 0 :: v_dual_mov_b32 v34, 0
	v_mov_b32_e32 v35, 0
	s_and_b32 vcc_lo, exec_lo, s2
	s_cbranch_vccnz .LBB32_49
; %bb.2:
	v_bfe_u32 v44, v0, 10, 10
	v_dual_mov_b32 v1, 0 :: v_dual_and_b32 v46, 0x3ff, v0
	s_load_b32 s3, s[0:1], 0x44
	s_mov_b32 s19, 0
	s_delay_alu instid0(VALU_DEP_2) | instskip(NEXT) | instid1(VALU_DEP_2)
	v_dual_mov_b32 v34, 0 :: v_dual_lshlrev_b32 v45, 3, v44
	v_dual_mov_b32 v3, v1 :: v_dual_add_nc_u32 v2, s30, v46
	s_mov_b32 s23, s19
	s_delay_alu instid0(VALU_DEP_2) | instskip(NEXT) | instid1(VALU_DEP_1)
	v_add_co_u32 v10, s2, v45, s16
	v_add_co_ci_u32_e64 v11, null, 0, 0, s2
	s_delay_alu instid0(VALU_DEP_3) | instskip(NEXT) | instid1(VALU_DEP_3)
	v_cmp_gt_i64_e64 s2, s[6:7], v[2:3]
	v_mul_lo_u32 v6, s7, v10
	v_mad_co_u64_u32 v[4:5], null, s6, v10, 0
	s_delay_alu instid0(VALU_DEP_4) | instskip(SKIP_1) | instid1(VALU_DEP_1)
	v_mul_lo_u32 v7, s6, v11
	v_add_co_u32 v8, vcc_lo, v10, 7
	v_add_co_ci_u32_e64 v9, null, 0, v11, vcc_lo
	v_lshlrev_b64_e32 v[38:39], 3, v[2:3]
	s_delay_alu instid0(VALU_DEP_3)
	v_mul_lo_u32 v12, s7, v8
	s_wait_kmcnt 0x0
	s_lshl_b32 s22, s3, 6
	v_add3_u32 v5, v5, v7, v6
	v_mad_co_u64_u32 v[6:7], null, s6, v8, 0
	v_add_co_u32 v8, vcc_lo, v10, 6
	v_mul_lo_u32 v13, s6, v9
	s_wait_alu 0xfffd
	v_add_co_ci_u32_e64 v9, null, 0, v11, vcc_lo
	v_lshlrev_b64_e32 v[2:3], 3, v[4:5]
	v_mul_lo_u32 v14, s7, v8
	v_dual_mov_b32 v35, 0 :: v_dual_mov_b32 v36, 0
	s_delay_alu instid0(VALU_DEP_4)
	v_mul_lo_u32 v15, s6, v9
	v_mad_co_u64_u32 v[8:9], null, s6, v8, 0
	v_add_co_u32 v47, vcc_lo, s8, v2
	s_wait_alu 0xfffd
	v_add_co_ci_u32_e64 v48, null, s9, v3, vcc_lo
	v_add_co_u32 v49, vcc_lo, s10, v2
	v_add3_u32 v7, v7, v13, v12
	s_wait_alu 0xfffd
	v_add_co_ci_u32_e64 v50, null, s11, v3, vcc_lo
	v_add_co_u32 v12, vcc_lo, v10, 5
	v_add3_u32 v9, v9, v15, v14
	s_wait_alu 0xfffd
	v_add_co_ci_u32_e64 v13, null, 0, v11, vcc_lo
	v_lshlrev_b64_e32 v[2:3], 3, v[6:7]
	v_mul_lo_u32 v14, s7, v12
	v_lshlrev_b64_e32 v[6:7], 3, v[8:9]
	s_delay_alu instid0(VALU_DEP_4)
	v_mul_lo_u32 v13, s6, v13
	v_mad_co_u64_u32 v[8:9], null, s6, v12, 0
	v_add_co_u32 v51, vcc_lo, s8, v2
	s_wait_alu 0xfffd
	v_add_co_ci_u32_e64 v52, null, s9, v3, vcc_lo
	v_add_co_u32 v53, vcc_lo, s10, v2
	s_wait_alu 0xfffd
	v_add_co_ci_u32_e64 v54, null, s11, v3, vcc_lo
	v_add_co_u32 v55, vcc_lo, s8, v6
	v_add3_u32 v9, v9, v13, v14
	s_wait_alu 0xfffd
	v_add_co_ci_u32_e64 v56, null, s9, v7, vcc_lo
	v_add_co_u32 v12, vcc_lo, v10, 4
	v_add_co_u32 v57, s3, s10, v6
	s_wait_alu 0xfffd
	v_add_co_ci_u32_e64 v6, null, 0, v11, vcc_lo
	v_lshlrev_b64_e32 v[2:3], 3, v[8:9]
	v_add_co_u32 v8, vcc_lo, v10, 3
	s_wait_alu 0xfffd
	v_add_co_ci_u32_e64 v9, null, 0, v11, vcc_lo
	s_wait_alu 0xf1ff
	v_add_co_ci_u32_e64 v58, null, s11, v7, s3
	v_mul_lo_u32 v13, s7, v12
	v_mul_lo_u32 v14, s6, v6
	v_mad_co_u64_u32 v[6:7], null, s6, v12, 0
	v_mul_lo_u32 v12, s7, v8
	v_mul_lo_u32 v15, s6, v9
	v_mad_co_u64_u32 v[8:9], null, s6, v8, 0
	v_add_co_u32 v59, vcc_lo, s8, v2
	s_wait_alu 0xfffd
	v_add_co_ci_u32_e64 v60, null, s9, v3, vcc_lo
	v_add3_u32 v7, v7, v14, v13
	v_add_co_u32 v61, vcc_lo, s10, v2
	s_wait_alu 0xfffd
	v_add_co_ci_u32_e64 v62, null, s11, v3, vcc_lo
	v_add_co_u32 v10, vcc_lo, v10, 2
	v_add3_u32 v9, v9, v15, v12
	s_wait_alu 0xfffd
	v_add_co_ci_u32_e64 v11, null, 0, v11, vcc_lo
	v_lshlrev_b64_e32 v[2:3], 3, v[6:7]
	v_mul_lo_u32 v12, s7, v10
	v_lshlrev_b64_e32 v[6:7], 3, v[8:9]
	s_delay_alu instid0(VALU_DEP_4)
	v_mul_lo_u32 v11, s6, v11
	v_mad_co_u64_u32 v[8:9], null, s6, v10, 0
	v_add_co_u32 v63, vcc_lo, s8, v2
	s_wait_alu 0xfffd
	v_add_co_ci_u32_e64 v64, null, s9, v3, vcc_lo
	v_add_co_u32 v65, vcc_lo, s10, v2
	s_wait_alu 0xfffd
	v_add_co_ci_u32_e64 v66, null, s11, v3, vcc_lo
	;; [unrolled: 3-line block ×3, first 2 shown]
	v_add3_u32 v9, v9, v11, v12
	v_add_co_u32 v69, vcc_lo, s10, v6
	s_wait_alu 0xfffd
	v_add_co_ci_u32_e64 v70, null, s11, v7, vcc_lo
	v_add_co_u32 v4, vcc_lo, v4, s6
	s_wait_alu 0xfffd
	v_add_co_ci_u32_e64 v5, null, s7, v5, vcc_lo
	v_lshlrev_b64_e32 v[2:3], 3, v[8:9]
	v_mov_b32_e32 v37, 0
	s_mul_u64 s[24:25], s[6:7], s[22:23]
	s_delay_alu instid0(VALU_DEP_3)
	v_lshlrev_b64_e32 v[4:5], 3, v[4:5]
	s_add_nc_u64 s[20:21], s[0:1], 64
	s_lshl_b64 s[24:25], s[24:25], 3
	v_add_co_u32 v71, vcc_lo, s8, v2
	s_wait_alu 0xfffd
	v_add_co_ci_u32_e64 v72, null, s9, v3, vcc_lo
	v_add_co_u32 v73, vcc_lo, s10, v2
	s_wait_alu 0xfffd
	v_add_co_ci_u32_e64 v74, null, s11, v3, vcc_lo
	;; [unrolled: 3-line block ×4, first 2 shown]
	s_add_nc_u64 s[26:27], s[16:17], 63
	s_mov_b64 s[28:29], s[16:17]
	s_branch .LBB32_5
.LBB32_3:                               ;   in Loop: Header=BB32_5 Depth=1
	s_wait_alu 0xfffe
	s_or_b32 exec_lo, exec_lo, s3
	s_wait_loadcnt 0x1
	ds_bpermute_b32 v79, v1, v40
	ds_bpermute_b32 v80, v1, v41
	s_wait_loadcnt 0x0
	ds_bpermute_b32 v81, v1, v42
	ds_bpermute_b32 v82, v1, v43
	s_wait_dscnt 0x2
	v_add_f64_e64 v[18:19], v[18:19], -v[79:80]
	ds_bpermute_b32 v79, v1, v40 offset:4
	ds_bpermute_b32 v80, v1, v41 offset:4
	s_wait_dscnt 0x0
	v_add_f64_e64 v[20:21], v[20:21], -v[79:80]
	ds_bpermute_b32 v79, v1, v40 offset:8
	ds_bpermute_b32 v80, v1, v41 offset:8
	v_mul_f64_e32 v[18:19], v[2:3], v[18:19]
	v_add_f64_e32 v[2:3], v[36:37], v[2:3]
	ds_bpermute_b32 v36, v1, v42 offset:4
	ds_bpermute_b32 v37, v1, v43 offset:4
	s_wait_dscnt 0x2
	v_add_f64_e64 v[22:23], v[22:23], -v[79:80]
	v_mul_f64_e32 v[20:21], v[4:5], v[20:21]
	v_fma_f64 v[18:19], v[18:19], v[81:82], v[34:35]
	ds_bpermute_b32 v34, v1, v40 offset:12
	ds_bpermute_b32 v35, v1, v41 offset:12
	v_add_f64_e32 v[2:3], v[4:5], v[2:3]
	ds_bpermute_b32 v4, v1, v40 offset:16
	ds_bpermute_b32 v5, v1, v41 offset:16
	v_mul_f64_e32 v[22:23], v[6:7], v[22:23]
	s_wait_dscnt 0x2
	v_add_f64_e64 v[24:25], v[24:25], -v[34:35]
	s_wait_dscnt 0x0
	v_add_f64_e64 v[4:5], v[26:27], -v[4:5]
	v_fma_f64 v[18:19], v[20:21], v[36:37], v[18:19]
	ds_bpermute_b32 v20, v1, v42 offset:8
	ds_bpermute_b32 v21, v1, v43 offset:8
	v_add_f64_e32 v[2:3], v[6:7], v[2:3]
	ds_bpermute_b32 v6, v1, v40 offset:20
	ds_bpermute_b32 v7, v1, v41 offset:20
	v_mul_f64_e32 v[24:25], v[8:9], v[24:25]
	s_wait_dscnt 0x0
	v_add_f64_e64 v[6:7], v[28:29], -v[6:7]
	v_mul_f64_e32 v[4:5], v[10:11], v[4:5]
	v_fma_f64 v[18:19], v[22:23], v[20:21], v[18:19]
	ds_bpermute_b32 v20, v1, v42 offset:12
	ds_bpermute_b32 v21, v1, v43 offset:12
	v_add_f64_e32 v[2:3], v[8:9], v[2:3]
	ds_bpermute_b32 v8, v1, v40 offset:24
	ds_bpermute_b32 v9, v1, v41 offset:24
	s_wait_dscnt 0x0
	v_add_f64_e64 v[8:9], v[30:31], -v[8:9]
	v_mul_f64_e32 v[6:7], v[12:13], v[6:7]
	v_fma_f64 v[18:19], v[24:25], v[20:21], v[18:19]
	ds_bpermute_b32 v20, v1, v42 offset:16
	ds_bpermute_b32 v21, v1, v43 offset:16
	v_add_f64_e32 v[2:3], v[10:11], v[2:3]
	ds_bpermute_b32 v10, v1, v42 offset:20
	ds_bpermute_b32 v11, v1, v43 offset:20
	v_mul_f64_e32 v[8:9], v[14:15], v[8:9]
	s_wait_dscnt 0x2
	v_fma_f64 v[4:5], v[4:5], v[20:21], v[18:19]
	s_wait_dscnt 0x0
	s_delay_alu instid0(VALU_DEP_1)
	v_fma_f64 v[4:5], v[6:7], v[10:11], v[4:5]
	v_add_f64_e32 v[6:7], v[12:13], v[2:3]
	ds_bpermute_b32 v2, v1, v42 offset:24
	ds_bpermute_b32 v3, v1, v43 offset:24
	;; [unrolled: 1-line block ×4, first 2 shown]
	s_wait_dscnt 0x2
	v_fma_f64 v[2:3], v[8:9], v[2:3], v[4:5]
	v_add_f64_e32 v[4:5], v[14:15], v[6:7]
	ds_bpermute_b32 v6, v1, v40 offset:28
	ds_bpermute_b32 v7, v1, v41 offset:28
.LBB32_4:                               ;   in Loop: Header=BB32_5 Depth=1
	s_wait_dscnt 0x0
	v_add_f64_e64 v[6:7], v[32:33], -v[6:7]
	v_add_f64_e32 v[36:37], v[4:5], v[16:17]
	v_add_co_u32 v47, vcc_lo, v47, s24
	s_wait_alu 0xfffd
	v_add_co_ci_u32_e64 v48, null, s25, v48, vcc_lo
	v_add_co_u32 v49, vcc_lo, v49, s24
	s_wait_alu 0xfffd
	v_add_co_ci_u32_e64 v50, null, s25, v50, vcc_lo
	;; [unrolled: 3-line block ×9, first 2 shown]
	v_mul_f64_e32 v[6:7], v[16:17], v[6:7]
	v_add_co_u32 v65, vcc_lo, v65, s24
	s_wait_alu 0xfffd
	v_add_co_ci_u32_e64 v66, null, s25, v66, vcc_lo
	v_add_co_u32 v67, vcc_lo, v67, s24
	s_wait_alu 0xfffd
	v_add_co_ci_u32_e64 v68, null, s25, v68, vcc_lo
	v_add_co_u32 v69, vcc_lo, v69, s24
	s_wait_alu 0xfffd
	v_add_co_ci_u32_e64 v70, null, s25, v70, vcc_lo
	v_add_co_u32 v71, vcc_lo, v71, s24
	s_wait_alu 0xfffd
	v_add_co_ci_u32_e64 v72, null, s25, v72, vcc_lo
	v_add_co_u32 v73, vcc_lo, v73, s24
	s_add_nc_u64 s[28:29], s[28:29], s[22:23]
	s_wait_alu 0xfffd
	v_add_co_ci_u32_e64 v74, null, s25, v74, vcc_lo
	v_add_co_u32 v75, vcc_lo, v75, s24
	s_wait_alu 0xfffe
	v_cmp_lt_i64_e64 s3, s[28:29], s[4:5]
	s_wait_alu 0xfffd
	v_add_co_ci_u32_e64 v76, null, s25, v76, vcc_lo
	v_add_co_u32 v77, vcc_lo, v77, s24
	s_wait_alu 0xfffd
	v_add_co_ci_u32_e64 v78, null, s25, v78, vcc_lo
	s_and_b32 vcc_lo, exec_lo, s3
	s_add_nc_u64 s[26:27], s[26:27], s[22:23]
	v_fma_f64 v[34:35], v[6:7], v[42:43], v[2:3]
	s_wait_alu 0xfffe
	s_cbranch_vccz .LBB32_49
.LBB32_5:                               ; =>This Inner Loop Header: Depth=1
	v_cmp_ge_i64_e64 s3, s[26:27], s[4:5]
	v_add_co_u32 v79, s18, v45, s26
	s_wait_alu 0xf1ff
	v_add_co_ci_u32_e64 v80, null, 0, s27, s18
                                        ; implicit-def: $vgpr2_vgpr3_vgpr4_vgpr5_vgpr6_vgpr7_vgpr8_vgpr9_vgpr10_vgpr11_vgpr12_vgpr13_vgpr14_vgpr15_vgpr16_vgpr17
                                        ; implicit-def: $vgpr42_vgpr43
                                        ; implicit-def: $vgpr18_vgpr19_vgpr20_vgpr21_vgpr22_vgpr23_vgpr24_vgpr25_vgpr26_vgpr27_vgpr28_vgpr29_vgpr30_vgpr31_vgpr32_vgpr33
                                        ; implicit-def: $vgpr6
	s_and_b32 vcc_lo, exec_lo, s3
	s_mov_b32 s3, -1
                                        ; implicit-def: $vgpr4_vgpr5
                                        ; implicit-def: $vgpr2_vgpr3
	s_wait_alu 0xfffe
	s_cbranch_vccz .LBB32_27
; %bb.6:                                ;   in Loop: Header=BB32_5 Depth=1
	s_load_b32 s3, s[20:21], 0xc
	v_mov_b32_e32 v42, 0
	v_mov_b32_e32 v40, 0
	v_mov_b32_e32 v41, 0
	v_mov_b32_e32 v43, 0
	s_wait_kmcnt 0x0
	s_and_b32 s3, s3, 0xffff
	s_wait_alu 0xfffe
	v_mad_u32_u24 v2, v44, s3, v46
	s_mov_b32 s3, exec_lo
	s_delay_alu instid0(VALU_DEP_1) | instskip(NEXT) | instid1(VALU_DEP_1)
	v_and_b32_e32 v2, 31, v2
	v_cmpx_gt_u32_e32 8, v2
	s_cbranch_execz .LBB32_10
; %bb.7:                                ;   in Loop: Header=BB32_5 Depth=1
	v_add_co_u32 v2, vcc_lo, v79, v2
	s_wait_alu 0xfffd
	v_add_co_ci_u32_e64 v3, null, 0, v80, vcc_lo
	v_mov_b32_e32 v40, 0
	s_delay_alu instid0(VALU_DEP_3)
	v_add_co_u32 v2, vcc_lo, 0xffffffc1, v2
	v_dual_mov_b32 v41, 0 :: v_dual_mov_b32 v42, 0
	s_wait_alu 0xfffd
	v_add_co_ci_u32_e64 v3, null, -1, v3, vcc_lo
	v_mov_b32_e32 v43, 0
	s_mov_b32 s18, exec_lo
	s_delay_alu instid0(VALU_DEP_2)
	v_cmpx_gt_i64_e64 s[4:5], v[2:3]
	s_cbranch_execz .LBB32_9
; %bb.8:                                ;   in Loop: Header=BB32_5 Depth=1
	v_lshlrev_b64_e32 v[2:3], 3, v[2:3]
	s_delay_alu instid0(VALU_DEP_1) | instskip(SKIP_1) | instid1(VALU_DEP_2)
	v_add_co_u32 v4, vcc_lo, s12, v2
	s_wait_alu 0xfffd
	v_add_co_ci_u32_e64 v5, null, s13, v3, vcc_lo
	v_add_co_u32 v2, vcc_lo, s14, v2
	s_wait_alu 0xfffd
	v_add_co_ci_u32_e64 v3, null, s15, v3, vcc_lo
	global_load_b64 v[40:41], v[4:5], off
	global_load_b64 v[42:43], v[2:3], off
.LBB32_9:                               ;   in Loop: Header=BB32_5 Depth=1
	s_wait_alu 0xfffe
	s_or_b32 exec_lo, exec_lo, s18
.LBB32_10:                              ;   in Loop: Header=BB32_5 Depth=1
	s_wait_alu 0xfffe
	s_or_b32 exec_lo, exec_lo, s3
	v_add_co_u32 v17, vcc_lo, 0xffffffc1, v79
	s_wait_alu 0xfffd
	v_add_co_ci_u32_e64 v18, null, -1, v80, vcc_lo
	v_mov_b32_e32 v16, v1
	v_dual_mov_b32 v2, v1 :: v_dual_mov_b32 v3, v1
	v_dual_mov_b32 v4, v1 :: v_dual_mov_b32 v5, v1
	;; [unrolled: 1-line block ×7, first 2 shown]
	v_cmp_gt_i64_e32 vcc_lo, s[4:5], v[17:18]
	s_delay_alu instid0(VALU_DEP_3) | instskip(NEXT) | instid1(VALU_DEP_3)
	v_dual_mov_b32 v33, v16 :: v_dual_mov_b32 v30, v13
	v_dual_mov_b32 v31, v14 :: v_dual_mov_b32 v32, v15
	;; [unrolled: 1-line block ×8, first 2 shown]
	v_mov_b32_e32 v17, v16
	v_mov_b32_e32 v16, v15
	;; [unrolled: 1-line block ×16, first 2 shown]
	s_and_b32 s18, s2, vcc_lo
	s_wait_alu 0xfffe
	s_and_saveexec_b32 s3, s18
	s_cbranch_execz .LBB32_12
; %bb.11:                               ;   in Loop: Header=BB32_5 Depth=1
	v_add_co_u32 v2, vcc_lo, v47, v38
	s_wait_alu 0xfffd
	v_add_co_ci_u32_e64 v3, null, v48, v39, vcc_lo
	v_add_co_u32 v4, vcc_lo, v49, v38
	s_wait_alu 0xfffd
	v_add_co_ci_u32_e64 v5, null, v50, v39, vcc_lo
	global_load_b64 v[2:3], v[2:3], off
	global_load_b64 v[18:19], v[4:5], off
	v_dual_mov_b32 v4, v1 :: v_dual_mov_b32 v5, v1
	v_dual_mov_b32 v6, v1 :: v_dual_mov_b32 v7, v1
	;; [unrolled: 1-line block ×14, first 2 shown]
.LBB32_12:                              ;   in Loop: Header=BB32_5 Depth=1
	s_wait_alu 0xfffe
	s_or_b32 exec_lo, exec_lo, s3
	v_add_co_u32 v81, vcc_lo, 0xffffffc2, v79
	s_wait_alu 0xfffd
	v_add_co_ci_u32_e64 v82, null, -1, v80, vcc_lo
	s_delay_alu instid0(VALU_DEP_1)
	v_cmp_gt_i64_e32 vcc_lo, s[4:5], v[81:82]
	s_and_b32 s18, s2, vcc_lo
	s_wait_alu 0xfffe
	s_and_saveexec_b32 s3, s18
	s_cbranch_execz .LBB32_14
; %bb.13:                               ;   in Loop: Header=BB32_5 Depth=1
	v_add_co_u32 v4, vcc_lo, v75, v38
	s_wait_alu 0xfffd
	v_add_co_ci_u32_e64 v5, null, v76, v39, vcc_lo
	v_add_co_u32 v20, vcc_lo, v77, v38
	s_wait_alu 0xfffd
	v_add_co_ci_u32_e64 v21, null, v78, v39, vcc_lo
	global_load_b64 v[4:5], v[4:5], off
	global_load_b64 v[20:21], v[20:21], off
.LBB32_14:                              ;   in Loop: Header=BB32_5 Depth=1
	s_wait_alu 0xfffe
	s_or_b32 exec_lo, exec_lo, s3
	v_add_co_u32 v81, vcc_lo, 0xffffffc3, v79
	s_wait_alu 0xfffd
	v_add_co_ci_u32_e64 v82, null, -1, v80, vcc_lo
	s_delay_alu instid0(VALU_DEP_1)
	v_cmp_gt_i64_e32 vcc_lo, s[4:5], v[81:82]
	s_and_b32 s18, s2, vcc_lo
	s_wait_alu 0xfffe
	s_and_saveexec_b32 s3, s18
	s_cbranch_execz .LBB32_16
; %bb.15:                               ;   in Loop: Header=BB32_5 Depth=1
	v_add_co_u32 v6, vcc_lo, v71, v38
	s_wait_alu 0xfffd
	v_add_co_ci_u32_e64 v7, null, v72, v39, vcc_lo
	v_add_co_u32 v22, vcc_lo, v73, v38
	s_wait_alu 0xfffd
	v_add_co_ci_u32_e64 v23, null, v74, v39, vcc_lo
	global_load_b64 v[6:7], v[6:7], off
	global_load_b64 v[22:23], v[22:23], off
.LBB32_16:                              ;   in Loop: Header=BB32_5 Depth=1
	;; [unrolled: 21-line block ×7, first 2 shown]
	s_wait_alu 0xfffe
	s_or_b32 exec_lo, exec_lo, s3
	s_wait_loadcnt 0x1
	ds_bpermute_b32 v81, v1, v40
	ds_bpermute_b32 v82, v1, v41
	s_wait_loadcnt 0x0
	ds_bpermute_b32 v83, v1, v42
	ds_bpermute_b32 v84, v1, v43
	s_mov_b32 s3, 0
	s_wait_dscnt 0x2
	v_add_f64_e64 v[18:19], v[18:19], -v[81:82]
	ds_bpermute_b32 v81, v1, v40 offset:4
	ds_bpermute_b32 v82, v1, v41 offset:4
	s_wait_dscnt 0x0
	v_add_f64_e64 v[20:21], v[20:21], -v[81:82]
	ds_bpermute_b32 v81, v1, v40 offset:8
	ds_bpermute_b32 v82, v1, v41 offset:8
	v_mul_f64_e32 v[18:19], v[2:3], v[18:19]
	v_add_f64_e32 v[2:3], v[36:37], v[2:3]
	s_wait_dscnt 0x0
	v_add_f64_e64 v[22:23], v[22:23], -v[81:82]
	ds_bpermute_b32 v81, v1, v40 offset:12
	ds_bpermute_b32 v82, v1, v41 offset:12
	v_mul_f64_e32 v[20:21], v[4:5], v[20:21]
	s_wait_dscnt 0x0
	v_add_f64_e64 v[24:25], v[24:25], -v[81:82]
	v_fma_f64 v[18:19], v[18:19], v[83:84], v[34:35]
	ds_bpermute_b32 v83, v1, v42 offset:4
	ds_bpermute_b32 v84, v1, v43 offset:4
	v_add_f64_e32 v[2:3], v[4:5], v[2:3]
	ds_bpermute_b32 v4, v1, v40 offset:16
	ds_bpermute_b32 v5, v1, v41 offset:16
	v_mul_f64_e32 v[22:23], v[6:7], v[22:23]
	s_wait_dscnt 0x0
	v_add_f64_e64 v[4:5], v[26:27], -v[4:5]
	v_mul_f64_e32 v[24:25], v[8:9], v[24:25]
	v_fma_f64 v[18:19], v[20:21], v[83:84], v[18:19]
	ds_bpermute_b32 v20, v1, v42 offset:8
	ds_bpermute_b32 v21, v1, v43 offset:8
	v_add_f64_e32 v[2:3], v[6:7], v[2:3]
	ds_bpermute_b32 v6, v1, v40 offset:20
	ds_bpermute_b32 v7, v1, v41 offset:20
	s_wait_dscnt 0x0
	v_add_f64_e64 v[6:7], v[28:29], -v[6:7]
	v_mul_f64_e32 v[4:5], v[10:11], v[4:5]
	v_fma_f64 v[18:19], v[22:23], v[20:21], v[18:19]
	ds_bpermute_b32 v20, v1, v42 offset:12
	ds_bpermute_b32 v21, v1, v43 offset:12
	v_add_f64_e32 v[2:3], v[8:9], v[2:3]
	ds_bpermute_b32 v8, v1, v40 offset:24
	ds_bpermute_b32 v9, v1, v41 offset:24
	;; [unrolled: 9-line block ×3, first 2 shown]
	v_mul_f64_e32 v[8:9], v[14:15], v[8:9]
	s_wait_dscnt 0x2
	v_fma_f64 v[4:5], v[4:5], v[20:21], v[18:19]
	s_wait_dscnt 0x0
	s_delay_alu instid0(VALU_DEP_1)
	v_fma_f64 v[4:5], v[6:7], v[10:11], v[4:5]
	v_add_f64_e32 v[6:7], v[12:13], v[2:3]
	ds_bpermute_b32 v2, v1, v42 offset:24
	ds_bpermute_b32 v3, v1, v43 offset:24
	ds_bpermute_b32 v42, v1, v42 offset:28
	ds_bpermute_b32 v43, v1, v43 offset:28
	s_wait_dscnt 0x2
	v_fma_f64 v[2:3], v[8:9], v[2:3], v[4:5]
	v_add_f64_e32 v[4:5], v[14:15], v[6:7]
	ds_bpermute_b32 v6, v1, v40 offset:28
	ds_bpermute_b32 v7, v1, v41 offset:28
.LBB32_27:                              ;   in Loop: Header=BB32_5 Depth=1
	s_wait_alu 0xfffe
	s_and_b32 vcc_lo, exec_lo, s3
	s_wait_alu 0xfffe
	s_cbranch_vccz .LBB32_4
; %bb.28:                               ;   in Loop: Header=BB32_5 Depth=1
	s_load_b32 s3, s[20:21], 0x0
	s_wait_dscnt 0x2
	v_mov_b32_e32 v42, 0
	v_mov_b32_e32 v40, 0
	;; [unrolled: 1-line block ×4, first 2 shown]
	s_wait_kmcnt 0x0
	s_cmp_lt_u32 ttmp9, s3
	s_cselect_b32 s18, 12, 18
	s_wait_alu 0xfffe
	s_add_nc_u64 s[34:35], s[20:21], s[18:19]
	s_load_u16 s3, s[34:35], 0x0
	s_wait_kmcnt 0x0
	v_mad_u32_u24 v2, v44, s3, v46
	s_mov_b32 s3, exec_lo
	s_delay_alu instid0(VALU_DEP_1) | instskip(NEXT) | instid1(VALU_DEP_1)
	v_and_b32_e32 v2, 31, v2
	v_cmpx_gt_u32_e32 8, v2
	s_cbranch_execz .LBB32_32
; %bb.29:                               ;   in Loop: Header=BB32_5 Depth=1
	v_add_co_u32 v2, vcc_lo, v79, v2
	s_wait_alu 0xfffd
	v_add_co_ci_u32_e64 v3, null, 0, v80, vcc_lo
	v_mov_b32_e32 v40, 0
	s_delay_alu instid0(VALU_DEP_3)
	v_add_co_u32 v2, vcc_lo, 0xffffffc1, v2
	v_dual_mov_b32 v41, 0 :: v_dual_mov_b32 v42, 0
	s_wait_alu 0xfffd
	v_add_co_ci_u32_e64 v3, null, -1, v3, vcc_lo
	v_mov_b32_e32 v43, 0
	s_mov_b32 s18, exec_lo
	s_delay_alu instid0(VALU_DEP_2)
	v_cmpx_gt_i64_e64 s[4:5], v[2:3]
	s_cbranch_execz .LBB32_31
; %bb.30:                               ;   in Loop: Header=BB32_5 Depth=1
	v_lshlrev_b64_e32 v[2:3], 3, v[2:3]
	s_delay_alu instid0(VALU_DEP_1) | instskip(SKIP_1) | instid1(VALU_DEP_2)
	v_add_co_u32 v4, vcc_lo, s12, v2
	s_wait_alu 0xfffd
	v_add_co_ci_u32_e64 v5, null, s13, v3, vcc_lo
	v_add_co_u32 v2, vcc_lo, s14, v2
	s_wait_alu 0xfffd
	v_add_co_ci_u32_e64 v3, null, s15, v3, vcc_lo
	global_load_b64 v[40:41], v[4:5], off
	global_load_b64 v[42:43], v[2:3], off
.LBB32_31:                              ;   in Loop: Header=BB32_5 Depth=1
	s_wait_alu 0xfffe
	s_or_b32 exec_lo, exec_lo, s18
.LBB32_32:                              ;   in Loop: Header=BB32_5 Depth=1
	s_wait_alu 0xfffe
	s_or_b32 exec_lo, exec_lo, s3
	v_mov_b32_e32 v16, v1
	v_dual_mov_b32 v2, v1 :: v_dual_mov_b32 v3, v1
	v_dual_mov_b32 v4, v1 :: v_dual_mov_b32 v5, v1
	s_wait_dscnt 0x0
	v_dual_mov_b32 v6, v1 :: v_dual_mov_b32 v7, v1
	v_dual_mov_b32 v8, v1 :: v_dual_mov_b32 v9, v1
	;; [unrolled: 1-line block ×5, first 2 shown]
	v_mov_b32_e32 v33, v16
	s_delay_alu instid0(VALU_DEP_3) | instskip(NEXT) | instid1(VALU_DEP_3)
	v_dual_mov_b32 v29, v12 :: v_dual_mov_b32 v28, v11
	v_dual_mov_b32 v31, v14 :: v_dual_mov_b32 v30, v13
	s_delay_alu instid0(VALU_DEP_4)
	v_dual_mov_b32 v32, v15 :: v_dual_mov_b32 v27, v10
	v_dual_mov_b32 v26, v9 :: v_dual_mov_b32 v25, v8
	;; [unrolled: 1-line block ×6, first 2 shown]
	v_mov_b32_e32 v16, v15
	v_mov_b32_e32 v15, v14
	v_mov_b32_e32 v14, v13
	v_mov_b32_e32 v13, v12
	v_mov_b32_e32 v12, v11
	v_mov_b32_e32 v11, v10
	v_mov_b32_e32 v10, v9
	v_mov_b32_e32 v9, v8
	v_mov_b32_e32 v8, v7
	v_mov_b32_e32 v7, v6
	v_mov_b32_e32 v6, v5
	v_mov_b32_e32 v5, v4
	v_mov_b32_e32 v4, v3
	v_mov_b32_e32 v3, v2
	v_mov_b32_e32 v2, v1
	s_and_saveexec_b32 s3, s2
	s_cbranch_execnz .LBB32_40
; %bb.33:                               ;   in Loop: Header=BB32_5 Depth=1
	s_wait_alu 0xfffe
	s_or_b32 exec_lo, exec_lo, s3
	s_and_saveexec_b32 s3, s2
	s_cbranch_execnz .LBB32_41
.LBB32_34:                              ;   in Loop: Header=BB32_5 Depth=1
	s_wait_alu 0xfffe
	s_or_b32 exec_lo, exec_lo, s3
	s_and_saveexec_b32 s3, s2
	s_cbranch_execnz .LBB32_42
.LBB32_35:                              ;   in Loop: Header=BB32_5 Depth=1
	s_wait_alu 0xfffe
	s_or_b32 exec_lo, exec_lo, s3
	s_and_saveexec_b32 s3, s2
	s_cbranch_execnz .LBB32_43
.LBB32_36:                              ;   in Loop: Header=BB32_5 Depth=1
	s_wait_alu 0xfffe
	s_or_b32 exec_lo, exec_lo, s3
	s_and_saveexec_b32 s3, s2
	s_cbranch_execnz .LBB32_44
.LBB32_37:                              ;   in Loop: Header=BB32_5 Depth=1
	s_wait_alu 0xfffe
	s_or_b32 exec_lo, exec_lo, s3
	s_and_saveexec_b32 s3, s2
	s_cbranch_execnz .LBB32_45
.LBB32_38:                              ;   in Loop: Header=BB32_5 Depth=1
	s_wait_alu 0xfffe
	s_or_b32 exec_lo, exec_lo, s3
	s_and_saveexec_b32 s3, s2
	s_cbranch_execnz .LBB32_46
.LBB32_39:                              ;   in Loop: Header=BB32_5 Depth=1
	s_wait_alu 0xfffe
	s_or_b32 exec_lo, exec_lo, s3
	s_and_saveexec_b32 s3, s2
	s_cbranch_execz .LBB32_3
	s_branch .LBB32_47
.LBB32_40:                              ;   in Loop: Header=BB32_5 Depth=1
	v_add_co_u32 v2, vcc_lo, v47, v38
	s_wait_alu 0xfffd
	v_add_co_ci_u32_e64 v3, null, v48, v39, vcc_lo
	v_add_co_u32 v4, vcc_lo, v49, v38
	s_wait_alu 0xfffd
	v_add_co_ci_u32_e64 v5, null, v50, v39, vcc_lo
	global_load_b64 v[2:3], v[2:3], off
	global_load_b64 v[18:19], v[4:5], off
	v_dual_mov_b32 v4, v1 :: v_dual_mov_b32 v5, v1
	v_dual_mov_b32 v6, v1 :: v_dual_mov_b32 v7, v1
	;; [unrolled: 1-line block ×14, first 2 shown]
	s_wait_alu 0xfffe
	s_or_b32 exec_lo, exec_lo, s3
	s_and_saveexec_b32 s3, s2
	s_cbranch_execz .LBB32_34
.LBB32_41:                              ;   in Loop: Header=BB32_5 Depth=1
	v_add_co_u32 v4, vcc_lo, v75, v38
	s_wait_alu 0xfffd
	v_add_co_ci_u32_e64 v5, null, v76, v39, vcc_lo
	v_add_co_u32 v20, vcc_lo, v77, v38
	s_wait_alu 0xfffd
	v_add_co_ci_u32_e64 v21, null, v78, v39, vcc_lo
	global_load_b64 v[4:5], v[4:5], off
	global_load_b64 v[20:21], v[20:21], off
	s_wait_alu 0xfffe
	s_or_b32 exec_lo, exec_lo, s3
	s_and_saveexec_b32 s3, s2
	s_cbranch_execz .LBB32_35
.LBB32_42:                              ;   in Loop: Header=BB32_5 Depth=1
	v_add_co_u32 v6, vcc_lo, v71, v38
	s_wait_alu 0xfffd
	v_add_co_ci_u32_e64 v7, null, v72, v39, vcc_lo
	v_add_co_u32 v22, vcc_lo, v73, v38
	s_wait_alu 0xfffd
	v_add_co_ci_u32_e64 v23, null, v74, v39, vcc_lo
	global_load_b64 v[6:7], v[6:7], off
	global_load_b64 v[22:23], v[22:23], off
	s_wait_alu 0xfffe
	s_or_b32 exec_lo, exec_lo, s3
	s_and_saveexec_b32 s3, s2
	s_cbranch_execz .LBB32_36
.LBB32_43:                              ;   in Loop: Header=BB32_5 Depth=1
	v_add_co_u32 v8, vcc_lo, v67, v38
	s_wait_alu 0xfffd
	v_add_co_ci_u32_e64 v9, null, v68, v39, vcc_lo
	v_add_co_u32 v24, vcc_lo, v69, v38
	s_wait_alu 0xfffd
	v_add_co_ci_u32_e64 v25, null, v70, v39, vcc_lo
	global_load_b64 v[8:9], v[8:9], off
	global_load_b64 v[24:25], v[24:25], off
	s_wait_alu 0xfffe
	s_or_b32 exec_lo, exec_lo, s3
	s_and_saveexec_b32 s3, s2
	s_cbranch_execz .LBB32_37
.LBB32_44:                              ;   in Loop: Header=BB32_5 Depth=1
	v_add_co_u32 v10, vcc_lo, v63, v38
	s_wait_alu 0xfffd
	v_add_co_ci_u32_e64 v11, null, v64, v39, vcc_lo
	v_add_co_u32 v26, vcc_lo, v65, v38
	s_wait_alu 0xfffd
	v_add_co_ci_u32_e64 v27, null, v66, v39, vcc_lo
	global_load_b64 v[10:11], v[10:11], off
	global_load_b64 v[26:27], v[26:27], off
	s_wait_alu 0xfffe
	s_or_b32 exec_lo, exec_lo, s3
	s_and_saveexec_b32 s3, s2
	s_cbranch_execz .LBB32_38
.LBB32_45:                              ;   in Loop: Header=BB32_5 Depth=1
	v_add_co_u32 v12, vcc_lo, v59, v38
	s_wait_alu 0xfffd
	v_add_co_ci_u32_e64 v13, null, v60, v39, vcc_lo
	v_add_co_u32 v28, vcc_lo, v61, v38
	s_wait_alu 0xfffd
	v_add_co_ci_u32_e64 v29, null, v62, v39, vcc_lo
	global_load_b64 v[12:13], v[12:13], off
	global_load_b64 v[28:29], v[28:29], off
	s_wait_alu 0xfffe
	s_or_b32 exec_lo, exec_lo, s3
	s_and_saveexec_b32 s3, s2
	s_cbranch_execz .LBB32_39
.LBB32_46:                              ;   in Loop: Header=BB32_5 Depth=1
	v_add_co_u32 v14, vcc_lo, v55, v38
	s_wait_alu 0xfffd
	v_add_co_ci_u32_e64 v15, null, v56, v39, vcc_lo
	v_add_co_u32 v30, vcc_lo, v57, v38
	s_wait_alu 0xfffd
	v_add_co_ci_u32_e64 v31, null, v58, v39, vcc_lo
	global_load_b64 v[14:15], v[14:15], off
	global_load_b64 v[30:31], v[30:31], off
	s_wait_alu 0xfffe
	s_or_b32 exec_lo, exec_lo, s3
	s_and_saveexec_b32 s3, s2
	s_cbranch_execz .LBB32_3
.LBB32_47:                              ;   in Loop: Header=BB32_5 Depth=1
	v_add_co_u32 v16, vcc_lo, v51, v38
	s_wait_alu 0xfffd
	v_add_co_ci_u32_e64 v17, null, v52, v39, vcc_lo
	v_add_co_u32 v32, vcc_lo, v53, v38
	s_wait_alu 0xfffd
	v_add_co_ci_u32_e64 v33, null, v54, v39, vcc_lo
	global_load_b64 v[16:17], v[16:17], off
	global_load_b64 v[32:33], v[32:33], off
	s_branch .LBB32_3
.LBB32_48:
                                        ; implicit-def: $vgpr36_vgpr37
                                        ; implicit-def: $vgpr34_vgpr35
	s_branch .LBB32_50
.LBB32_49:
	s_cbranch_execnz .LBB32_81
.LBB32_50:
	v_mov_b32_e32 v36, 0
	v_dual_mov_b32 v37, 0 :: v_dual_mov_b32 v34, 0
	v_mov_b32_e32 v35, 0
	s_and_not1_b32 vcc_lo, exec_lo, s31
	s_wait_alu 0xfffe
	s_cbranch_vccnz .LBB32_81
; %bb.51:
	v_bfe_u32 v72, v0, 10, 10
	v_dual_mov_b32 v1, 0 :: v_dual_and_b32 v74, 0x3ff, v0
	s_lshl_b64 s[20:21], s[16:17], 3
	s_mov_b32 s3, 0
	s_delay_alu instid0(VALU_DEP_2) | instskip(SKIP_2) | instid1(VALU_DEP_3)
	v_dual_mov_b32 v34, 0 :: v_dual_lshlrev_b32 v73, 3, v72
	v_dual_mov_b32 v35, 0 :: v_dual_lshlrev_b32 v8, 6, v72
	v_dual_mov_b32 v5, v1 :: v_dual_add_nc_u32 v4, s30, v74
	v_add_co_u32 v10, s2, v73, s16
	s_wait_alu 0xf1ff
	v_add_co_ci_u32_e64 v11, null, 0, 0, s2
	s_delay_alu instid0(VALU_DEP_3) | instskip(NEXT) | instid1(VALU_DEP_3)
	v_lshlrev_b64_e32 v[38:39], 3, v[4:5]
	v_mul_lo_u32 v6, s7, v10
	v_mad_co_u64_u32 v[2:3], null, s6, v10, 0
	s_delay_alu instid0(VALU_DEP_4) | instskip(SKIP_4) | instid1(VALU_DEP_3)
	v_mul_lo_u32 v7, s6, v11
	s_load_b32 s2, s[0:1], 0x44
	s_mov_b32 s19, s3
	v_mov_b32_e32 v36, 0
	v_mov_b32_e32 v37, 0
	v_add3_u32 v3, v3, v7, v6
	v_add_co_u32 v6, s18, v8, s20
	s_wait_alu 0xf1ff
	v_add_co_ci_u32_e64 v7, null, 0, s21, s18
	s_delay_alu instid0(VALU_DEP_3) | instskip(NEXT) | instid1(VALU_DEP_3)
	v_lshlrev_b64_e32 v[4:5], 3, v[2:3]
	v_add_co_u32 v8, vcc_lo, v6, 8
	s_wait_alu 0xfffd
	s_delay_alu instid0(VALU_DEP_3) | instskip(NEXT) | instid1(VALU_DEP_3)
	v_add_co_ci_u32_e64 v9, null, 0, v7, vcc_lo
	v_add_co_u32 v75, vcc_lo, s8, v4
	s_wait_alu 0xfffd
	v_add_co_ci_u32_e64 v76, null, s9, v5, vcc_lo
	v_add_co_u32 v77, vcc_lo, s10, v4
	s_wait_alu 0xfffd
	;; [unrolled: 3-line block ×5, first 2 shown]
	v_add_co_ci_u32_e64 v18, null, 0, v7, vcc_lo
	v_add_co_u32 v19, vcc_lo, v6, 40
	v_mad_co_u64_u32 v[42:43], null, s6, v4, s[8:9]
	v_mul_lo_u32 v5, s6, v5
	v_mul_lo_u32 v15, s7, v4
	v_mad_co_u64_u32 v[56:57], null, s6, v4, s[10:11]
	s_wait_alu 0xfffd
	v_add_co_ci_u32_e64 v20, null, 0, v7, vcc_lo
	v_add_co_u32 v22, vcc_lo, v6, 48
	s_wait_alu 0xfffd
	v_add_co_ci_u32_e64 v24, null, 0, v7, vcc_lo
	v_add_co_u32 v6, vcc_lo, v6, 56
	v_mad_co_u64_u32 v[40:41], null, s6, v8, s[8:9]
	v_mul_lo_u32 v9, s6, v9
	v_mul_lo_u32 v12, s7, v8
	v_mad_co_u64_u32 v[54:55], null, s6, v8, s[10:11]
	s_wait_alu 0xfffd
	v_add_co_ci_u32_e64 v7, null, 0, v7, vcc_lo
	v_add_co_u32 v4, vcc_lo, v10, 7
	v_add3_u32 v43, v15, v43, v5
	v_add3_u32 v57, v15, v57, v5
	s_wait_alu 0xfffd
	v_add_co_ci_u32_e64 v5, null, 0, v11, vcc_lo
	v_mul_lo_u32 v26, s6, v7
	v_add_co_u32 v7, vcc_lo, v10, 6
	v_add3_u32 v41, v12, v41, v9
	v_add3_u32 v55, v12, v55, v9
	s_wait_alu 0xfffd
	v_add_co_ci_u32_e64 v12, null, 0, v11, vcc_lo
	v_mul_lo_u32 v8, s7, v4
	v_mul_lo_u32 v9, s6, v5
	v_mad_co_u64_u32 v[4:5], null, s6, v4, 0
	v_mad_co_u64_u32 v[44:45], null, s6, v13, s[8:9]
	v_mul_lo_u32 v17, s7, v13
	v_mad_co_u64_u32 v[52:53], null, s6, v6, s[8:9]
	v_mul_lo_u32 v27, s7, v6
	v_mad_co_u64_u32 v[58:59], null, s6, v13, s[10:11]
	v_mad_co_u64_u32 v[66:67], null, s6, v6, s[10:11]
	v_mul_lo_u32 v13, s7, v7
	v_mul_lo_u32 v12, s6, v12
	v_mad_co_u64_u32 v[6:7], null, s6, v7, 0
	v_add3_u32 v5, v5, v9, v8
	v_add_co_u32 v8, vcc_lo, v10, 5
	s_wait_alu 0xfffd
	v_add_co_ci_u32_e64 v9, null, 0, v11, vcc_lo
	s_delay_alu instid0(VALU_DEP_3) | instskip(SKIP_2) | instid1(VALU_DEP_4)
	v_lshlrev_b64_e32 v[4:5], 3, v[4:5]
	v_add3_u32 v7, v7, v12, v13
	v_mul_lo_u32 v12, s7, v8
	v_mul_lo_u32 v13, s6, v9
	v_mad_co_u64_u32 v[8:9], null, s6, v8, 0
	s_delay_alu instid0(VALU_DEP_4)
	v_lshlrev_b64_e32 v[6:7], 3, v[6:7]
	v_add_co_u32 v79, vcc_lo, s8, v4
	s_wait_alu 0xfffd
	v_add_co_ci_u32_e64 v80, null, s9, v5, vcc_lo
	v_add_co_u32 v81, vcc_lo, s10, v4
	s_wait_alu 0xfffd
	v_add_co_ci_u32_e64 v82, null, s11, v5, vcc_lo
	v_add_co_u32 v83, vcc_lo, s8, v6
	v_mul_lo_u32 v14, s6, v14
	v_add3_u32 v9, v9, v13, v12
	s_wait_alu 0xfffd
	v_add_co_ci_u32_e64 v84, null, s9, v7, vcc_lo
	v_add_co_u32 v12, vcc_lo, v10, 4
	s_wait_kmcnt 0x0
	s_lshl_b32 s18, s2, 6
	v_add_co_u32 v85, s2, s10, v6
	s_wait_alu 0xfffd
	v_add_co_ci_u32_e64 v6, null, 0, v11, vcc_lo
	v_lshlrev_b64_e32 v[4:5], 3, v[8:9]
	v_add_co_u32 v8, vcc_lo, v10, 3
	s_wait_alu 0xfffd
	v_add_co_ci_u32_e64 v9, null, 0, v11, vcc_lo
	v_add3_u32 v45, v17, v45, v14
	v_add3_u32 v59, v17, v59, v14
	s_wait_alu 0xf1ff
	v_add_co_ci_u32_e64 v86, null, s11, v7, s2
	v_mul_lo_u32 v13, s7, v12
	v_mul_lo_u32 v14, s6, v6
	v_mad_co_u64_u32 v[6:7], null, s6, v12, 0
	v_mul_lo_u32 v12, s7, v8
	v_mul_lo_u32 v15, s6, v9
	v_mad_co_u64_u32 v[8:9], null, s6, v8, 0
	v_add_co_u32 v87, vcc_lo, s8, v4
	s_wait_alu 0xfffd
	v_add_co_ci_u32_e64 v88, null, s9, v5, vcc_lo
	v_add3_u32 v7, v7, v14, v13
	v_add_co_u32 v89, vcc_lo, s10, v4
	s_wait_alu 0xfffd
	v_add_co_ci_u32_e64 v90, null, s11, v5, vcc_lo
	v_add_co_u32 v10, vcc_lo, v10, 2
	v_add3_u32 v9, v9, v15, v12
	s_wait_alu 0xfffd
	v_add_co_ci_u32_e64 v11, null, 0, v11, vcc_lo
	v_lshlrev_b64_e32 v[4:5], 3, v[6:7]
	v_mul_lo_u32 v12, s7, v10
	v_lshlrev_b64_e32 v[6:7], 3, v[8:9]
	s_delay_alu instid0(VALU_DEP_4)
	v_mul_lo_u32 v11, s6, v11
	v_mad_co_u64_u32 v[8:9], null, s6, v10, 0
	v_add_co_u32 v91, vcc_lo, s8, v4
	s_wait_alu 0xfffd
	v_add_co_ci_u32_e64 v92, null, s9, v5, vcc_lo
	v_add_co_u32 v93, vcc_lo, s10, v4
	s_wait_alu 0xfffd
	v_add_co_ci_u32_e64 v94, null, s11, v5, vcc_lo
	;; [unrolled: 3-line block ×3, first 2 shown]
	v_add3_u32 v9, v9, v11, v12
	v_add_co_u32 v97, vcc_lo, s10, v6
	s_wait_alu 0xfffd
	v_add_co_ci_u32_e64 v98, null, s11, v7, vcc_lo
	v_add_co_u32 v2, vcc_lo, v2, s6
	s_wait_alu 0xfffd
	v_add_co_ci_u32_e64 v3, null, s7, v3, vcc_lo
	v_lshlrev_b64_e32 v[4:5], 3, v[8:9]
	v_mad_co_u64_u32 v[46:47], null, s6, v16, s[8:9]
	s_delay_alu instid0(VALU_DEP_3)
	v_lshlrev_b64_e32 v[2:3], 3, v[2:3]
	v_mul_lo_u32 v18, s6, v18
	v_mul_lo_u32 v21, s7, v16
	v_mad_co_u64_u32 v[48:49], null, s6, v19, s[8:9]
	v_mul_lo_u32 v20, s6, v20
	v_mul_lo_u32 v23, s7, v19
	v_mad_co_u64_u32 v[50:51], null, s6, v22, s[8:9]
	;; [unrolled: 3-line block ×3, first 2 shown]
	v_mad_co_u64_u32 v[62:63], null, s6, v19, s[10:11]
	v_mad_co_u64_u32 v[64:65], null, s6, v22, s[10:11]
	v_add_co_u32 v99, vcc_lo, s8, v4
	s_wait_alu 0xfffd
	v_add_co_ci_u32_e64 v100, null, s9, v5, vcc_lo
	v_add_co_u32 v101, vcc_lo, s10, v4
	s_wait_alu 0xfffd
	v_add_co_ci_u32_e64 v102, null, s11, v5, vcc_lo
	;; [unrolled: 3-line block ×3, first 2 shown]
	v_add_co_u32 v105, vcc_lo, s10, v2
	v_add3_u32 v47, v21, v47, v18
	v_add3_u32 v49, v23, v49, v20
	;; [unrolled: 1-line block ×8, first 2 shown]
	s_wait_alu 0xfffd
	v_add_co_ci_u32_e64 v106, null, s11, v3, vcc_lo
	s_wait_alu 0xfffe
	s_mul_u64 s[20:21], s[6:7], s[18:19]
	s_add_nc_u64 s[8:9], s[0:1], 64
	s_wait_alu 0xfffe
	s_lshl_b64 s[10:11], s[20:21], 3
	s_add_nc_u64 s[20:21], s[16:17], 63
	s_branch .LBB32_55
.LBB32_52:                              ;   in Loop: Header=BB32_55 Depth=1
	s_wait_alu 0xfffe
	s_or_b32 exec_lo, exec_lo, s22
.LBB32_53:                              ;   in Loop: Header=BB32_55 Depth=1
	s_wait_alu 0xfffe
	s_or_b32 exec_lo, exec_lo, s2
	v_add_co_u32 v6, vcc_lo, v77, v38
	s_wait_alu 0xfffd
	v_add_co_ci_u32_e64 v7, null, v78, v39, vcc_lo
	v_add_co_u32 v8, vcc_lo, v54, v38
	s_wait_alu 0xfffd
	v_add_co_ci_u32_e64 v9, null, v55, v39, vcc_lo
	global_load_b64 v[6:7], v[6:7], off
	v_add_co_u32 v10, vcc_lo, v75, v38
	s_wait_alu 0xfffd
	v_add_co_ci_u32_e64 v11, null, v76, v39, vcc_lo
	global_load_b64 v[8:9], v[8:9], off
	global_load_b64 v[10:11], v[10:11], off
	v_add_co_u32 v12, vcc_lo, v56, v38
	s_wait_alu 0xfffd
	v_add_co_ci_u32_e64 v13, null, v57, v39, vcc_lo
	v_add_co_u32 v14, vcc_lo, v40, v38
	s_wait_alu 0xfffd
	v_add_co_ci_u32_e64 v15, null, v41, v39, vcc_lo
	global_load_b64 v[12:13], v[12:13], off
	global_load_b64 v[14:15], v[14:15], off
	v_add_co_u32 v16, vcc_lo, v58, v38
	s_wait_alu 0xfffd
	v_add_co_ci_u32_e64 v17, null, v59, v39, vcc_lo
	;; [unrolled: 8-line block ×5, first 2 shown]
	v_add_co_u32 v30, vcc_lo, v64, v38
	s_wait_alu 0xfffd
	v_add_co_ci_u32_e64 v31, null, v65, v39, vcc_lo
	v_add_co_u32 v32, vcc_lo, v66, v38
	s_wait_alu 0xfffd
	v_add_co_ci_u32_e64 v33, null, v67, v39, vcc_lo
	global_load_b64 v[30:31], v[30:31], off
	global_load_b64 v[68:69], v[16:17], off
	;; [unrolled: 1-line block ×3, first 2 shown]
	v_add_co_u32 v16, vcc_lo, v50, v38
	s_wait_alu 0xfffd
	v_add_co_ci_u32_e64 v17, null, v51, v39, vcc_lo
	v_add_co_u32 v70, vcc_lo, v52, v38
	s_wait_alu 0xfffd
	v_add_co_ci_u32_e64 v71, null, v53, v39, vcc_lo
	global_load_b64 v[107:108], v[16:17], off
	global_load_b64 v[16:17], v[70:71], off
	s_wait_loadcnt 0x11
	ds_bpermute_b32 v70, v1, v4
	ds_bpermute_b32 v71, v1, v5
	s_wait_loadcnt 0x10
	ds_bpermute_b32 v109, v1, v2
	ds_bpermute_b32 v110, v1, v3
	s_wait_loadcnt_dscnt 0xf02
	v_add_f64_e64 v[6:7], v[6:7], -v[70:71]
	ds_bpermute_b32 v70, v1, v4 offset:4
	ds_bpermute_b32 v71, v1, v5 offset:4
	s_wait_loadcnt_dscnt 0xe00
	v_add_f64_e64 v[8:9], v[8:9], -v[70:71]
	ds_bpermute_b32 v70, v1, v4 offset:8
	ds_bpermute_b32 v71, v1, v5 offset:8
	s_wait_loadcnt 0xd
	v_mul_f64_e32 v[6:7], v[10:11], v[6:7]
	v_add_f64_e32 v[10:11], v[36:37], v[10:11]
	ds_bpermute_b32 v36, v1, v2 offset:4
	ds_bpermute_b32 v37, v1, v3 offset:4
	s_wait_loadcnt_dscnt 0xc02
	v_add_f64_e64 v[12:13], v[12:13], -v[70:71]
	s_wait_loadcnt 0xb
	v_mul_f64_e32 v[8:9], v[14:15], v[8:9]
	v_fma_f64 v[6:7], v[6:7], v[109:110], v[34:35]
	ds_bpermute_b32 v34, v1, v4 offset:12
	ds_bpermute_b32 v35, v1, v5 offset:12
	v_add_f64_e32 v[10:11], v[10:11], v[14:15]
	ds_bpermute_b32 v14, v1, v2 offset:8
	ds_bpermute_b32 v15, v1, v3 offset:8
	s_wait_loadcnt 0x9
	v_mul_f64_e32 v[12:13], v[18:19], v[12:13]
	s_wait_dscnt 0x2
	v_add_f64_e64 v[20:21], v[20:21], -v[34:35]
	v_fma_f64 v[6:7], v[8:9], v[36:37], v[6:7]
	ds_bpermute_b32 v8, v1, v4 offset:16
	ds_bpermute_b32 v9, v1, v5 offset:16
	v_add_f64_e32 v[10:11], v[10:11], v[18:19]
	ds_bpermute_b32 v18, v1, v2 offset:16
	ds_bpermute_b32 v19, v1, v3 offset:16
	s_wait_loadcnt_dscnt 0x802
	v_add_f64_e64 v[8:9], v[24:25], -v[8:9]
	s_wait_loadcnt 0x7
	v_mul_f64_e32 v[20:21], v[22:23], v[20:21]
	v_fma_f64 v[6:7], v[12:13], v[14:15], v[6:7]
	ds_bpermute_b32 v12, v1, v4 offset:20
	ds_bpermute_b32 v13, v1, v5 offset:20
	;; [unrolled: 1-line block ×4, first 2 shown]
	v_add_f64_e32 v[10:11], v[10:11], v[22:23]
	s_wait_loadcnt_dscnt 0x602
	v_add_f64_e64 v[12:13], v[28:29], -v[12:13]
	s_wait_loadcnt 0x5
	v_mul_f64_e32 v[8:9], v[26:27], v[8:9]
	s_wait_dscnt 0x0
	v_fma_f64 v[6:7], v[20:21], v[14:15], v[6:7]
	ds_bpermute_b32 v14, v1, v4 offset:24
	ds_bpermute_b32 v15, v1, v5 offset:24
	ds_bpermute_b32 v4, v1, v4 offset:28
	ds_bpermute_b32 v5, v1, v5 offset:28
	v_add_f64_e32 v[10:11], v[10:11], v[26:27]
	s_wait_loadcnt_dscnt 0x402
	v_add_f64_e64 v[14:15], v[30:31], -v[14:15]
	s_wait_loadcnt 0x3
	v_mul_f64_e32 v[12:13], v[68:69], v[12:13]
	s_wait_loadcnt_dscnt 0x200
	v_add_f64_e64 v[4:5], v[32:33], -v[4:5]
	v_fma_f64 v[6:7], v[8:9], v[18:19], v[6:7]
	ds_bpermute_b32 v8, v1, v2 offset:20
	ds_bpermute_b32 v9, v1, v3 offset:20
	v_add_f64_e32 v[10:11], v[10:11], v[68:69]
	s_wait_loadcnt 0x1
	v_mul_f64_e32 v[14:15], v[107:108], v[14:15]
	s_wait_loadcnt 0x0
	v_mul_f64_e32 v[4:5], v[16:17], v[4:5]
	s_wait_dscnt 0x0
	v_fma_f64 v[6:7], v[12:13], v[8:9], v[6:7]
	ds_bpermute_b32 v8, v1, v2 offset:24
	ds_bpermute_b32 v9, v1, v3 offset:24
	;; [unrolled: 1-line block ×4, first 2 shown]
	v_add_f64_e32 v[2:3], v[10:11], v[107:108]
	s_wait_dscnt 0x0
	v_mul_f64_e32 v[4:5], v[4:5], v[12:13]
	v_fma_f64 v[6:7], v[14:15], v[8:9], v[6:7]
.LBB32_54:                              ;   in Loop: Header=BB32_55 Depth=1
	v_add_co_u32 v75, vcc_lo, v75, s10
	s_wait_alu 0xfffd
	v_add_co_ci_u32_e64 v76, null, s11, v76, vcc_lo
	v_add_co_u32 v77, vcc_lo, v77, s10
	s_wait_alu 0xfffd
	v_add_co_ci_u32_e64 v78, null, s11, v78, vcc_lo
	;; [unrolled: 3-line block ×13, first 2 shown]
	v_add_co_u32 v62, vcc_lo, v62, s10
	v_add_f64_e32 v[34:35], v[6:7], v[4:5]
	v_add_f64_e32 v[36:37], v[2:3], v[16:17]
	s_wait_alu 0xfffd
	v_add_co_ci_u32_e64 v63, null, s11, v63, vcc_lo
	v_add_co_u32 v64, vcc_lo, v64, s10
	s_wait_alu 0xfffd
	v_add_co_ci_u32_e64 v65, null, s11, v65, vcc_lo
	v_add_co_u32 v66, vcc_lo, v66, s10
	;; [unrolled: 3-line block ×14, first 2 shown]
	s_add_nc_u64 s[16:17], s[16:17], s[18:19]
	s_wait_alu 0xfffd
	v_add_co_ci_u32_e64 v102, null, s11, v102, vcc_lo
	v_add_co_u32 v103, vcc_lo, v103, s10
	s_wait_alu 0xfffe
	v_cmp_ge_i64_e64 s2, s[16:17], s[4:5]
	s_wait_alu 0xfffd
	v_add_co_ci_u32_e64 v104, null, s11, v104, vcc_lo
	v_add_co_u32 v105, vcc_lo, v105, s10
	s_wait_alu 0xfffd
	v_add_co_ci_u32_e64 v106, null, s11, v106, vcc_lo
	s_and_b32 vcc_lo, exec_lo, s2
	s_add_nc_u64 s[20:21], s[20:21], s[18:19]
	s_wait_alu 0xfffe
	s_cbranch_vccnz .LBB32_81
.LBB32_55:                              ; =>This Inner Loop Header: Depth=1
	s_wait_alu 0xfffe
	v_cmp_ge_i64_e64 s2, s[20:21], s[4:5]
	v_add_co_u32 v107, s22, v73, s20
	s_wait_alu 0xf1ff
	v_add_co_ci_u32_e64 v108, null, 0, s21, s22
                                        ; implicit-def: $vgpr16_vgpr17
                                        ; implicit-def: $vgpr4_vgpr5
                                        ; implicit-def: $vgpr2_vgpr3
                                        ; implicit-def: $vgpr6_vgpr7
	s_and_b32 vcc_lo, exec_lo, s2
	s_mov_b32 s2, -1
	s_wait_alu 0xfffe
	s_cbranch_vccz .LBB32_77
; %bb.56:                               ;   in Loop: Header=BB32_55 Depth=1
	s_load_b32 s2, s[8:9], 0xc
	v_mov_b32_e32 v68, 0
	v_mov_b32_e32 v70, 0
	;; [unrolled: 1-line block ×4, first 2 shown]
	s_wait_kmcnt 0x0
	s_and_b32 s2, s2, 0xffff
	s_wait_alu 0xfffe
	v_mad_u32_u24 v2, v72, s2, v74
	s_mov_b32 s2, exec_lo
	s_delay_alu instid0(VALU_DEP_1) | instskip(NEXT) | instid1(VALU_DEP_1)
	v_and_b32_e32 v2, 31, v2
	v_cmpx_gt_u32_e32 8, v2
	s_cbranch_execz .LBB32_60
; %bb.57:                               ;   in Loop: Header=BB32_55 Depth=1
	v_add_co_u32 v2, vcc_lo, v107, v2
	s_wait_alu 0xfffd
	v_add_co_ci_u32_e64 v3, null, 0, v108, vcc_lo
	v_mov_b32_e32 v70, 0
	s_delay_alu instid0(VALU_DEP_3)
	v_add_co_u32 v2, vcc_lo, 0xffffffc1, v2
	v_dual_mov_b32 v71, 0 :: v_dual_mov_b32 v68, 0
	s_wait_alu 0xfffd
	v_add_co_ci_u32_e64 v3, null, -1, v3, vcc_lo
	v_mov_b32_e32 v69, 0
	s_mov_b32 s22, exec_lo
	s_delay_alu instid0(VALU_DEP_2)
	v_cmpx_gt_i64_e64 s[4:5], v[2:3]
	s_cbranch_execz .LBB32_59
; %bb.58:                               ;   in Loop: Header=BB32_55 Depth=1
	v_lshlrev_b64_e32 v[2:3], 3, v[2:3]
	s_delay_alu instid0(VALU_DEP_1) | instskip(SKIP_1) | instid1(VALU_DEP_2)
	v_add_co_u32 v4, vcc_lo, s12, v2
	s_wait_alu 0xfffd
	v_add_co_ci_u32_e64 v5, null, s13, v3, vcc_lo
	v_add_co_u32 v2, vcc_lo, s14, v2
	s_wait_alu 0xfffd
	v_add_co_ci_u32_e64 v3, null, s15, v3, vcc_lo
	global_load_b64 v[70:71], v[4:5], off
	global_load_b64 v[68:69], v[2:3], off
.LBB32_59:                              ;   in Loop: Header=BB32_55 Depth=1
	s_wait_alu 0xfffe
	s_or_b32 exec_lo, exec_lo, s22
.LBB32_60:                              ;   in Loop: Header=BB32_55 Depth=1
	s_wait_alu 0xfffe
	s_or_b32 exec_lo, exec_lo, s2
	v_add_co_u32 v17, vcc_lo, 0xffffffc1, v107
	s_wait_alu 0xfffd
	v_add_co_ci_u32_e64 v18, null, -1, v108, vcc_lo
	v_mov_b32_e32 v16, v1
	v_dual_mov_b32 v2, v1 :: v_dual_mov_b32 v3, v1
	v_dual_mov_b32 v4, v1 :: v_dual_mov_b32 v5, v1
	;; [unrolled: 1-line block ×7, first 2 shown]
	v_cmp_gt_i64_e32 vcc_lo, s[4:5], v[17:18]
	s_delay_alu instid0(VALU_DEP_3) | instskip(NEXT) | instid1(VALU_DEP_3)
	v_dual_mov_b32 v33, v16 :: v_dual_mov_b32 v30, v13
	v_dual_mov_b32 v31, v14 :: v_dual_mov_b32 v32, v15
	;; [unrolled: 1-line block ×8, first 2 shown]
	v_mov_b32_e32 v17, v16
	v_mov_b32_e32 v16, v15
	;; [unrolled: 1-line block ×16, first 2 shown]
	s_and_saveexec_b32 s2, vcc_lo
	s_cbranch_execz .LBB32_62
; %bb.61:                               ;   in Loop: Header=BB32_55 Depth=1
	v_add_co_u32 v2, vcc_lo, v75, v38
	s_wait_alu 0xfffd
	v_add_co_ci_u32_e64 v3, null, v76, v39, vcc_lo
	v_add_co_u32 v4, vcc_lo, v77, v38
	s_wait_alu 0xfffd
	v_add_co_ci_u32_e64 v5, null, v78, v39, vcc_lo
	global_load_b64 v[2:3], v[2:3], off
	global_load_b64 v[18:19], v[4:5], off
	v_dual_mov_b32 v4, v1 :: v_dual_mov_b32 v5, v1
	v_dual_mov_b32 v6, v1 :: v_dual_mov_b32 v7, v1
	;; [unrolled: 1-line block ×14, first 2 shown]
.LBB32_62:                              ;   in Loop: Header=BB32_55 Depth=1
	s_wait_alu 0xfffe
	s_or_b32 exec_lo, exec_lo, s2
	v_add_co_u32 v109, vcc_lo, 0xffffffc2, v107
	s_wait_alu 0xfffd
	v_add_co_ci_u32_e64 v110, null, -1, v108, vcc_lo
	s_mov_b32 s2, exec_lo
	v_cmpx_gt_i64_e64 s[4:5], v[109:110]
	s_cbranch_execz .LBB32_64
; %bb.63:                               ;   in Loop: Header=BB32_55 Depth=1
	v_add_co_u32 v4, vcc_lo, v103, v38
	s_wait_alu 0xfffd
	v_add_co_ci_u32_e64 v5, null, v104, v39, vcc_lo
	v_add_co_u32 v20, vcc_lo, v105, v38
	s_wait_alu 0xfffd
	v_add_co_ci_u32_e64 v21, null, v106, v39, vcc_lo
	global_load_b64 v[4:5], v[4:5], off
	global_load_b64 v[20:21], v[20:21], off
.LBB32_64:                              ;   in Loop: Header=BB32_55 Depth=1
	s_wait_alu 0xfffe
	s_or_b32 exec_lo, exec_lo, s2
	v_add_co_u32 v109, vcc_lo, 0xffffffc3, v107
	s_wait_alu 0xfffd
	v_add_co_ci_u32_e64 v110, null, -1, v108, vcc_lo
	s_mov_b32 s2, exec_lo
	v_cmpx_gt_i64_e64 s[4:5], v[109:110]
	s_cbranch_execz .LBB32_66
; %bb.65:                               ;   in Loop: Header=BB32_55 Depth=1
	v_add_co_u32 v6, vcc_lo, v99, v38
	s_wait_alu 0xfffd
	v_add_co_ci_u32_e64 v7, null, v100, v39, vcc_lo
	v_add_co_u32 v22, vcc_lo, v101, v38
	s_wait_alu 0xfffd
	v_add_co_ci_u32_e64 v23, null, v102, v39, vcc_lo
	global_load_b64 v[6:7], v[6:7], off
	global_load_b64 v[22:23], v[22:23], off
.LBB32_66:                              ;   in Loop: Header=BB32_55 Depth=1
	;; [unrolled: 18-line block ×7, first 2 shown]
	s_wait_alu 0xfffe
	s_or_b32 exec_lo, exec_lo, s2
	s_wait_loadcnt 0x1
	ds_bpermute_b32 v109, v1, v70
	ds_bpermute_b32 v110, v1, v71
	s_wait_loadcnt 0x0
	ds_bpermute_b32 v111, v1, v68
	ds_bpermute_b32 v112, v1, v69
	s_mov_b32 s2, 0
	s_wait_dscnt 0x2
	v_add_f64_e64 v[18:19], v[18:19], -v[109:110]
	ds_bpermute_b32 v109, v1, v70 offset:4
	ds_bpermute_b32 v110, v1, v71 offset:4
	s_wait_dscnt 0x0
	v_add_f64_e64 v[20:21], v[20:21], -v[109:110]
	ds_bpermute_b32 v109, v1, v70 offset:8
	ds_bpermute_b32 v110, v1, v71 offset:8
	v_mul_f64_e32 v[18:19], v[2:3], v[18:19]
	v_add_f64_e32 v[2:3], v[36:37], v[2:3]
	s_wait_dscnt 0x0
	v_add_f64_e64 v[22:23], v[22:23], -v[109:110]
	ds_bpermute_b32 v109, v1, v70 offset:12
	ds_bpermute_b32 v110, v1, v71 offset:12
	v_mul_f64_e32 v[20:21], v[4:5], v[20:21]
	s_wait_dscnt 0x0
	v_add_f64_e64 v[24:25], v[24:25], -v[109:110]
	v_fma_f64 v[18:19], v[18:19], v[111:112], v[34:35]
	ds_bpermute_b32 v111, v1, v68 offset:4
	ds_bpermute_b32 v112, v1, v69 offset:4
	v_add_f64_e32 v[2:3], v[4:5], v[2:3]
	v_mul_f64_e32 v[4:5], v[6:7], v[22:23]
	ds_bpermute_b32 v22, v1, v68 offset:8
	ds_bpermute_b32 v23, v1, v69 offset:8
	v_mul_f64_e32 v[24:25], v[8:9], v[24:25]
	s_wait_dscnt 0x2
	v_fma_f64 v[18:19], v[20:21], v[111:112], v[18:19]
	ds_bpermute_b32 v20, v1, v70 offset:16
	ds_bpermute_b32 v21, v1, v71 offset:16
	v_add_f64_e32 v[2:3], v[6:7], v[2:3]
	ds_bpermute_b32 v6, v1, v70 offset:20
	ds_bpermute_b32 v7, v1, v71 offset:20
	s_wait_dscnt 0x2
	v_add_f64_e64 v[20:21], v[26:27], -v[20:21]
	s_wait_dscnt 0x0
	v_add_f64_e64 v[6:7], v[28:29], -v[6:7]
	v_fma_f64 v[4:5], v[4:5], v[22:23], v[18:19]
	ds_bpermute_b32 v18, v1, v68 offset:12
	ds_bpermute_b32 v19, v1, v69 offset:12
	v_add_f64_e32 v[2:3], v[8:9], v[2:3]
	ds_bpermute_b32 v8, v1, v70 offset:24
	ds_bpermute_b32 v9, v1, v71 offset:24
	;; [unrolled: 1-line block ×4, first 2 shown]
	v_mul_f64_e32 v[20:21], v[10:11], v[20:21]
	s_wait_dscnt 0x2
	v_add_f64_e64 v[8:9], v[30:31], -v[8:9]
	v_mul_f64_e32 v[6:7], v[12:13], v[6:7]
	v_fma_f64 v[4:5], v[24:25], v[18:19], v[4:5]
	ds_bpermute_b32 v18, v1, v68 offset:16
	ds_bpermute_b32 v19, v1, v69 offset:16
	v_add_f64_e32 v[2:3], v[10:11], v[2:3]
	s_wait_dscnt 0x2
	v_add_f64_e64 v[10:11], v[32:33], -v[22:23]
	v_mul_f64_e32 v[8:9], v[14:15], v[8:9]
	s_wait_dscnt 0x0
	v_fma_f64 v[4:5], v[20:21], v[18:19], v[4:5]
	ds_bpermute_b32 v18, v1, v68 offset:20
	ds_bpermute_b32 v19, v1, v69 offset:20
	v_add_f64_e32 v[2:3], v[12:13], v[2:3]
	v_mul_f64_e32 v[10:11], v[16:17], v[10:11]
	ds_bpermute_b32 v12, v1, v68 offset:28
	ds_bpermute_b32 v13, v1, v69 offset:28
	s_wait_dscnt 0x2
	v_fma_f64 v[4:5], v[6:7], v[18:19], v[4:5]
	ds_bpermute_b32 v6, v1, v68 offset:24
	ds_bpermute_b32 v7, v1, v69 offset:24
	v_add_f64_e32 v[2:3], v[14:15], v[2:3]
	s_wait_dscnt 0x0
	v_fma_f64 v[6:7], v[8:9], v[6:7], v[4:5]
	v_mul_f64_e32 v[4:5], v[10:11], v[12:13]
.LBB32_77:                              ;   in Loop: Header=BB32_55 Depth=1
	s_wait_alu 0xfffe
	s_and_b32 vcc_lo, exec_lo, s2
	s_wait_alu 0xfffe
	s_cbranch_vccz .LBB32_54
; %bb.78:                               ;   in Loop: Header=BB32_55 Depth=1
	s_load_b32 s2, s[8:9], 0x0
	v_mov_b32_e32 v4, 0
	v_mov_b32_e32 v5, 0
	s_wait_kmcnt 0x0
	s_cmp_lt_u32 ttmp9, s2
	s_cselect_b32 s2, 12, 18
	s_wait_alu 0xfffe
	s_add_nc_u64 s[22:23], s[8:9], s[2:3]
	s_load_u16 s2, s[22:23], 0x0
	s_wait_kmcnt 0x0
	v_mad_u32_u24 v2, v72, s2, v74
	s_mov_b32 s2, exec_lo
	s_delay_alu instid0(VALU_DEP_1) | instskip(SKIP_2) | instid1(VALU_DEP_3)
	v_and_b32_e32 v6, 31, v2
	v_mov_b32_e32 v2, 0
	v_mov_b32_e32 v3, 0
	v_cmpx_gt_u32_e32 8, v6
	s_cbranch_execz .LBB32_53
; %bb.79:                               ;   in Loop: Header=BB32_55 Depth=1
	v_add_co_u32 v2, vcc_lo, v107, v6
	s_wait_alu 0xfffd
	v_add_co_ci_u32_e64 v3, null, 0, v108, vcc_lo
	v_mov_b32_e32 v4, 0
	s_delay_alu instid0(VALU_DEP_3) | instskip(SKIP_1) | instid1(VALU_DEP_3)
	v_add_co_u32 v6, vcc_lo, 0xffffffc1, v2
	s_wait_alu 0xfffd
	v_add_co_ci_u32_e64 v7, null, -1, v3, vcc_lo
	v_dual_mov_b32 v5, 0 :: v_dual_mov_b32 v2, 0
	v_mov_b32_e32 v3, 0
	s_mov_b32 s22, exec_lo
	s_delay_alu instid0(VALU_DEP_3)
	v_cmpx_gt_i64_e64 s[4:5], v[6:7]
	s_cbranch_execz .LBB32_52
; %bb.80:                               ;   in Loop: Header=BB32_55 Depth=1
	v_lshlrev_b64_e32 v[2:3], 3, v[6:7]
	s_delay_alu instid0(VALU_DEP_1) | instskip(SKIP_1) | instid1(VALU_DEP_2)
	v_add_co_u32 v4, vcc_lo, s12, v2
	s_wait_alu 0xfffd
	v_add_co_ci_u32_e64 v5, null, s13, v3, vcc_lo
	v_add_co_u32 v2, vcc_lo, s14, v2
	s_wait_alu 0xfffd
	v_add_co_ci_u32_e64 v3, null, s15, v3, vcc_lo
	global_load_b64 v[4:5], v[4:5], off
	global_load_b64 v[2:3], v[2:3], off
	s_branch .LBB32_52
.LBB32_81:
	v_and_b32_e32 v12, 0x3ff, v0
	v_bfe_u32 v0, v0, 10, 10
	s_mov_b32 s2, exec_lo
	s_delay_alu instid0(VALU_DEP_1) | instskip(NEXT) | instid1(VALU_DEP_1)
	v_mad_u32_u24 v1, 0x41, v0, v12
	v_lshl_add_u32 v2, v1, 3, 0
	v_sub_nc_u32_e32 v6, v1, v0
	ds_store_b64 v2, v[34:35]
	ds_store_b64 v2, v[36:37] offset:4160
	s_wait_dscnt 0x0
	s_barrier_signal -1
	s_barrier_wait -1
	global_inv scope:SCOPE_SE
	v_cmpx_gt_u32_e32 0x800, v6
	s_cbranch_execz .LBB32_113
; %bb.82:
	s_load_b128 s[8:11], s[0:1], 0x30
	v_and_b32_e32 v0, 31, v12
	v_lshrrev_b32_e32 v8, 5, v6
                                        ; implicit-def: $vgpr2_vgpr3
	s_delay_alu instid0(VALU_DEP_2)
	v_cmp_gt_u32_e64 s0, 8, v0
	v_mul_u32_u24_e32 v7, 0x41, v0
                                        ; implicit-def: $vgpr0_vgpr1
	s_and_saveexec_b32 s1, s0
	s_cbranch_execz .LBB32_84
; %bb.83:
	s_delay_alu instid0(VALU_DEP_1) | instskip(NEXT) | instid1(VALU_DEP_1)
	v_add_nc_u32_e32 v0, v8, v7
	v_lshl_add_u32 v0, v0, 3, 0
	ds_load_b64 v[2:3], v0
	ds_load_b64 v[0:1], v0 offset:4160
.LBB32_84:
	s_or_b32 exec_lo, exec_lo, s1
	v_mbcnt_lo_u32_b32 v15, -1, 0
	s_mov_b32 s2, ttmp9
	s_mov_b32 s3, 0
	v_cmp_eq_u32_e64 s1, 0, v12
	s_wait_alu 0xfffe
	s_lshl_b64 s[2:3], s[2:3], 6
	v_xor_b32_e32 v4, 4, v15
	s_wait_kmcnt 0x0
	s_cmp_lg_u64 s[8:9], 0
	s_cselect_b32 s5, -1, 0
	s_cmp_lg_u64 s[10:11], 0
	v_cmp_gt_i32_e32 vcc_lo, 32, v4
	s_cselect_b32 s4, -1, 0
	s_wait_alu 0xfffd
	v_cndmask_b32_e32 v4, v15, v4, vcc_lo
	s_delay_alu instid0(VALU_DEP_1)
	v_lshlrev_b32_e32 v9, 2, v4
	s_wait_dscnt 0x1
	ds_bpermute_b32 v4, v9, v2
	ds_bpermute_b32 v5, v9, v3
	s_wait_dscnt 0x2
	ds_bpermute_b32 v10, v9, v0
	ds_bpermute_b32 v11, v9, v1
	s_wait_dscnt 0x2
	v_add_f64_e32 v[2:3], v[2:3], v[4:5]
	v_xor_b32_e32 v4, 2, v15
	s_wait_dscnt 0x0
	v_add_f64_e32 v[0:1], v[0:1], v[10:11]
	s_delay_alu instid0(VALU_DEP_2) | instskip(SKIP_2) | instid1(VALU_DEP_1)
	v_cmp_gt_i32_e32 vcc_lo, 32, v4
	s_wait_alu 0xfffd
	v_cndmask_b32_e32 v4, v15, v4, vcc_lo
	v_lshlrev_b32_e32 v10, 2, v4
	ds_bpermute_b32 v4, v10, v2
	ds_bpermute_b32 v5, v10, v3
	;; [unrolled: 1-line block ×4, first 2 shown]
	s_wait_dscnt 0x2
	v_add_f64_e32 v[2:3], v[2:3], v[4:5]
	s_wait_dscnt 0x0
	v_add_f64_e32 v[4:5], v[0:1], v[13:14]
	v_xor_b32_e32 v0, 1, v15
	s_delay_alu instid0(VALU_DEP_1) | instskip(SKIP_2) | instid1(VALU_DEP_1)
	v_cmp_gt_i32_e32 vcc_lo, 32, v0
	s_wait_alu 0xfffd
	v_cndmask_b32_e32 v0, v15, v0, vcc_lo
	v_lshlrev_b32_e32 v11, 2, v0
	ds_bpermute_b32 v0, v11, v2
	ds_bpermute_b32 v1, v11, v3
	;; [unrolled: 1-line block ×4, first 2 shown]
	s_wait_dscnt 0x2
	v_add_f64_e32 v[0:1], v[2:3], v[0:1]
	s_wait_dscnt 0x0
	v_add_f64_e32 v[2:3], v[4:5], v[13:14]
	s_wait_alu 0xfffe
	v_or_b32_e32 v4, s2, v8
	v_mov_b32_e32 v5, s3
	s_delay_alu instid0(VALU_DEP_1)
	v_cmp_gt_i64_e32 vcc_lo, s[6:7], v[4:5]
	s_and_b32 s13, s1, vcc_lo
	s_wait_alu 0xfffe
	s_and_saveexec_b32 s12, s13
	s_cbranch_execz .LBB32_89
; %bb.85:
	v_lshlrev_b64_e32 v[4:5], 3, v[4:5]
	s_and_not1_b32 vcc_lo, exec_lo, s5
	s_wait_alu 0xfffe
	s_cbranch_vccnz .LBB32_87
; %bb.86:
	s_delay_alu instid0(VALU_DEP_1)
	v_add_co_u32 v12, vcc_lo, s8, v4
	s_wait_alu 0xfffd
	v_add_co_ci_u32_e64 v13, null, s9, v5, vcc_lo
	global_store_b64 v[12:13], v[0:1], off
.LBB32_87:
	s_and_not1_b32 vcc_lo, exec_lo, s4
	s_wait_alu 0xfffe
	s_cbranch_vccnz .LBB32_89
; %bb.88:
	v_add_co_u32 v4, vcc_lo, s10, v4
	s_wait_alu 0xfffd
	v_add_co_ci_u32_e64 v5, null, s11, v5, vcc_lo
	global_store_b64 v[4:5], v[2:3], off
.LBB32_89:
	s_wait_alu 0xfffe
	s_or_b32 exec_lo, exec_lo, s12
	v_cmp_gt_u32_e32 vcc_lo, 0x600, v6
	s_and_b32 exec_lo, exec_lo, vcc_lo
	s_cbranch_execz .LBB32_113
; %bb.90:
	s_and_saveexec_b32 s12, s0
	s_cbranch_execz .LBB32_92
; %bb.91:
	v_add_nc_u32_e32 v0, v8, v7
	s_delay_alu instid0(VALU_DEP_1)
	v_lshl_add_u32 v2, v0, 3, 0
	ds_load_b64 v[0:1], v2 offset:128
	ds_load_b64 v[2:3], v2 offset:4288
.LBB32_92:
	s_wait_alu 0xfffe
	s_or_b32 exec_lo, exec_lo, s12
	s_wait_dscnt 0x1
	ds_bpermute_b32 v4, v9, v0
	ds_bpermute_b32 v5, v9, v1
	s_wait_dscnt 0x2
	ds_bpermute_b32 v12, v9, v2
	ds_bpermute_b32 v13, v9, v3
	s_wait_dscnt 0x2
	v_add_f64_e32 v[0:1], v[0:1], v[4:5]
	s_wait_dscnt 0x0
	v_add_f64_e32 v[2:3], v[2:3], v[12:13]
	ds_bpermute_b32 v4, v10, v0
	ds_bpermute_b32 v5, v10, v1
	;; [unrolled: 1-line block ×4, first 2 shown]
	s_wait_dscnt 0x2
	v_add_f64_e32 v[0:1], v[0:1], v[4:5]
	s_wait_dscnt 0x0
	v_add_f64_e32 v[2:3], v[2:3], v[12:13]
	ds_bpermute_b32 v4, v11, v0
	ds_bpermute_b32 v5, v11, v1
	;; [unrolled: 1-line block ×4, first 2 shown]
	s_wait_dscnt 0x2
	v_add_f64_e32 v[0:1], v[0:1], v[4:5]
	v_add_nc_u32_e32 v4, 16, v8
	s_wait_dscnt 0x0
	v_add_f64_e32 v[2:3], v[2:3], v[12:13]
	s_delay_alu instid0(VALU_DEP_2) | instskip(SKIP_2) | instid1(VALU_DEP_1)
	v_add_co_u32 v4, s12, s2, v4
	s_wait_alu 0xf1ff
	v_add_co_ci_u32_e64 v5, null, s3, 0, s12
	v_cmp_gt_i64_e32 vcc_lo, s[6:7], v[4:5]
	s_and_b32 s13, s1, vcc_lo
	s_wait_alu 0xfffe
	s_and_saveexec_b32 s12, s13
	s_cbranch_execz .LBB32_97
; %bb.93:
	s_and_not1_b32 vcc_lo, exec_lo, s5
	s_wait_alu 0xfffe
	s_cbranch_vccnz .LBB32_95
; %bb.94:
	v_add_co_u32 v4, s13, s2, v8
	s_wait_alu 0xf1ff
	v_add_co_ci_u32_e64 v5, null, s3, 0, s13
	s_delay_alu instid0(VALU_DEP_1) | instskip(NEXT) | instid1(VALU_DEP_1)
	v_lshlrev_b64_e32 v[4:5], 3, v[4:5]
	v_add_co_u32 v4, vcc_lo, s8, v4
	s_wait_alu 0xfffd
	s_delay_alu instid0(VALU_DEP_2)
	v_add_co_ci_u32_e64 v5, null, s9, v5, vcc_lo
	global_store_b64 v[4:5], v[0:1], off offset:128
.LBB32_95:
	s_and_not1_b32 vcc_lo, exec_lo, s4
	s_wait_alu 0xfffe
	s_cbranch_vccnz .LBB32_97
; %bb.96:
	v_add_co_u32 v4, s13, s2, v8
	s_wait_alu 0xf1ff
	v_add_co_ci_u32_e64 v5, null, s3, 0, s13
	s_delay_alu instid0(VALU_DEP_1) | instskip(NEXT) | instid1(VALU_DEP_1)
	v_lshlrev_b64_e32 v[4:5], 3, v[4:5]
	v_add_co_u32 v4, vcc_lo, s10, v4
	s_wait_alu 0xfffd
	s_delay_alu instid0(VALU_DEP_2)
	v_add_co_ci_u32_e64 v5, null, s11, v5, vcc_lo
	global_store_b64 v[4:5], v[2:3], off offset:128
.LBB32_97:
	s_wait_alu 0xfffe
	s_or_b32 exec_lo, exec_lo, s12
	v_cmp_gt_u32_e32 vcc_lo, 0x400, v6
	s_and_b32 exec_lo, exec_lo, vcc_lo
	s_cbranch_execz .LBB32_113
; %bb.98:
	s_and_saveexec_b32 s12, s0
	s_cbranch_execz .LBB32_100
; %bb.99:
	v_add_nc_u32_e32 v0, v8, v7
	s_delay_alu instid0(VALU_DEP_1)
	v_lshl_add_u32 v2, v0, 3, 0
	ds_load_b64 v[0:1], v2 offset:256
	ds_load_b64 v[2:3], v2 offset:4416
.LBB32_100:
	s_wait_alu 0xfffe
	s_or_b32 exec_lo, exec_lo, s12
	s_wait_dscnt 0x1
	ds_bpermute_b32 v4, v9, v0
	ds_bpermute_b32 v5, v9, v1
	s_wait_dscnt 0x2
	ds_bpermute_b32 v12, v9, v2
	ds_bpermute_b32 v13, v9, v3
	s_wait_dscnt 0x2
	v_add_f64_e32 v[0:1], v[0:1], v[4:5]
	s_wait_dscnt 0x0
	v_add_f64_e32 v[2:3], v[2:3], v[12:13]
	ds_bpermute_b32 v4, v10, v0
	ds_bpermute_b32 v5, v10, v1
	;; [unrolled: 1-line block ×4, first 2 shown]
	s_wait_dscnt 0x2
	v_add_f64_e32 v[0:1], v[0:1], v[4:5]
	s_wait_dscnt 0x0
	v_add_f64_e32 v[2:3], v[2:3], v[12:13]
	ds_bpermute_b32 v4, v11, v0
	ds_bpermute_b32 v5, v11, v1
	;; [unrolled: 1-line block ×4, first 2 shown]
	s_wait_dscnt 0x2
	v_add_f64_e32 v[0:1], v[0:1], v[4:5]
	v_dual_mov_b32 v5, s3 :: v_dual_add_nc_u32 v4, 32, v8
	s_wait_dscnt 0x0
	v_add_f64_e32 v[2:3], v[2:3], v[12:13]
	s_delay_alu instid0(VALU_DEP_2) | instskip(NEXT) | instid1(VALU_DEP_1)
	v_or_b32_e32 v4, s2, v4
	v_cmp_gt_i64_e32 vcc_lo, s[6:7], v[4:5]
	s_and_b32 s13, s1, vcc_lo
	s_wait_alu 0xfffe
	s_and_saveexec_b32 s12, s13
	s_cbranch_execz .LBB32_105
; %bb.101:
	s_and_not1_b32 vcc_lo, exec_lo, s5
	s_wait_alu 0xfffe
	s_cbranch_vccnz .LBB32_103
; %bb.102:
	v_add_co_u32 v4, s13, s2, v8
	s_wait_alu 0xf1ff
	v_add_co_ci_u32_e64 v5, null, s3, 0, s13
	s_delay_alu instid0(VALU_DEP_1) | instskip(NEXT) | instid1(VALU_DEP_1)
	v_lshlrev_b64_e32 v[4:5], 3, v[4:5]
	v_add_co_u32 v4, vcc_lo, s8, v4
	s_wait_alu 0xfffd
	s_delay_alu instid0(VALU_DEP_2)
	v_add_co_ci_u32_e64 v5, null, s9, v5, vcc_lo
	global_store_b64 v[4:5], v[0:1], off offset:256
.LBB32_103:
	s_and_not1_b32 vcc_lo, exec_lo, s4
	s_wait_alu 0xfffe
	s_cbranch_vccnz .LBB32_105
; %bb.104:
	v_add_co_u32 v4, s13, s2, v8
	s_wait_alu 0xf1ff
	v_add_co_ci_u32_e64 v5, null, s3, 0, s13
	s_delay_alu instid0(VALU_DEP_1) | instskip(NEXT) | instid1(VALU_DEP_1)
	v_lshlrev_b64_e32 v[4:5], 3, v[4:5]
	v_add_co_u32 v4, vcc_lo, s10, v4
	s_wait_alu 0xfffd
	s_delay_alu instid0(VALU_DEP_2)
	v_add_co_ci_u32_e64 v5, null, s11, v5, vcc_lo
	global_store_b64 v[4:5], v[2:3], off offset:256
.LBB32_105:
	s_wait_alu 0xfffe
	s_or_b32 exec_lo, exec_lo, s12
	v_cmp_gt_u32_e32 vcc_lo, 0x200, v6
	s_and_b32 exec_lo, exec_lo, vcc_lo
	s_cbranch_execz .LBB32_113
; %bb.106:
	s_and_saveexec_b32 s12, s0
	s_cbranch_execz .LBB32_108
; %bb.107:
	v_add_nc_u32_e32 v0, v8, v7
	s_delay_alu instid0(VALU_DEP_1)
	v_lshl_add_u32 v2, v0, 3, 0
	ds_load_b64 v[0:1], v2 offset:384
	ds_load_b64 v[2:3], v2 offset:4544
.LBB32_108:
	s_wait_alu 0xfffe
	s_or_b32 exec_lo, exec_lo, s12
	s_wait_dscnt 0x1
	ds_bpermute_b32 v4, v9, v0
	ds_bpermute_b32 v5, v9, v1
	s_wait_dscnt 0x2
	ds_bpermute_b32 v6, v9, v2
	ds_bpermute_b32 v7, v9, v3
	v_add_nc_u32_e32 v9, 48, v8
	s_wait_dscnt 0x2
	v_add_f64_e32 v[0:1], v[0:1], v[4:5]
	s_wait_dscnt 0x0
	v_add_f64_e32 v[2:3], v[2:3], v[6:7]
	ds_bpermute_b32 v4, v10, v0
	ds_bpermute_b32 v5, v10, v1
	;; [unrolled: 1-line block ×4, first 2 shown]
	v_mov_b32_e32 v10, s3
	v_or_b32_e32 v9, s2, v9
	s_delay_alu instid0(VALU_DEP_1)
	v_cmp_gt_i64_e32 vcc_lo, s[6:7], v[9:10]
	s_and_b32 s0, s1, vcc_lo
	s_wait_dscnt 0x2
	v_add_f64_e32 v[4:5], v[0:1], v[4:5]
	s_wait_dscnt 0x0
	v_add_f64_e32 v[0:1], v[2:3], v[6:7]
	ds_bpermute_b32 v6, v11, v4
	ds_bpermute_b32 v7, v11, v5
	;; [unrolled: 1-line block ×4, first 2 shown]
	s_and_b32 exec_lo, exec_lo, s0
	s_cbranch_execz .LBB32_113
; %bb.109:
	s_and_not1_b32 vcc_lo, exec_lo, s5
	s_wait_alu 0xfffe
	s_cbranch_vccnz .LBB32_111
; %bb.110:
	s_wait_dscnt 0x2
	v_add_f64_e32 v[4:5], v[4:5], v[6:7]
	v_add_co_u32 v6, s0, s2, v8
	s_delay_alu instid0(VALU_DEP_1) | instskip(NEXT) | instid1(VALU_DEP_1)
	v_add_co_ci_u32_e64 v7, null, s3, 0, s0
	v_lshlrev_b64_e32 v[6:7], 3, v[6:7]
	s_delay_alu instid0(VALU_DEP_1) | instskip(SKIP_1) | instid1(VALU_DEP_2)
	v_add_co_u32 v6, vcc_lo, s8, v6
	s_wait_alu 0xfffd
	v_add_co_ci_u32_e64 v7, null, s9, v7, vcc_lo
	global_store_b64 v[6:7], v[4:5], off offset:384
.LBB32_111:
	s_and_not1_b32 vcc_lo, exec_lo, s4
	s_wait_alu 0xfffe
	s_cbranch_vccnz .LBB32_113
; %bb.112:
	s_wait_dscnt 0x0
	v_add_f64_e32 v[0:1], v[0:1], v[2:3]
	v_add_co_u32 v2, s0, s2, v8
	s_wait_alu 0xf1ff
	v_add_co_ci_u32_e64 v3, null, s3, 0, s0
	s_delay_alu instid0(VALU_DEP_1) | instskip(NEXT) | instid1(VALU_DEP_1)
	v_lshlrev_b64_e32 v[2:3], 3, v[2:3]
	v_add_co_u32 v2, vcc_lo, s10, v2
	s_wait_alu 0xfffd
	s_delay_alu instid0(VALU_DEP_2)
	v_add_co_ci_u32_e64 v3, null, s11, v3, vcc_lo
	global_store_b64 v[2:3], v[0:1], off offset:384
.LBB32_113:
	s_nop 0
	s_sendmsg sendmsg(MSG_DEALLOC_VGPRS)
	s_endpgm
	.section	.rodata,"a",@progbits
	.p2align	6, 0x0
	.amdhsa_kernel _ZN2at6native12_GLOBAL__N_135GammaBetaBackwardCUDAKernelTemplateIddLj64ELj8ELj64ELb0ELb0ELb0EEEvllPKT_S5_PKT0_S8_PS3_S9_
		.amdhsa_group_segment_fixed_size 0
		.amdhsa_private_segment_fixed_size 0
		.amdhsa_kernarg_size 320
		.amdhsa_user_sgpr_count 2
		.amdhsa_user_sgpr_dispatch_ptr 0
		.amdhsa_user_sgpr_queue_ptr 0
		.amdhsa_user_sgpr_kernarg_segment_ptr 1
		.amdhsa_user_sgpr_dispatch_id 0
		.amdhsa_user_sgpr_private_segment_size 0
		.amdhsa_wavefront_size32 1
		.amdhsa_uses_dynamic_stack 0
		.amdhsa_enable_private_segment 0
		.amdhsa_system_sgpr_workgroup_id_x 1
		.amdhsa_system_sgpr_workgroup_id_y 1
		.amdhsa_system_sgpr_workgroup_id_z 0
		.amdhsa_system_sgpr_workgroup_info 0
		.amdhsa_system_vgpr_workitem_id 1
		.amdhsa_next_free_vgpr 113
		.amdhsa_next_free_sgpr 36
		.amdhsa_reserve_vcc 1
		.amdhsa_float_round_mode_32 0
		.amdhsa_float_round_mode_16_64 0
		.amdhsa_float_denorm_mode_32 3
		.amdhsa_float_denorm_mode_16_64 3
		.amdhsa_fp16_overflow 0
		.amdhsa_workgroup_processor_mode 1
		.amdhsa_memory_ordered 1
		.amdhsa_forward_progress 1
		.amdhsa_inst_pref_size 97
		.amdhsa_round_robin_scheduling 0
		.amdhsa_exception_fp_ieee_invalid_op 0
		.amdhsa_exception_fp_denorm_src 0
		.amdhsa_exception_fp_ieee_div_zero 0
		.amdhsa_exception_fp_ieee_overflow 0
		.amdhsa_exception_fp_ieee_underflow 0
		.amdhsa_exception_fp_ieee_inexact 0
		.amdhsa_exception_int_div_zero 0
	.end_amdhsa_kernel
	.section	.text._ZN2at6native12_GLOBAL__N_135GammaBetaBackwardCUDAKernelTemplateIddLj64ELj8ELj64ELb0ELb0ELb0EEEvllPKT_S5_PKT0_S8_PS3_S9_,"axG",@progbits,_ZN2at6native12_GLOBAL__N_135GammaBetaBackwardCUDAKernelTemplateIddLj64ELj8ELj64ELb0ELb0ELb0EEEvllPKT_S5_PKT0_S8_PS3_S9_,comdat
.Lfunc_end32:
	.size	_ZN2at6native12_GLOBAL__N_135GammaBetaBackwardCUDAKernelTemplateIddLj64ELj8ELj64ELb0ELb0ELb0EEEvllPKT_S5_PKT0_S8_PS3_S9_, .Lfunc_end32-_ZN2at6native12_GLOBAL__N_135GammaBetaBackwardCUDAKernelTemplateIddLj64ELj8ELj64ELb0ELb0ELb0EEEvllPKT_S5_PKT0_S8_PS3_S9_
                                        ; -- End function
	.set _ZN2at6native12_GLOBAL__N_135GammaBetaBackwardCUDAKernelTemplateIddLj64ELj8ELj64ELb0ELb0ELb0EEEvllPKT_S5_PKT0_S8_PS3_S9_.num_vgpr, 113
	.set _ZN2at6native12_GLOBAL__N_135GammaBetaBackwardCUDAKernelTemplateIddLj64ELj8ELj64ELb0ELb0ELb0EEEvllPKT_S5_PKT0_S8_PS3_S9_.num_agpr, 0
	.set _ZN2at6native12_GLOBAL__N_135GammaBetaBackwardCUDAKernelTemplateIddLj64ELj8ELj64ELb0ELb0ELb0EEEvllPKT_S5_PKT0_S8_PS3_S9_.numbered_sgpr, 36
	.set _ZN2at6native12_GLOBAL__N_135GammaBetaBackwardCUDAKernelTemplateIddLj64ELj8ELj64ELb0ELb0ELb0EEEvllPKT_S5_PKT0_S8_PS3_S9_.num_named_barrier, 0
	.set _ZN2at6native12_GLOBAL__N_135GammaBetaBackwardCUDAKernelTemplateIddLj64ELj8ELj64ELb0ELb0ELb0EEEvllPKT_S5_PKT0_S8_PS3_S9_.private_seg_size, 0
	.set _ZN2at6native12_GLOBAL__N_135GammaBetaBackwardCUDAKernelTemplateIddLj64ELj8ELj64ELb0ELb0ELb0EEEvllPKT_S5_PKT0_S8_PS3_S9_.uses_vcc, 1
	.set _ZN2at6native12_GLOBAL__N_135GammaBetaBackwardCUDAKernelTemplateIddLj64ELj8ELj64ELb0ELb0ELb0EEEvllPKT_S5_PKT0_S8_PS3_S9_.uses_flat_scratch, 0
	.set _ZN2at6native12_GLOBAL__N_135GammaBetaBackwardCUDAKernelTemplateIddLj64ELj8ELj64ELb0ELb0ELb0EEEvllPKT_S5_PKT0_S8_PS3_S9_.has_dyn_sized_stack, 0
	.set _ZN2at6native12_GLOBAL__N_135GammaBetaBackwardCUDAKernelTemplateIddLj64ELj8ELj64ELb0ELb0ELb0EEEvllPKT_S5_PKT0_S8_PS3_S9_.has_recursion, 0
	.set _ZN2at6native12_GLOBAL__N_135GammaBetaBackwardCUDAKernelTemplateIddLj64ELj8ELj64ELb0ELb0ELb0EEEvllPKT_S5_PKT0_S8_PS3_S9_.has_indirect_call, 0
	.section	.AMDGPU.csdata,"",@progbits
; Kernel info:
; codeLenInByte = 12404
; TotalNumSgprs: 38
; NumVgprs: 113
; ScratchSize: 0
; MemoryBound: 1
; FloatMode: 240
; IeeeMode: 1
; LDSByteSize: 0 bytes/workgroup (compile time only)
; SGPRBlocks: 0
; VGPRBlocks: 14
; NumSGPRsForWavesPerEU: 38
; NumVGPRsForWavesPerEU: 113
; Occupancy: 12
; WaveLimiterHint : 0
; COMPUTE_PGM_RSRC2:SCRATCH_EN: 0
; COMPUTE_PGM_RSRC2:USER_SGPR: 2
; COMPUTE_PGM_RSRC2:TRAP_HANDLER: 0
; COMPUTE_PGM_RSRC2:TGID_X_EN: 1
; COMPUTE_PGM_RSRC2:TGID_Y_EN: 1
; COMPUTE_PGM_RSRC2:TGID_Z_EN: 0
; COMPUTE_PGM_RSRC2:TIDIG_COMP_CNT: 1
	.section	.text._ZN2at6native12_GLOBAL__N_135GammaBetaBackwardCUDAKernelTemplateIddLj64ELj16ELj128ELb0ELb1ELb0EEEvllPKT_S5_PKT0_S8_PS3_S9_,"axG",@progbits,_ZN2at6native12_GLOBAL__N_135GammaBetaBackwardCUDAKernelTemplateIddLj64ELj16ELj128ELb0ELb1ELb0EEEvllPKT_S5_PKT0_S8_PS3_S9_,comdat
	.globl	_ZN2at6native12_GLOBAL__N_135GammaBetaBackwardCUDAKernelTemplateIddLj64ELj16ELj128ELb0ELb1ELb0EEEvllPKT_S5_PKT0_S8_PS3_S9_ ; -- Begin function _ZN2at6native12_GLOBAL__N_135GammaBetaBackwardCUDAKernelTemplateIddLj64ELj16ELj128ELb0ELb1ELb0EEEvllPKT_S5_PKT0_S8_PS3_S9_
	.p2align	8
	.type	_ZN2at6native12_GLOBAL__N_135GammaBetaBackwardCUDAKernelTemplateIddLj64ELj16ELj128ELb0ELb1ELb0EEEvllPKT_S5_PKT0_S8_PS3_S9_,@function
_ZN2at6native12_GLOBAL__N_135GammaBetaBackwardCUDAKernelTemplateIddLj64ELj16ELj128ELb0ELb1ELb0EEEvllPKT_S5_PKT0_S8_PS3_S9_: ; @_ZN2at6native12_GLOBAL__N_135GammaBetaBackwardCUDAKernelTemplateIddLj64ELj16ELj128ELb0ELb1ELb0EEEvllPKT_S5_PKT0_S8_PS3_S9_
; %bb.0:
	s_load_b128 s[16:19], s[0:1], 0x0
	s_lshl_b32 s2, ttmp7, 7
	s_mov_b32 s3, 0
	v_bfe_u32 v15, v0, 10, 10
	s_wait_kmcnt 0x0
	v_cmp_gt_i64_e64 s4, s[16:17], s[2:3]
	s_and_b32 vcc_lo, exec_lo, s4
	s_cbranch_vccnz .LBB33_2
; %bb.1:
	v_bfe_u32 v1, v0, 10, 10
	s_mov_b32 s4, s3
	s_branch .LBB33_3
.LBB33_2:
	s_mov_b32 s4, -1
                                        ; implicit-def: $vgpr1
.LBB33_3:
	s_load_b128 s[12:15], s[0:1], 0x30
	v_mov_b32_e32 v10, 0
	v_dual_mov_b32 v11, 0 :: v_dual_mov_b32 v8, 0
	v_dual_mov_b32 v9, 0 :: v_dual_and_b32 v14, 0x3ff, v0
	s_and_not1_b32 vcc_lo, exec_lo, s4
	s_cbranch_vccnz .LBB33_11
; %bb.4:
	s_load_b32 s20, s[0:1], 0x4c
	v_dual_mov_b32 v1, 0 :: v_dual_lshlrev_b32 v0, 3, v15
	s_clause 0x1
	s_load_b32 s22, s[0:1], 0x44
	s_load_b256 s[4:11], s[0:1], 0x10
	s_mov_b32 s21, 0
	v_dual_mov_b32 v16, 8 :: v_dual_mov_b32 v17, 4
	v_add_co_u32 v2, s0, v0, s2
	s_delay_alu instid0(VALU_DEP_1) | instskip(SKIP_1) | instid1(VALU_DEP_3)
	v_add_co_ci_u32_e64 v3, null, 0, 0, s0
	v_lshl_add_u32 v0, ttmp9, 6, v14
	v_mul_lo_u32 v8, s19, v2
	v_mad_co_u64_u32 v[4:5], null, s18, v2, 0
	s_delay_alu instid0(VALU_DEP_4)
	v_mul_lo_u32 v9, s18, v3
	v_dual_mov_b32 v18, 12 :: v_dual_mov_b32 v19, 16
	v_dual_mov_b32 v20, 20 :: v_dual_mov_b32 v21, 24
	s_wait_kmcnt 0x0
	s_and_b32 s0, s20, 0xffff
	s_lshl_b32 s20, s22, 7
	s_wait_alu 0xfffe
	v_mad_u32_u24 v6, v15, s0, v14
	v_add3_u32 v5, v5, v9, v8
	s_mul_u64 s[24:25], s[18:19], s[20:21]
	s_lshl_b64 s[22:23], s[20:21], 3
	s_lshl_b64 s[24:25], s[24:25], 3
	v_and_b32_e32 v10, 31, v6
	v_lshlrev_b64_e32 v[6:7], 3, v[0:1]
	v_lshlrev_b64_e32 v[8:9], 3, v[4:5]
	v_mov_b32_e32 v0, 28
	s_lshl_b64 s[18:19], s[18:19], 3
	v_add_co_u32 v2, vcc_lo, v2, v10
	s_delay_alu instid0(VALU_DEP_1) | instskip(NEXT) | instid1(VALU_DEP_4)
	v_add_co_ci_u32_e64 v3, null, 0, v3, vcc_lo
	v_add_co_u32 v22, vcc_lo, v8, v6
	s_wait_alu 0xfffd
	v_add_co_ci_u32_e64 v23, null, v9, v7, vcc_lo
	v_mov_b32_e32 v8, 0
	v_lshlrev_b64_e32 v[4:5], 3, v[2:3]
	v_mov_b32_e32 v9, 0
	v_cmp_gt_u32_e64 s0, 8, v10
	v_mov_b32_e32 v10, 0
	v_mov_b32_e32 v11, 0
	s_branch .LBB33_7
.LBB33_5:                               ;   in Loop: Header=BB33_7 Depth=1
	s_or_b32 exec_lo, exec_lo, s26
.LBB33_6:                               ;   in Loop: Header=BB33_7 Depth=1
	s_wait_alu 0xfffe
	s_or_b32 exec_lo, exec_lo, s1
	v_add_co_u32 v24, vcc_lo, s6, v22
	s_wait_alu 0xfffd
	v_add_co_ci_u32_e64 v25, null, s7, v23, vcc_lo
	s_wait_loadcnt 0x1
	ds_bpermute_b32 v56, v1, v12
	ds_bpermute_b32 v57, v1, v13
	s_wait_loadcnt 0x0
	ds_bpermute_b32 v58, v1, v6
	global_load_b64 v[26:27], v[24:25], off
	v_add_co_u32 v24, vcc_lo, v24, s18
	s_wait_alu 0xfffd
	v_add_co_ci_u32_e64 v25, null, s19, v25, vcc_lo
	v_add_co_u32 v28, vcc_lo, s4, v22
	s_wait_alu 0xfffd
	v_add_co_ci_u32_e64 v29, null, s5, v23, vcc_lo
	global_load_b64 v[30:31], v[24:25], off
	global_load_b64 v[32:33], v[28:29], off
	v_add_co_u32 v24, vcc_lo, v24, s18
	s_wait_alu 0xfffd
	v_add_co_ci_u32_e64 v25, null, s19, v25, vcc_lo
	v_add_co_u32 v28, vcc_lo, v28, s18
	s_wait_alu 0xfffd
	v_add_co_ci_u32_e64 v29, null, s19, v29, vcc_lo
	global_load_b64 v[34:35], v[24:25], off
	;; [unrolled: 8-line block ×7, first 2 shown]
	global_load_b64 v[54:55], v[28:29], off
	v_add_co_u32 v28, vcc_lo, v28, s18
	s_wait_alu 0xfffd
	v_add_co_ci_u32_e64 v29, null, s19, v29, vcc_lo
	ds_bpermute_b32 v59, v1, v7
	v_add_co_u32 v4, vcc_lo, v4, s22
	global_load_b64 v[28:29], v[28:29], off
	s_add_nc_u64 s[2:3], s[2:3], s[20:21]
	s_wait_alu 0xfffd
	v_add_co_ci_u32_e64 v5, null, s23, v5, vcc_lo
	v_add_co_u32 v2, vcc_lo, v2, s20
	s_wait_alu 0xfffe
	v_cmp_lt_i64_e64 s1, s[2:3], s[16:17]
	s_wait_alu 0xfffd
	v_add_co_ci_u32_e64 v3, null, 0, v3, vcc_lo
	v_add_co_u32 v22, vcc_lo, v22, s24
	s_wait_alu 0xfffd
	v_add_co_ci_u32_e64 v23, null, s25, v23, vcc_lo
	s_and_b32 vcc_lo, exec_lo, s1
	s_wait_loadcnt_dscnt 0xf02
	v_add_f64_e64 v[26:27], v[26:27], -v[56:57]
	ds_bpermute_b32 v56, v17, v12
	ds_bpermute_b32 v57, v17, v13
	s_wait_loadcnt 0xd
	v_add_f64_e32 v[10:11], v[10:11], v[32:33]
	s_wait_dscnt 0x0
	v_add_f64_e64 v[30:31], v[30:31], -v[56:57]
	ds_bpermute_b32 v56, v16, v12
	ds_bpermute_b32 v57, v16, v13
	v_mul_f64_e32 v[26:27], v[32:33], v[26:27]
	ds_bpermute_b32 v32, v17, v6
	ds_bpermute_b32 v33, v17, v7
	s_wait_loadcnt_dscnt 0xc02
	v_add_f64_e64 v[34:35], v[34:35], -v[56:57]
	s_wait_loadcnt 0xb
	v_add_f64_e32 v[10:11], v[10:11], v[36:37]
	v_mul_f64_e32 v[30:31], v[36:37], v[30:31]
	v_fma_f64 v[8:9], v[26:27], v[58:59], v[8:9]
	ds_bpermute_b32 v26, v18, v12
	ds_bpermute_b32 v27, v18, v13
	s_wait_loadcnt 0x9
	v_mul_f64_e32 v[34:35], v[40:41], v[34:35]
	v_add_f64_e32 v[10:11], v[10:11], v[40:41]
	s_wait_dscnt 0x0
	v_add_f64_e64 v[26:27], v[38:39], -v[26:27]
	v_fma_f64 v[8:9], v[30:31], v[32:33], v[8:9]
	ds_bpermute_b32 v30, v19, v12
	ds_bpermute_b32 v31, v19, v13
	;; [unrolled: 1-line block ×4, first 2 shown]
	s_wait_loadcnt 0x7
	v_add_f64_e32 v[10:11], v[10:11], v[44:45]
	s_wait_dscnt 0x2
	v_add_f64_e64 v[30:31], v[42:43], -v[30:31]
	v_mul_f64_e32 v[26:27], v[44:45], v[26:27]
	s_wait_dscnt 0x0
	v_fma_f64 v[8:9], v[34:35], v[32:33], v[8:9]
	ds_bpermute_b32 v32, v20, v12
	ds_bpermute_b32 v33, v20, v13
	ds_bpermute_b32 v34, v18, v6
	ds_bpermute_b32 v35, v18, v7
	s_wait_loadcnt 0x5
	v_add_f64_e32 v[10:11], v[10:11], v[48:49]
	s_wait_dscnt 0x2
	v_add_f64_e64 v[32:33], v[46:47], -v[32:33]
	v_mul_f64_e32 v[30:31], v[48:49], v[30:31]
	s_wait_dscnt 0x0
	v_fma_f64 v[8:9], v[26:27], v[34:35], v[8:9]
	ds_bpermute_b32 v26, v21, v12
	ds_bpermute_b32 v27, v21, v13
	;; [unrolled: 1-line block ×6, first 2 shown]
	s_wait_loadcnt 0x3
	v_add_f64_e32 v[10:11], v[10:11], v[52:53]
	s_wait_dscnt 0x4
	v_add_f64_e64 v[26:27], v[50:51], -v[26:27]
	v_mul_f64_e32 v[32:33], v[52:53], v[32:33]
	s_wait_loadcnt_dscnt 0x200
	v_add_f64_e64 v[12:13], v[24:25], -v[12:13]
	v_fma_f64 v[8:9], v[30:31], v[34:35], v[8:9]
	ds_bpermute_b32 v30, v20, v6
	ds_bpermute_b32 v31, v20, v7
	s_wait_loadcnt 0x1
	v_add_f64_e32 v[10:11], v[10:11], v[54:55]
	v_mul_f64_e32 v[24:25], v[54:55], v[26:27]
	ds_bpermute_b32 v26, v21, v6
	ds_bpermute_b32 v27, v21, v7
	;; [unrolled: 1-line block ×3, first 2 shown]
	s_wait_loadcnt 0x0
	v_mul_f64_e32 v[12:13], v[28:29], v[12:13]
	ds_bpermute_b32 v7, v0, v7
	s_wait_dscnt 0x4
	v_fma_f64 v[8:9], v[32:33], v[30:31], v[8:9]
	v_add_f64_e32 v[10:11], v[10:11], v[28:29]
	s_wait_dscnt 0x2
	s_delay_alu instid0(VALU_DEP_2) | instskip(SKIP_1) | instid1(VALU_DEP_1)
	v_fma_f64 v[8:9], v[24:25], v[26:27], v[8:9]
	s_wait_dscnt 0x0
	v_fma_f64 v[8:9], v[12:13], v[6:7], v[8:9]
	s_wait_alu 0xfffe
	s_cbranch_vccz .LBB33_10
.LBB33_7:                               ; =>This Inner Loop Header: Depth=1
	v_mov_b32_e32 v6, 0
	v_dual_mov_b32 v7, 0 :: v_dual_mov_b32 v12, 0
	v_mov_b32_e32 v13, 0
	s_and_saveexec_b32 s1, s0
	s_cbranch_execz .LBB33_6
; %bb.8:                                ;   in Loop: Header=BB33_7 Depth=1
	v_mov_b32_e32 v12, 0
	v_dual_mov_b32 v13, 0 :: v_dual_mov_b32 v6, 0
	v_mov_b32_e32 v7, 0
	s_mov_b32 s26, exec_lo
	v_cmpx_gt_i64_e64 s[16:17], v[2:3]
	s_cbranch_execz .LBB33_5
; %bb.9:                                ;   in Loop: Header=BB33_7 Depth=1
	v_add_co_u32 v6, vcc_lo, s8, v4
	s_wait_alu 0xfffd
	v_add_co_ci_u32_e64 v7, null, s9, v5, vcc_lo
	v_add_co_u32 v24, vcc_lo, s10, v4
	s_wait_alu 0xfffd
	v_add_co_ci_u32_e64 v25, null, s11, v5, vcc_lo
	global_load_b64 v[12:13], v[6:7], off
	global_load_b64 v[6:7], v[24:25], off
	s_branch .LBB33_5
.LBB33_10:
	v_mov_b32_e32 v1, v15
.LBB33_11:
	s_delay_alu instid0(VALU_DEP_1) | instskip(SKIP_1) | instid1(VALU_DEP_1)
	v_mad_u32_u24 v0, 0x41, v1, v14
	s_mov_b32 s0, exec_lo
	v_lshl_add_u32 v2, v0, 3, 0
	v_sub_nc_u32_e32 v6, v0, v1
	ds_store_b64 v2, v[8:9]
	ds_store_b64 v2, v[10:11] offset:8320
	s_wait_dscnt 0x0
	s_barrier_signal -1
	s_barrier_wait -1
	global_inv scope:SCOPE_SE
	v_cmpx_gt_u32_e32 0x800, v6
	s_cbranch_execz .LBB33_27
; %bb.12:
	v_and_b32_e32 v0, 31, v14
	v_lshrrev_b32_e32 v8, 5, v6
                                        ; implicit-def: $vgpr2_vgpr3
	s_delay_alu instid0(VALU_DEP_2)
	v_cmp_gt_u32_e64 s0, 16, v0
	v_mul_u32_u24_e32 v7, 0x41, v0
                                        ; implicit-def: $vgpr0_vgpr1
	s_wait_alu 0xfffe
	s_and_saveexec_b32 s1, s0
	s_cbranch_execz .LBB33_14
; %bb.13:
	s_delay_alu instid0(VALU_DEP_1) | instskip(NEXT) | instid1(VALU_DEP_1)
	v_add_nc_u32_e32 v0, v8, v7
	v_lshl_add_u32 v0, v0, 3, 0
	ds_load_b64 v[2:3], v0
	ds_load_b64 v[0:1], v0 offset:8320
.LBB33_14:
	s_wait_alu 0xfffe
	s_or_b32 exec_lo, exec_lo, s1
	v_mbcnt_lo_u32_b32 v15, -1, 0
	s_mov_b32 s2, ttmp9
	s_mov_b32 s3, 0
	v_cmp_eq_u32_e64 s1, 0, v14
	s_wait_alu 0xfffe
	s_lshl_b64 s[2:3], s[2:3], 6
	v_xor_b32_e32 v4, 8, v15
	s_wait_kmcnt 0x0
	s_cmp_lg_u64 s[12:13], 0
	s_cselect_b32 s5, -1, 0
	s_cmp_lg_u64 s[14:15], 0
	v_cmp_gt_i32_e32 vcc_lo, 32, v4
	s_cselect_b32 s4, -1, 0
	s_wait_alu 0xfffd
	v_cndmask_b32_e32 v4, v15, v4, vcc_lo
	s_delay_alu instid0(VALU_DEP_1)
	v_lshlrev_b32_e32 v9, 2, v4
	s_wait_dscnt 0x1
	ds_bpermute_b32 v4, v9, v2
	ds_bpermute_b32 v5, v9, v3
	s_wait_dscnt 0x2
	ds_bpermute_b32 v10, v9, v0
	ds_bpermute_b32 v11, v9, v1
	s_wait_dscnt 0x2
	v_add_f64_e32 v[2:3], v[2:3], v[4:5]
	v_xor_b32_e32 v4, 4, v15
	s_wait_dscnt 0x0
	v_add_f64_e32 v[0:1], v[0:1], v[10:11]
	s_delay_alu instid0(VALU_DEP_2) | instskip(SKIP_2) | instid1(VALU_DEP_1)
	v_cmp_gt_i32_e32 vcc_lo, 32, v4
	s_wait_alu 0xfffd
	v_cndmask_b32_e32 v4, v15, v4, vcc_lo
	v_lshlrev_b32_e32 v10, 2, v4
	ds_bpermute_b32 v4, v10, v2
	ds_bpermute_b32 v5, v10, v3
	;; [unrolled: 1-line block ×4, first 2 shown]
	s_wait_dscnt 0x2
	v_add_f64_e32 v[2:3], v[2:3], v[4:5]
	v_xor_b32_e32 v4, 2, v15
	s_wait_dscnt 0x0
	v_add_f64_e32 v[0:1], v[0:1], v[11:12]
	s_delay_alu instid0(VALU_DEP_2) | instskip(SKIP_2) | instid1(VALU_DEP_1)
	v_cmp_gt_i32_e32 vcc_lo, 32, v4
	s_wait_alu 0xfffd
	v_cndmask_b32_e32 v4, v15, v4, vcc_lo
	v_lshlrev_b32_e32 v11, 2, v4
	ds_bpermute_b32 v4, v11, v2
	ds_bpermute_b32 v5, v11, v3
	;; [unrolled: 1-line block ×4, first 2 shown]
	s_wait_dscnt 0x2
	v_add_f64_e32 v[2:3], v[2:3], v[4:5]
	s_wait_dscnt 0x0
	v_add_f64_e32 v[4:5], v[0:1], v[12:13]
	v_xor_b32_e32 v0, 1, v15
	s_delay_alu instid0(VALU_DEP_1) | instskip(SKIP_2) | instid1(VALU_DEP_1)
	v_cmp_gt_i32_e32 vcc_lo, 32, v0
	s_wait_alu 0xfffd
	v_cndmask_b32_e32 v0, v15, v0, vcc_lo
	v_lshlrev_b32_e32 v12, 2, v0
	ds_bpermute_b32 v0, v12, v2
	ds_bpermute_b32 v1, v12, v3
	;; [unrolled: 1-line block ×4, first 2 shown]
	s_wait_dscnt 0x2
	v_add_f64_e32 v[0:1], v[2:3], v[0:1]
	s_wait_dscnt 0x0
	v_add_f64_e32 v[2:3], v[4:5], v[15:16]
	s_and_saveexec_b32 s6, s1
	s_cbranch_execz .LBB33_19
; %bb.15:
	s_wait_alu 0xfffe
	v_mov_b32_e32 v5, s3
	v_or_b32_e32 v4, s2, v8
	s_and_not1_b32 vcc_lo, exec_lo, s5
	s_delay_alu instid0(VALU_DEP_1)
	v_lshlrev_b64_e32 v[4:5], 3, v[4:5]
	s_wait_alu 0xfffe
	s_cbranch_vccnz .LBB33_17
; %bb.16:
	s_delay_alu instid0(VALU_DEP_1) | instskip(SKIP_1) | instid1(VALU_DEP_2)
	v_add_co_u32 v13, vcc_lo, s12, v4
	s_wait_alu 0xfffd
	v_add_co_ci_u32_e64 v14, null, s13, v5, vcc_lo
	global_store_b64 v[13:14], v[0:1], off
.LBB33_17:
	s_and_not1_b32 vcc_lo, exec_lo, s4
	s_wait_alu 0xfffe
	s_cbranch_vccnz .LBB33_19
; %bb.18:
	v_add_co_u32 v4, vcc_lo, s14, v4
	s_wait_alu 0xfffd
	v_add_co_ci_u32_e64 v5, null, s15, v5, vcc_lo
	global_store_b64 v[4:5], v[2:3], off
.LBB33_19:
	s_wait_alu 0xfffe
	s_or_b32 exec_lo, exec_lo, s6
	v_cmp_gt_u32_e32 vcc_lo, 0x400, v6
	s_and_b32 exec_lo, exec_lo, vcc_lo
	s_cbranch_execz .LBB33_27
; %bb.20:
	s_and_saveexec_b32 s6, s0
	s_cbranch_execz .LBB33_22
; %bb.21:
	v_add_nc_u32_e32 v0, v8, v7
	s_delay_alu instid0(VALU_DEP_1)
	v_lshl_add_u32 v2, v0, 3, 0
	ds_load_b64 v[0:1], v2 offset:256
	ds_load_b64 v[2:3], v2 offset:8576
.LBB33_22:
	s_wait_alu 0xfffe
	s_or_b32 exec_lo, exec_lo, s6
	s_wait_dscnt 0x1
	ds_bpermute_b32 v4, v9, v0
	ds_bpermute_b32 v5, v9, v1
	s_wait_dscnt 0x2
	ds_bpermute_b32 v6, v9, v2
	ds_bpermute_b32 v7, v9, v3
	s_wait_dscnt 0x2
	v_add_f64_e32 v[0:1], v[0:1], v[4:5]
	s_wait_dscnt 0x0
	v_add_f64_e32 v[2:3], v[2:3], v[6:7]
	ds_bpermute_b32 v4, v10, v0
	ds_bpermute_b32 v5, v10, v1
	ds_bpermute_b32 v6, v10, v2
	ds_bpermute_b32 v7, v10, v3
	s_wait_dscnt 0x2
	v_add_f64_e32 v[0:1], v[0:1], v[4:5]
	s_wait_dscnt 0x0
	v_add_f64_e32 v[2:3], v[2:3], v[6:7]
	ds_bpermute_b32 v4, v11, v0
	ds_bpermute_b32 v5, v11, v1
	;; [unrolled: 8-line block ×3, first 2 shown]
	ds_bpermute_b32 v2, v12, v0
	ds_bpermute_b32 v3, v12, v1
	s_and_b32 exec_lo, exec_lo, s1
	s_cbranch_execz .LBB33_27
; %bb.23:
	s_and_not1_b32 vcc_lo, exec_lo, s5
	s_wait_alu 0xfffe
	s_cbranch_vccnz .LBB33_25
; %bb.24:
	s_wait_dscnt 0x2
	v_add_f64_e32 v[4:5], v[4:5], v[6:7]
	v_add_co_u32 v6, s0, s2, v8
	s_wait_alu 0xf1ff
	v_add_co_ci_u32_e64 v7, null, s3, 0, s0
	s_delay_alu instid0(VALU_DEP_1) | instskip(NEXT) | instid1(VALU_DEP_1)
	v_lshlrev_b64_e32 v[6:7], 3, v[6:7]
	v_add_co_u32 v6, vcc_lo, s12, v6
	s_wait_alu 0xfffd
	s_delay_alu instid0(VALU_DEP_2)
	v_add_co_ci_u32_e64 v7, null, s13, v7, vcc_lo
	global_store_b64 v[6:7], v[4:5], off offset:256
.LBB33_25:
	s_and_not1_b32 vcc_lo, exec_lo, s4
	s_wait_alu 0xfffe
	s_cbranch_vccnz .LBB33_27
; %bb.26:
	s_wait_dscnt 0x0
	v_add_f64_e32 v[0:1], v[0:1], v[2:3]
	v_add_co_u32 v2, s0, s2, v8
	s_wait_alu 0xf1ff
	v_add_co_ci_u32_e64 v3, null, s3, 0, s0
	s_delay_alu instid0(VALU_DEP_1) | instskip(NEXT) | instid1(VALU_DEP_1)
	v_lshlrev_b64_e32 v[2:3], 3, v[2:3]
	v_add_co_u32 v2, vcc_lo, s14, v2
	s_wait_alu 0xfffd
	s_delay_alu instid0(VALU_DEP_2)
	v_add_co_ci_u32_e64 v3, null, s15, v3, vcc_lo
	global_store_b64 v[2:3], v[0:1], off offset:256
.LBB33_27:
	s_endpgm
	.section	.rodata,"a",@progbits
	.p2align	6, 0x0
	.amdhsa_kernel _ZN2at6native12_GLOBAL__N_135GammaBetaBackwardCUDAKernelTemplateIddLj64ELj16ELj128ELb0ELb1ELb0EEEvllPKT_S5_PKT0_S8_PS3_S9_
		.amdhsa_group_segment_fixed_size 0
		.amdhsa_private_segment_fixed_size 0
		.amdhsa_kernarg_size 320
		.amdhsa_user_sgpr_count 2
		.amdhsa_user_sgpr_dispatch_ptr 0
		.amdhsa_user_sgpr_queue_ptr 0
		.amdhsa_user_sgpr_kernarg_segment_ptr 1
		.amdhsa_user_sgpr_dispatch_id 0
		.amdhsa_user_sgpr_private_segment_size 0
		.amdhsa_wavefront_size32 1
		.amdhsa_uses_dynamic_stack 0
		.amdhsa_enable_private_segment 0
		.amdhsa_system_sgpr_workgroup_id_x 1
		.amdhsa_system_sgpr_workgroup_id_y 1
		.amdhsa_system_sgpr_workgroup_id_z 0
		.amdhsa_system_sgpr_workgroup_info 0
		.amdhsa_system_vgpr_workitem_id 1
		.amdhsa_next_free_vgpr 60
		.amdhsa_next_free_sgpr 27
		.amdhsa_reserve_vcc 1
		.amdhsa_float_round_mode_32 0
		.amdhsa_float_round_mode_16_64 0
		.amdhsa_float_denorm_mode_32 3
		.amdhsa_float_denorm_mode_16_64 3
		.amdhsa_fp16_overflow 0
		.amdhsa_workgroup_processor_mode 1
		.amdhsa_memory_ordered 1
		.amdhsa_forward_progress 1
		.amdhsa_inst_pref_size 22
		.amdhsa_round_robin_scheduling 0
		.amdhsa_exception_fp_ieee_invalid_op 0
		.amdhsa_exception_fp_denorm_src 0
		.amdhsa_exception_fp_ieee_div_zero 0
		.amdhsa_exception_fp_ieee_overflow 0
		.amdhsa_exception_fp_ieee_underflow 0
		.amdhsa_exception_fp_ieee_inexact 0
		.amdhsa_exception_int_div_zero 0
	.end_amdhsa_kernel
	.section	.text._ZN2at6native12_GLOBAL__N_135GammaBetaBackwardCUDAKernelTemplateIddLj64ELj16ELj128ELb0ELb1ELb0EEEvllPKT_S5_PKT0_S8_PS3_S9_,"axG",@progbits,_ZN2at6native12_GLOBAL__N_135GammaBetaBackwardCUDAKernelTemplateIddLj64ELj16ELj128ELb0ELb1ELb0EEEvllPKT_S5_PKT0_S8_PS3_S9_,comdat
.Lfunc_end33:
	.size	_ZN2at6native12_GLOBAL__N_135GammaBetaBackwardCUDAKernelTemplateIddLj64ELj16ELj128ELb0ELb1ELb0EEEvllPKT_S5_PKT0_S8_PS3_S9_, .Lfunc_end33-_ZN2at6native12_GLOBAL__N_135GammaBetaBackwardCUDAKernelTemplateIddLj64ELj16ELj128ELb0ELb1ELb0EEEvllPKT_S5_PKT0_S8_PS3_S9_
                                        ; -- End function
	.set _ZN2at6native12_GLOBAL__N_135GammaBetaBackwardCUDAKernelTemplateIddLj64ELj16ELj128ELb0ELb1ELb0EEEvllPKT_S5_PKT0_S8_PS3_S9_.num_vgpr, 60
	.set _ZN2at6native12_GLOBAL__N_135GammaBetaBackwardCUDAKernelTemplateIddLj64ELj16ELj128ELb0ELb1ELb0EEEvllPKT_S5_PKT0_S8_PS3_S9_.num_agpr, 0
	.set _ZN2at6native12_GLOBAL__N_135GammaBetaBackwardCUDAKernelTemplateIddLj64ELj16ELj128ELb0ELb1ELb0EEEvllPKT_S5_PKT0_S8_PS3_S9_.numbered_sgpr, 27
	.set _ZN2at6native12_GLOBAL__N_135GammaBetaBackwardCUDAKernelTemplateIddLj64ELj16ELj128ELb0ELb1ELb0EEEvllPKT_S5_PKT0_S8_PS3_S9_.num_named_barrier, 0
	.set _ZN2at6native12_GLOBAL__N_135GammaBetaBackwardCUDAKernelTemplateIddLj64ELj16ELj128ELb0ELb1ELb0EEEvllPKT_S5_PKT0_S8_PS3_S9_.private_seg_size, 0
	.set _ZN2at6native12_GLOBAL__N_135GammaBetaBackwardCUDAKernelTemplateIddLj64ELj16ELj128ELb0ELb1ELb0EEEvllPKT_S5_PKT0_S8_PS3_S9_.uses_vcc, 1
	.set _ZN2at6native12_GLOBAL__N_135GammaBetaBackwardCUDAKernelTemplateIddLj64ELj16ELj128ELb0ELb1ELb0EEEvllPKT_S5_PKT0_S8_PS3_S9_.uses_flat_scratch, 0
	.set _ZN2at6native12_GLOBAL__N_135GammaBetaBackwardCUDAKernelTemplateIddLj64ELj16ELj128ELb0ELb1ELb0EEEvllPKT_S5_PKT0_S8_PS3_S9_.has_dyn_sized_stack, 0
	.set _ZN2at6native12_GLOBAL__N_135GammaBetaBackwardCUDAKernelTemplateIddLj64ELj16ELj128ELb0ELb1ELb0EEEvllPKT_S5_PKT0_S8_PS3_S9_.has_recursion, 0
	.set _ZN2at6native12_GLOBAL__N_135GammaBetaBackwardCUDAKernelTemplateIddLj64ELj16ELj128ELb0ELb1ELb0EEEvllPKT_S5_PKT0_S8_PS3_S9_.has_indirect_call, 0
	.section	.AMDGPU.csdata,"",@progbits
; Kernel info:
; codeLenInByte = 2716
; TotalNumSgprs: 29
; NumVgprs: 60
; ScratchSize: 0
; MemoryBound: 0
; FloatMode: 240
; IeeeMode: 1
; LDSByteSize: 0 bytes/workgroup (compile time only)
; SGPRBlocks: 0
; VGPRBlocks: 7
; NumSGPRsForWavesPerEU: 29
; NumVGPRsForWavesPerEU: 60
; Occupancy: 16
; WaveLimiterHint : 0
; COMPUTE_PGM_RSRC2:SCRATCH_EN: 0
; COMPUTE_PGM_RSRC2:USER_SGPR: 2
; COMPUTE_PGM_RSRC2:TRAP_HANDLER: 0
; COMPUTE_PGM_RSRC2:TGID_X_EN: 1
; COMPUTE_PGM_RSRC2:TGID_Y_EN: 1
; COMPUTE_PGM_RSRC2:TGID_Z_EN: 0
; COMPUTE_PGM_RSRC2:TIDIG_COMP_CNT: 1
	.section	.text._ZN2at6native12_GLOBAL__N_135GammaBetaBackwardCUDAKernelTemplateIddLj64ELj16ELj128ELb0ELb0ELb0EEEvllPKT_S5_PKT0_S8_PS3_S9_,"axG",@progbits,_ZN2at6native12_GLOBAL__N_135GammaBetaBackwardCUDAKernelTemplateIddLj64ELj16ELj128ELb0ELb0ELb0EEEvllPKT_S5_PKT0_S8_PS3_S9_,comdat
	.globl	_ZN2at6native12_GLOBAL__N_135GammaBetaBackwardCUDAKernelTemplateIddLj64ELj16ELj128ELb0ELb0ELb0EEEvllPKT_S5_PKT0_S8_PS3_S9_ ; -- Begin function _ZN2at6native12_GLOBAL__N_135GammaBetaBackwardCUDAKernelTemplateIddLj64ELj16ELj128ELb0ELb0ELb0EEEvllPKT_S5_PKT0_S8_PS3_S9_
	.p2align	8
	.type	_ZN2at6native12_GLOBAL__N_135GammaBetaBackwardCUDAKernelTemplateIddLj64ELj16ELj128ELb0ELb0ELb0EEEvllPKT_S5_PKT0_S8_PS3_S9_,@function
_ZN2at6native12_GLOBAL__N_135GammaBetaBackwardCUDAKernelTemplateIddLj64ELj16ELj128ELb0ELb0ELb0EEEvllPKT_S5_PKT0_S8_PS3_S9_: ; @_ZN2at6native12_GLOBAL__N_135GammaBetaBackwardCUDAKernelTemplateIddLj64ELj16ELj128ELb0ELb0ELb0EEEvllPKT_S5_PKT0_S8_PS3_S9_
; %bb.0:
	s_clause 0x1
	s_load_b256 s[4:11], s[0:1], 0x0
	s_load_b128 s[12:15], s[0:1], 0x20
	s_lshl_b32 s30, ttmp9, 6
	s_mov_b32 s17, 0
	s_or_b32 s16, s30, 63
	s_wait_kmcnt 0x0
	v_cmp_le_i64_e64 s2, s[6:7], s[16:17]
	s_lshl_b32 s16, ttmp7, 7
	s_wait_alu 0xfffe
	v_cmp_gt_i64_e64 s31, s[4:5], s[16:17]
	s_and_b32 vcc_lo, exec_lo, s2
	v_cndmask_b32_e64 v1, 0, 1, s31
	s_delay_alu instid0(VALU_DEP_1)
	v_cmp_ne_u32_e64 s2, 1, v1
	s_cbranch_vccz .LBB34_48
; %bb.1:
	v_mov_b32_e32 v36, 0
	v_dual_mov_b32 v37, 0 :: v_dual_mov_b32 v34, 0
	v_mov_b32_e32 v35, 0
	s_and_b32 vcc_lo, exec_lo, s2
	s_cbranch_vccnz .LBB34_49
; %bb.2:
	v_bfe_u32 v44, v0, 10, 10
	v_dual_mov_b32 v1, 0 :: v_dual_and_b32 v46, 0x3ff, v0
	s_load_b32 s3, s[0:1], 0x44
	s_mov_b32 s19, 0
	s_delay_alu instid0(VALU_DEP_2) | instskip(NEXT) | instid1(VALU_DEP_2)
	v_dual_mov_b32 v34, 0 :: v_dual_lshlrev_b32 v45, 3, v44
	v_dual_mov_b32 v3, v1 :: v_dual_add_nc_u32 v2, s30, v46
	s_mov_b32 s23, s19
	s_delay_alu instid0(VALU_DEP_2) | instskip(NEXT) | instid1(VALU_DEP_1)
	v_add_co_u32 v10, s2, v45, s16
	v_add_co_ci_u32_e64 v11, null, 0, 0, s2
	s_delay_alu instid0(VALU_DEP_3) | instskip(NEXT) | instid1(VALU_DEP_3)
	v_cmp_gt_i64_e64 s2, s[6:7], v[2:3]
	v_mul_lo_u32 v6, s7, v10
	v_mad_co_u64_u32 v[4:5], null, s6, v10, 0
	s_delay_alu instid0(VALU_DEP_4) | instskip(SKIP_1) | instid1(VALU_DEP_1)
	v_mul_lo_u32 v7, s6, v11
	v_add_co_u32 v8, vcc_lo, v10, 7
	v_add_co_ci_u32_e64 v9, null, 0, v11, vcc_lo
	v_lshlrev_b64_e32 v[38:39], 3, v[2:3]
	s_delay_alu instid0(VALU_DEP_3)
	v_mul_lo_u32 v12, s7, v8
	s_wait_kmcnt 0x0
	s_lshl_b32 s22, s3, 7
	v_add3_u32 v5, v5, v7, v6
	v_mad_co_u64_u32 v[6:7], null, s6, v8, 0
	v_add_co_u32 v8, vcc_lo, v10, 6
	v_mul_lo_u32 v13, s6, v9
	s_wait_alu 0xfffd
	v_add_co_ci_u32_e64 v9, null, 0, v11, vcc_lo
	v_lshlrev_b64_e32 v[2:3], 3, v[4:5]
	v_mul_lo_u32 v14, s7, v8
	v_dual_mov_b32 v35, 0 :: v_dual_mov_b32 v36, 0
	s_delay_alu instid0(VALU_DEP_4)
	v_mul_lo_u32 v15, s6, v9
	v_mad_co_u64_u32 v[8:9], null, s6, v8, 0
	v_add_co_u32 v47, vcc_lo, s8, v2
	s_wait_alu 0xfffd
	v_add_co_ci_u32_e64 v48, null, s9, v3, vcc_lo
	v_add_co_u32 v49, vcc_lo, s10, v2
	v_add3_u32 v7, v7, v13, v12
	s_wait_alu 0xfffd
	v_add_co_ci_u32_e64 v50, null, s11, v3, vcc_lo
	v_add_co_u32 v12, vcc_lo, v10, 5
	v_add3_u32 v9, v9, v15, v14
	s_wait_alu 0xfffd
	v_add_co_ci_u32_e64 v13, null, 0, v11, vcc_lo
	v_lshlrev_b64_e32 v[2:3], 3, v[6:7]
	v_mul_lo_u32 v14, s7, v12
	v_lshlrev_b64_e32 v[6:7], 3, v[8:9]
	s_delay_alu instid0(VALU_DEP_4)
	v_mul_lo_u32 v13, s6, v13
	v_mad_co_u64_u32 v[8:9], null, s6, v12, 0
	v_add_co_u32 v51, vcc_lo, s8, v2
	s_wait_alu 0xfffd
	v_add_co_ci_u32_e64 v52, null, s9, v3, vcc_lo
	v_add_co_u32 v53, vcc_lo, s10, v2
	s_wait_alu 0xfffd
	v_add_co_ci_u32_e64 v54, null, s11, v3, vcc_lo
	v_add_co_u32 v55, vcc_lo, s8, v6
	v_add3_u32 v9, v9, v13, v14
	s_wait_alu 0xfffd
	v_add_co_ci_u32_e64 v56, null, s9, v7, vcc_lo
	v_add_co_u32 v12, vcc_lo, v10, 4
	v_add_co_u32 v57, s3, s10, v6
	s_wait_alu 0xfffd
	v_add_co_ci_u32_e64 v6, null, 0, v11, vcc_lo
	v_lshlrev_b64_e32 v[2:3], 3, v[8:9]
	v_add_co_u32 v8, vcc_lo, v10, 3
	s_wait_alu 0xfffd
	v_add_co_ci_u32_e64 v9, null, 0, v11, vcc_lo
	s_wait_alu 0xf1ff
	v_add_co_ci_u32_e64 v58, null, s11, v7, s3
	v_mul_lo_u32 v13, s7, v12
	v_mul_lo_u32 v14, s6, v6
	v_mad_co_u64_u32 v[6:7], null, s6, v12, 0
	v_mul_lo_u32 v12, s7, v8
	v_mul_lo_u32 v15, s6, v9
	v_mad_co_u64_u32 v[8:9], null, s6, v8, 0
	v_add_co_u32 v59, vcc_lo, s8, v2
	s_wait_alu 0xfffd
	v_add_co_ci_u32_e64 v60, null, s9, v3, vcc_lo
	v_add3_u32 v7, v7, v14, v13
	v_add_co_u32 v61, vcc_lo, s10, v2
	s_wait_alu 0xfffd
	v_add_co_ci_u32_e64 v62, null, s11, v3, vcc_lo
	v_add_co_u32 v10, vcc_lo, v10, 2
	v_add3_u32 v9, v9, v15, v12
	s_wait_alu 0xfffd
	v_add_co_ci_u32_e64 v11, null, 0, v11, vcc_lo
	v_lshlrev_b64_e32 v[2:3], 3, v[6:7]
	v_mul_lo_u32 v12, s7, v10
	v_lshlrev_b64_e32 v[6:7], 3, v[8:9]
	s_delay_alu instid0(VALU_DEP_4)
	v_mul_lo_u32 v11, s6, v11
	v_mad_co_u64_u32 v[8:9], null, s6, v10, 0
	v_add_co_u32 v63, vcc_lo, s8, v2
	s_wait_alu 0xfffd
	v_add_co_ci_u32_e64 v64, null, s9, v3, vcc_lo
	v_add_co_u32 v65, vcc_lo, s10, v2
	s_wait_alu 0xfffd
	v_add_co_ci_u32_e64 v66, null, s11, v3, vcc_lo
	;; [unrolled: 3-line block ×3, first 2 shown]
	v_add3_u32 v9, v9, v11, v12
	v_add_co_u32 v69, vcc_lo, s10, v6
	s_wait_alu 0xfffd
	v_add_co_ci_u32_e64 v70, null, s11, v7, vcc_lo
	v_add_co_u32 v4, vcc_lo, v4, s6
	s_wait_alu 0xfffd
	v_add_co_ci_u32_e64 v5, null, s7, v5, vcc_lo
	v_lshlrev_b64_e32 v[2:3], 3, v[8:9]
	v_mov_b32_e32 v37, 0
	s_mul_u64 s[24:25], s[6:7], s[22:23]
	s_delay_alu instid0(VALU_DEP_3)
	v_lshlrev_b64_e32 v[4:5], 3, v[4:5]
	s_add_nc_u64 s[20:21], s[0:1], 64
	s_lshl_b64 s[24:25], s[24:25], 3
	v_add_co_u32 v71, vcc_lo, s8, v2
	s_wait_alu 0xfffd
	v_add_co_ci_u32_e64 v72, null, s9, v3, vcc_lo
	v_add_co_u32 v73, vcc_lo, s10, v2
	s_wait_alu 0xfffd
	v_add_co_ci_u32_e64 v74, null, s11, v3, vcc_lo
	;; [unrolled: 3-line block ×4, first 2 shown]
	s_add_nc_u64 s[26:27], s[16:17], 0x7f
	s_mov_b64 s[28:29], s[16:17]
	s_branch .LBB34_5
.LBB34_3:                               ;   in Loop: Header=BB34_5 Depth=1
	s_wait_alu 0xfffe
	s_or_b32 exec_lo, exec_lo, s3
	s_wait_loadcnt 0x1
	ds_bpermute_b32 v79, v1, v40
	ds_bpermute_b32 v80, v1, v41
	s_wait_loadcnt 0x0
	ds_bpermute_b32 v81, v1, v42
	ds_bpermute_b32 v82, v1, v43
	s_wait_dscnt 0x2
	v_add_f64_e64 v[18:19], v[18:19], -v[79:80]
	ds_bpermute_b32 v79, v1, v40 offset:4
	ds_bpermute_b32 v80, v1, v41 offset:4
	s_wait_dscnt 0x0
	v_add_f64_e64 v[20:21], v[20:21], -v[79:80]
	ds_bpermute_b32 v79, v1, v40 offset:8
	ds_bpermute_b32 v80, v1, v41 offset:8
	v_mul_f64_e32 v[18:19], v[2:3], v[18:19]
	v_add_f64_e32 v[2:3], v[36:37], v[2:3]
	ds_bpermute_b32 v36, v1, v42 offset:4
	ds_bpermute_b32 v37, v1, v43 offset:4
	s_wait_dscnt 0x2
	v_add_f64_e64 v[22:23], v[22:23], -v[79:80]
	v_mul_f64_e32 v[20:21], v[4:5], v[20:21]
	v_fma_f64 v[18:19], v[18:19], v[81:82], v[34:35]
	ds_bpermute_b32 v34, v1, v40 offset:12
	ds_bpermute_b32 v35, v1, v41 offset:12
	v_add_f64_e32 v[2:3], v[4:5], v[2:3]
	ds_bpermute_b32 v4, v1, v40 offset:16
	ds_bpermute_b32 v5, v1, v41 offset:16
	v_mul_f64_e32 v[22:23], v[6:7], v[22:23]
	s_wait_dscnt 0x2
	v_add_f64_e64 v[24:25], v[24:25], -v[34:35]
	s_wait_dscnt 0x0
	v_add_f64_e64 v[4:5], v[26:27], -v[4:5]
	v_fma_f64 v[18:19], v[20:21], v[36:37], v[18:19]
	ds_bpermute_b32 v20, v1, v42 offset:8
	ds_bpermute_b32 v21, v1, v43 offset:8
	v_add_f64_e32 v[2:3], v[6:7], v[2:3]
	ds_bpermute_b32 v6, v1, v40 offset:20
	ds_bpermute_b32 v7, v1, v41 offset:20
	v_mul_f64_e32 v[24:25], v[8:9], v[24:25]
	s_wait_dscnt 0x0
	v_add_f64_e64 v[6:7], v[28:29], -v[6:7]
	v_mul_f64_e32 v[4:5], v[10:11], v[4:5]
	v_fma_f64 v[18:19], v[22:23], v[20:21], v[18:19]
	ds_bpermute_b32 v20, v1, v42 offset:12
	ds_bpermute_b32 v21, v1, v43 offset:12
	v_add_f64_e32 v[2:3], v[8:9], v[2:3]
	ds_bpermute_b32 v8, v1, v40 offset:24
	ds_bpermute_b32 v9, v1, v41 offset:24
	s_wait_dscnt 0x0
	v_add_f64_e64 v[8:9], v[30:31], -v[8:9]
	v_mul_f64_e32 v[6:7], v[12:13], v[6:7]
	v_fma_f64 v[18:19], v[24:25], v[20:21], v[18:19]
	ds_bpermute_b32 v20, v1, v42 offset:16
	ds_bpermute_b32 v21, v1, v43 offset:16
	v_add_f64_e32 v[2:3], v[10:11], v[2:3]
	ds_bpermute_b32 v10, v1, v42 offset:20
	ds_bpermute_b32 v11, v1, v43 offset:20
	v_mul_f64_e32 v[8:9], v[14:15], v[8:9]
	s_wait_dscnt 0x2
	v_fma_f64 v[4:5], v[4:5], v[20:21], v[18:19]
	s_wait_dscnt 0x0
	s_delay_alu instid0(VALU_DEP_1)
	v_fma_f64 v[4:5], v[6:7], v[10:11], v[4:5]
	v_add_f64_e32 v[6:7], v[12:13], v[2:3]
	ds_bpermute_b32 v2, v1, v42 offset:24
	ds_bpermute_b32 v3, v1, v43 offset:24
	;; [unrolled: 1-line block ×4, first 2 shown]
	s_wait_dscnt 0x2
	v_fma_f64 v[2:3], v[8:9], v[2:3], v[4:5]
	v_add_f64_e32 v[4:5], v[14:15], v[6:7]
	ds_bpermute_b32 v6, v1, v40 offset:28
	ds_bpermute_b32 v7, v1, v41 offset:28
.LBB34_4:                               ;   in Loop: Header=BB34_5 Depth=1
	s_wait_dscnt 0x0
	v_add_f64_e64 v[6:7], v[32:33], -v[6:7]
	v_add_f64_e32 v[36:37], v[4:5], v[16:17]
	v_add_co_u32 v47, vcc_lo, v47, s24
	s_wait_alu 0xfffd
	v_add_co_ci_u32_e64 v48, null, s25, v48, vcc_lo
	v_add_co_u32 v49, vcc_lo, v49, s24
	s_wait_alu 0xfffd
	v_add_co_ci_u32_e64 v50, null, s25, v50, vcc_lo
	;; [unrolled: 3-line block ×9, first 2 shown]
	v_mul_f64_e32 v[6:7], v[16:17], v[6:7]
	v_add_co_u32 v65, vcc_lo, v65, s24
	s_wait_alu 0xfffd
	v_add_co_ci_u32_e64 v66, null, s25, v66, vcc_lo
	v_add_co_u32 v67, vcc_lo, v67, s24
	s_wait_alu 0xfffd
	v_add_co_ci_u32_e64 v68, null, s25, v68, vcc_lo
	;; [unrolled: 3-line block ×4, first 2 shown]
	v_add_co_u32 v73, vcc_lo, v73, s24
	s_add_nc_u64 s[28:29], s[28:29], s[22:23]
	s_wait_alu 0xfffd
	v_add_co_ci_u32_e64 v74, null, s25, v74, vcc_lo
	v_add_co_u32 v75, vcc_lo, v75, s24
	s_wait_alu 0xfffe
	v_cmp_lt_i64_e64 s3, s[28:29], s[4:5]
	s_wait_alu 0xfffd
	v_add_co_ci_u32_e64 v76, null, s25, v76, vcc_lo
	v_add_co_u32 v77, vcc_lo, v77, s24
	s_wait_alu 0xfffd
	v_add_co_ci_u32_e64 v78, null, s25, v78, vcc_lo
	s_and_b32 vcc_lo, exec_lo, s3
	s_add_nc_u64 s[26:27], s[26:27], s[22:23]
	v_fma_f64 v[34:35], v[6:7], v[42:43], v[2:3]
	s_wait_alu 0xfffe
	s_cbranch_vccz .LBB34_49
.LBB34_5:                               ; =>This Inner Loop Header: Depth=1
	v_cmp_ge_i64_e64 s3, s[26:27], s[4:5]
	v_add_co_u32 v79, s18, v45, s26
	s_wait_alu 0xf1ff
	v_add_co_ci_u32_e64 v80, null, 0, s27, s18
                                        ; implicit-def: $vgpr2_vgpr3_vgpr4_vgpr5_vgpr6_vgpr7_vgpr8_vgpr9_vgpr10_vgpr11_vgpr12_vgpr13_vgpr14_vgpr15_vgpr16_vgpr17
                                        ; implicit-def: $vgpr42_vgpr43
                                        ; implicit-def: $vgpr18_vgpr19_vgpr20_vgpr21_vgpr22_vgpr23_vgpr24_vgpr25_vgpr26_vgpr27_vgpr28_vgpr29_vgpr30_vgpr31_vgpr32_vgpr33
                                        ; implicit-def: $vgpr6
	s_and_b32 vcc_lo, exec_lo, s3
	s_mov_b32 s3, -1
                                        ; implicit-def: $vgpr4_vgpr5
                                        ; implicit-def: $vgpr2_vgpr3
	s_wait_alu 0xfffe
	s_cbranch_vccz .LBB34_27
; %bb.6:                                ;   in Loop: Header=BB34_5 Depth=1
	s_load_b32 s3, s[20:21], 0xc
	v_mov_b32_e32 v42, 0
	v_mov_b32_e32 v40, 0
	;; [unrolled: 1-line block ×4, first 2 shown]
	s_wait_kmcnt 0x0
	s_and_b32 s3, s3, 0xffff
	s_wait_alu 0xfffe
	v_mad_u32_u24 v2, v44, s3, v46
	s_mov_b32 s3, exec_lo
	s_delay_alu instid0(VALU_DEP_1) | instskip(NEXT) | instid1(VALU_DEP_1)
	v_and_b32_e32 v2, 31, v2
	v_cmpx_gt_u32_e32 8, v2
	s_cbranch_execz .LBB34_10
; %bb.7:                                ;   in Loop: Header=BB34_5 Depth=1
	v_add_co_u32 v2, vcc_lo, v79, v2
	s_wait_alu 0xfffd
	v_add_co_ci_u32_e64 v3, null, 0, v80, vcc_lo
	v_mov_b32_e32 v40, 0
	s_delay_alu instid0(VALU_DEP_3)
	v_add_co_u32 v2, vcc_lo, 0xffffff81, v2
	v_dual_mov_b32 v41, 0 :: v_dual_mov_b32 v42, 0
	s_wait_alu 0xfffd
	v_add_co_ci_u32_e64 v3, null, -1, v3, vcc_lo
	v_mov_b32_e32 v43, 0
	s_mov_b32 s18, exec_lo
	s_delay_alu instid0(VALU_DEP_2)
	v_cmpx_gt_i64_e64 s[4:5], v[2:3]
	s_cbranch_execz .LBB34_9
; %bb.8:                                ;   in Loop: Header=BB34_5 Depth=1
	v_lshlrev_b64_e32 v[2:3], 3, v[2:3]
	s_delay_alu instid0(VALU_DEP_1) | instskip(SKIP_1) | instid1(VALU_DEP_2)
	v_add_co_u32 v4, vcc_lo, s12, v2
	s_wait_alu 0xfffd
	v_add_co_ci_u32_e64 v5, null, s13, v3, vcc_lo
	v_add_co_u32 v2, vcc_lo, s14, v2
	s_wait_alu 0xfffd
	v_add_co_ci_u32_e64 v3, null, s15, v3, vcc_lo
	global_load_b64 v[40:41], v[4:5], off
	global_load_b64 v[42:43], v[2:3], off
.LBB34_9:                               ;   in Loop: Header=BB34_5 Depth=1
	s_wait_alu 0xfffe
	s_or_b32 exec_lo, exec_lo, s18
.LBB34_10:                              ;   in Loop: Header=BB34_5 Depth=1
	s_wait_alu 0xfffe
	s_or_b32 exec_lo, exec_lo, s3
	v_add_co_u32 v17, vcc_lo, 0xffffff81, v79
	s_wait_alu 0xfffd
	v_add_co_ci_u32_e64 v18, null, -1, v80, vcc_lo
	v_mov_b32_e32 v16, v1
	v_dual_mov_b32 v2, v1 :: v_dual_mov_b32 v3, v1
	v_dual_mov_b32 v4, v1 :: v_dual_mov_b32 v5, v1
	;; [unrolled: 1-line block ×7, first 2 shown]
	v_cmp_gt_i64_e32 vcc_lo, s[4:5], v[17:18]
	s_delay_alu instid0(VALU_DEP_3) | instskip(NEXT) | instid1(VALU_DEP_3)
	v_dual_mov_b32 v33, v16 :: v_dual_mov_b32 v30, v13
	v_dual_mov_b32 v31, v14 :: v_dual_mov_b32 v32, v15
	;; [unrolled: 1-line block ×8, first 2 shown]
	v_mov_b32_e32 v17, v16
	v_mov_b32_e32 v16, v15
	v_mov_b32_e32 v15, v14
	v_mov_b32_e32 v14, v13
	v_mov_b32_e32 v13, v12
	v_mov_b32_e32 v12, v11
	v_mov_b32_e32 v11, v10
	v_mov_b32_e32 v10, v9
	v_mov_b32_e32 v9, v8
	v_mov_b32_e32 v8, v7
	v_mov_b32_e32 v7, v6
	v_mov_b32_e32 v6, v5
	v_mov_b32_e32 v5, v4
	v_mov_b32_e32 v4, v3
	v_mov_b32_e32 v3, v2
	v_mov_b32_e32 v2, v1
	s_and_b32 s18, s2, vcc_lo
	s_wait_alu 0xfffe
	s_and_saveexec_b32 s3, s18
	s_cbranch_execz .LBB34_12
; %bb.11:                               ;   in Loop: Header=BB34_5 Depth=1
	v_add_co_u32 v2, vcc_lo, v47, v38
	s_wait_alu 0xfffd
	v_add_co_ci_u32_e64 v3, null, v48, v39, vcc_lo
	v_add_co_u32 v4, vcc_lo, v49, v38
	s_wait_alu 0xfffd
	v_add_co_ci_u32_e64 v5, null, v50, v39, vcc_lo
	global_load_b64 v[2:3], v[2:3], off
	global_load_b64 v[18:19], v[4:5], off
	v_dual_mov_b32 v4, v1 :: v_dual_mov_b32 v5, v1
	v_dual_mov_b32 v6, v1 :: v_dual_mov_b32 v7, v1
	;; [unrolled: 1-line block ×14, first 2 shown]
.LBB34_12:                              ;   in Loop: Header=BB34_5 Depth=1
	s_wait_alu 0xfffe
	s_or_b32 exec_lo, exec_lo, s3
	v_add_co_u32 v81, vcc_lo, 0xffffff82, v79
	s_wait_alu 0xfffd
	v_add_co_ci_u32_e64 v82, null, -1, v80, vcc_lo
	s_delay_alu instid0(VALU_DEP_1)
	v_cmp_gt_i64_e32 vcc_lo, s[4:5], v[81:82]
	s_and_b32 s18, s2, vcc_lo
	s_wait_alu 0xfffe
	s_and_saveexec_b32 s3, s18
	s_cbranch_execz .LBB34_14
; %bb.13:                               ;   in Loop: Header=BB34_5 Depth=1
	v_add_co_u32 v4, vcc_lo, v75, v38
	s_wait_alu 0xfffd
	v_add_co_ci_u32_e64 v5, null, v76, v39, vcc_lo
	v_add_co_u32 v20, vcc_lo, v77, v38
	s_wait_alu 0xfffd
	v_add_co_ci_u32_e64 v21, null, v78, v39, vcc_lo
	global_load_b64 v[4:5], v[4:5], off
	global_load_b64 v[20:21], v[20:21], off
.LBB34_14:                              ;   in Loop: Header=BB34_5 Depth=1
	s_wait_alu 0xfffe
	s_or_b32 exec_lo, exec_lo, s3
	v_add_co_u32 v81, vcc_lo, 0xffffff83, v79
	s_wait_alu 0xfffd
	v_add_co_ci_u32_e64 v82, null, -1, v80, vcc_lo
	s_delay_alu instid0(VALU_DEP_1)
	v_cmp_gt_i64_e32 vcc_lo, s[4:5], v[81:82]
	s_and_b32 s18, s2, vcc_lo
	s_wait_alu 0xfffe
	s_and_saveexec_b32 s3, s18
	s_cbranch_execz .LBB34_16
; %bb.15:                               ;   in Loop: Header=BB34_5 Depth=1
	v_add_co_u32 v6, vcc_lo, v71, v38
	s_wait_alu 0xfffd
	v_add_co_ci_u32_e64 v7, null, v72, v39, vcc_lo
	v_add_co_u32 v22, vcc_lo, v73, v38
	s_wait_alu 0xfffd
	v_add_co_ci_u32_e64 v23, null, v74, v39, vcc_lo
	global_load_b64 v[6:7], v[6:7], off
	global_load_b64 v[22:23], v[22:23], off
.LBB34_16:                              ;   in Loop: Header=BB34_5 Depth=1
	;; [unrolled: 21-line block ×7, first 2 shown]
	s_wait_alu 0xfffe
	s_or_b32 exec_lo, exec_lo, s3
	s_wait_loadcnt 0x1
	ds_bpermute_b32 v81, v1, v40
	ds_bpermute_b32 v82, v1, v41
	s_wait_loadcnt 0x0
	ds_bpermute_b32 v83, v1, v42
	ds_bpermute_b32 v84, v1, v43
	s_mov_b32 s3, 0
	s_wait_dscnt 0x2
	v_add_f64_e64 v[18:19], v[18:19], -v[81:82]
	ds_bpermute_b32 v81, v1, v40 offset:4
	ds_bpermute_b32 v82, v1, v41 offset:4
	s_wait_dscnt 0x0
	v_add_f64_e64 v[20:21], v[20:21], -v[81:82]
	ds_bpermute_b32 v81, v1, v40 offset:8
	ds_bpermute_b32 v82, v1, v41 offset:8
	v_mul_f64_e32 v[18:19], v[2:3], v[18:19]
	v_add_f64_e32 v[2:3], v[36:37], v[2:3]
	s_wait_dscnt 0x0
	v_add_f64_e64 v[22:23], v[22:23], -v[81:82]
	ds_bpermute_b32 v81, v1, v40 offset:12
	ds_bpermute_b32 v82, v1, v41 offset:12
	v_mul_f64_e32 v[20:21], v[4:5], v[20:21]
	s_wait_dscnt 0x0
	v_add_f64_e64 v[24:25], v[24:25], -v[81:82]
	v_fma_f64 v[18:19], v[18:19], v[83:84], v[34:35]
	ds_bpermute_b32 v83, v1, v42 offset:4
	ds_bpermute_b32 v84, v1, v43 offset:4
	v_add_f64_e32 v[2:3], v[4:5], v[2:3]
	ds_bpermute_b32 v4, v1, v40 offset:16
	ds_bpermute_b32 v5, v1, v41 offset:16
	v_mul_f64_e32 v[22:23], v[6:7], v[22:23]
	s_wait_dscnt 0x0
	v_add_f64_e64 v[4:5], v[26:27], -v[4:5]
	v_mul_f64_e32 v[24:25], v[8:9], v[24:25]
	v_fma_f64 v[18:19], v[20:21], v[83:84], v[18:19]
	ds_bpermute_b32 v20, v1, v42 offset:8
	ds_bpermute_b32 v21, v1, v43 offset:8
	v_add_f64_e32 v[2:3], v[6:7], v[2:3]
	ds_bpermute_b32 v6, v1, v40 offset:20
	ds_bpermute_b32 v7, v1, v41 offset:20
	s_wait_dscnt 0x0
	v_add_f64_e64 v[6:7], v[28:29], -v[6:7]
	v_mul_f64_e32 v[4:5], v[10:11], v[4:5]
	v_fma_f64 v[18:19], v[22:23], v[20:21], v[18:19]
	ds_bpermute_b32 v20, v1, v42 offset:12
	ds_bpermute_b32 v21, v1, v43 offset:12
	v_add_f64_e32 v[2:3], v[8:9], v[2:3]
	ds_bpermute_b32 v8, v1, v40 offset:24
	ds_bpermute_b32 v9, v1, v41 offset:24
	;; [unrolled: 9-line block ×3, first 2 shown]
	v_mul_f64_e32 v[8:9], v[14:15], v[8:9]
	s_wait_dscnt 0x2
	v_fma_f64 v[4:5], v[4:5], v[20:21], v[18:19]
	s_wait_dscnt 0x0
	s_delay_alu instid0(VALU_DEP_1)
	v_fma_f64 v[4:5], v[6:7], v[10:11], v[4:5]
	v_add_f64_e32 v[6:7], v[12:13], v[2:3]
	ds_bpermute_b32 v2, v1, v42 offset:24
	ds_bpermute_b32 v3, v1, v43 offset:24
	;; [unrolled: 1-line block ×4, first 2 shown]
	s_wait_dscnt 0x2
	v_fma_f64 v[2:3], v[8:9], v[2:3], v[4:5]
	v_add_f64_e32 v[4:5], v[14:15], v[6:7]
	ds_bpermute_b32 v6, v1, v40 offset:28
	ds_bpermute_b32 v7, v1, v41 offset:28
.LBB34_27:                              ;   in Loop: Header=BB34_5 Depth=1
	s_wait_alu 0xfffe
	s_and_b32 vcc_lo, exec_lo, s3
	s_wait_alu 0xfffe
	s_cbranch_vccz .LBB34_4
; %bb.28:                               ;   in Loop: Header=BB34_5 Depth=1
	s_load_b32 s3, s[20:21], 0x0
	s_wait_dscnt 0x2
	v_mov_b32_e32 v42, 0
	v_mov_b32_e32 v40, 0
	;; [unrolled: 1-line block ×4, first 2 shown]
	s_wait_kmcnt 0x0
	s_cmp_lt_u32 ttmp9, s3
	s_cselect_b32 s18, 12, 18
	s_wait_alu 0xfffe
	s_add_nc_u64 s[34:35], s[20:21], s[18:19]
	s_load_u16 s3, s[34:35], 0x0
	s_wait_kmcnt 0x0
	v_mad_u32_u24 v2, v44, s3, v46
	s_mov_b32 s3, exec_lo
	s_delay_alu instid0(VALU_DEP_1) | instskip(NEXT) | instid1(VALU_DEP_1)
	v_and_b32_e32 v2, 31, v2
	v_cmpx_gt_u32_e32 8, v2
	s_cbranch_execz .LBB34_32
; %bb.29:                               ;   in Loop: Header=BB34_5 Depth=1
	v_add_co_u32 v2, vcc_lo, v79, v2
	s_wait_alu 0xfffd
	v_add_co_ci_u32_e64 v3, null, 0, v80, vcc_lo
	v_mov_b32_e32 v40, 0
	s_delay_alu instid0(VALU_DEP_3)
	v_add_co_u32 v2, vcc_lo, 0xffffff81, v2
	v_dual_mov_b32 v41, 0 :: v_dual_mov_b32 v42, 0
	s_wait_alu 0xfffd
	v_add_co_ci_u32_e64 v3, null, -1, v3, vcc_lo
	v_mov_b32_e32 v43, 0
	s_mov_b32 s18, exec_lo
	s_delay_alu instid0(VALU_DEP_2)
	v_cmpx_gt_i64_e64 s[4:5], v[2:3]
	s_cbranch_execz .LBB34_31
; %bb.30:                               ;   in Loop: Header=BB34_5 Depth=1
	v_lshlrev_b64_e32 v[2:3], 3, v[2:3]
	s_delay_alu instid0(VALU_DEP_1) | instskip(SKIP_1) | instid1(VALU_DEP_2)
	v_add_co_u32 v4, vcc_lo, s12, v2
	s_wait_alu 0xfffd
	v_add_co_ci_u32_e64 v5, null, s13, v3, vcc_lo
	v_add_co_u32 v2, vcc_lo, s14, v2
	s_wait_alu 0xfffd
	v_add_co_ci_u32_e64 v3, null, s15, v3, vcc_lo
	global_load_b64 v[40:41], v[4:5], off
	global_load_b64 v[42:43], v[2:3], off
.LBB34_31:                              ;   in Loop: Header=BB34_5 Depth=1
	s_wait_alu 0xfffe
	s_or_b32 exec_lo, exec_lo, s18
.LBB34_32:                              ;   in Loop: Header=BB34_5 Depth=1
	s_wait_alu 0xfffe
	s_or_b32 exec_lo, exec_lo, s3
	v_mov_b32_e32 v16, v1
	v_dual_mov_b32 v2, v1 :: v_dual_mov_b32 v3, v1
	v_dual_mov_b32 v4, v1 :: v_dual_mov_b32 v5, v1
	s_wait_dscnt 0x0
	v_dual_mov_b32 v6, v1 :: v_dual_mov_b32 v7, v1
	v_dual_mov_b32 v8, v1 :: v_dual_mov_b32 v9, v1
	;; [unrolled: 1-line block ×5, first 2 shown]
	v_mov_b32_e32 v33, v16
	s_delay_alu instid0(VALU_DEP_3) | instskip(NEXT) | instid1(VALU_DEP_3)
	v_dual_mov_b32 v29, v12 :: v_dual_mov_b32 v28, v11
	v_dual_mov_b32 v31, v14 :: v_dual_mov_b32 v30, v13
	s_delay_alu instid0(VALU_DEP_4)
	v_dual_mov_b32 v32, v15 :: v_dual_mov_b32 v27, v10
	v_dual_mov_b32 v26, v9 :: v_dual_mov_b32 v25, v8
	;; [unrolled: 1-line block ×6, first 2 shown]
	v_mov_b32_e32 v16, v15
	v_mov_b32_e32 v15, v14
	;; [unrolled: 1-line block ×15, first 2 shown]
	s_and_saveexec_b32 s3, s2
	s_cbranch_execnz .LBB34_40
; %bb.33:                               ;   in Loop: Header=BB34_5 Depth=1
	s_wait_alu 0xfffe
	s_or_b32 exec_lo, exec_lo, s3
	s_and_saveexec_b32 s3, s2
	s_cbranch_execnz .LBB34_41
.LBB34_34:                              ;   in Loop: Header=BB34_5 Depth=1
	s_wait_alu 0xfffe
	s_or_b32 exec_lo, exec_lo, s3
	s_and_saveexec_b32 s3, s2
	s_cbranch_execnz .LBB34_42
.LBB34_35:                              ;   in Loop: Header=BB34_5 Depth=1
	s_wait_alu 0xfffe
	s_or_b32 exec_lo, exec_lo, s3
	s_and_saveexec_b32 s3, s2
	s_cbranch_execnz .LBB34_43
.LBB34_36:                              ;   in Loop: Header=BB34_5 Depth=1
	s_wait_alu 0xfffe
	s_or_b32 exec_lo, exec_lo, s3
	s_and_saveexec_b32 s3, s2
	s_cbranch_execnz .LBB34_44
.LBB34_37:                              ;   in Loop: Header=BB34_5 Depth=1
	s_wait_alu 0xfffe
	s_or_b32 exec_lo, exec_lo, s3
	s_and_saveexec_b32 s3, s2
	s_cbranch_execnz .LBB34_45
.LBB34_38:                              ;   in Loop: Header=BB34_5 Depth=1
	s_wait_alu 0xfffe
	s_or_b32 exec_lo, exec_lo, s3
	s_and_saveexec_b32 s3, s2
	s_cbranch_execnz .LBB34_46
.LBB34_39:                              ;   in Loop: Header=BB34_5 Depth=1
	s_wait_alu 0xfffe
	s_or_b32 exec_lo, exec_lo, s3
	s_and_saveexec_b32 s3, s2
	s_cbranch_execz .LBB34_3
	s_branch .LBB34_47
.LBB34_40:                              ;   in Loop: Header=BB34_5 Depth=1
	v_add_co_u32 v2, vcc_lo, v47, v38
	s_wait_alu 0xfffd
	v_add_co_ci_u32_e64 v3, null, v48, v39, vcc_lo
	v_add_co_u32 v4, vcc_lo, v49, v38
	s_wait_alu 0xfffd
	v_add_co_ci_u32_e64 v5, null, v50, v39, vcc_lo
	global_load_b64 v[2:3], v[2:3], off
	global_load_b64 v[18:19], v[4:5], off
	v_dual_mov_b32 v4, v1 :: v_dual_mov_b32 v5, v1
	v_dual_mov_b32 v6, v1 :: v_dual_mov_b32 v7, v1
	v_dual_mov_b32 v8, v1 :: v_dual_mov_b32 v9, v1
	v_dual_mov_b32 v10, v1 :: v_dual_mov_b32 v11, v1
	v_dual_mov_b32 v12, v1 :: v_dual_mov_b32 v13, v1
	v_dual_mov_b32 v14, v1 :: v_dual_mov_b32 v15, v1
	v_dual_mov_b32 v16, v1 :: v_dual_mov_b32 v17, v1
	v_dual_mov_b32 v20, v1 :: v_dual_mov_b32 v21, v1
	v_dual_mov_b32 v22, v1 :: v_dual_mov_b32 v23, v1
	v_dual_mov_b32 v24, v1 :: v_dual_mov_b32 v25, v1
	v_dual_mov_b32 v26, v1 :: v_dual_mov_b32 v27, v1
	v_dual_mov_b32 v28, v1 :: v_dual_mov_b32 v29, v1
	v_dual_mov_b32 v30, v1 :: v_dual_mov_b32 v31, v1
	v_dual_mov_b32 v32, v1 :: v_dual_mov_b32 v33, v1
	s_wait_alu 0xfffe
	s_or_b32 exec_lo, exec_lo, s3
	s_and_saveexec_b32 s3, s2
	s_cbranch_execz .LBB34_34
.LBB34_41:                              ;   in Loop: Header=BB34_5 Depth=1
	v_add_co_u32 v4, vcc_lo, v75, v38
	s_wait_alu 0xfffd
	v_add_co_ci_u32_e64 v5, null, v76, v39, vcc_lo
	v_add_co_u32 v20, vcc_lo, v77, v38
	s_wait_alu 0xfffd
	v_add_co_ci_u32_e64 v21, null, v78, v39, vcc_lo
	global_load_b64 v[4:5], v[4:5], off
	global_load_b64 v[20:21], v[20:21], off
	s_wait_alu 0xfffe
	s_or_b32 exec_lo, exec_lo, s3
	s_and_saveexec_b32 s3, s2
	s_cbranch_execz .LBB34_35
.LBB34_42:                              ;   in Loop: Header=BB34_5 Depth=1
	v_add_co_u32 v6, vcc_lo, v71, v38
	s_wait_alu 0xfffd
	v_add_co_ci_u32_e64 v7, null, v72, v39, vcc_lo
	v_add_co_u32 v22, vcc_lo, v73, v38
	s_wait_alu 0xfffd
	v_add_co_ci_u32_e64 v23, null, v74, v39, vcc_lo
	global_load_b64 v[6:7], v[6:7], off
	global_load_b64 v[22:23], v[22:23], off
	s_wait_alu 0xfffe
	s_or_b32 exec_lo, exec_lo, s3
	s_and_saveexec_b32 s3, s2
	s_cbranch_execz .LBB34_36
.LBB34_43:                              ;   in Loop: Header=BB34_5 Depth=1
	v_add_co_u32 v8, vcc_lo, v67, v38
	s_wait_alu 0xfffd
	v_add_co_ci_u32_e64 v9, null, v68, v39, vcc_lo
	v_add_co_u32 v24, vcc_lo, v69, v38
	s_wait_alu 0xfffd
	v_add_co_ci_u32_e64 v25, null, v70, v39, vcc_lo
	global_load_b64 v[8:9], v[8:9], off
	global_load_b64 v[24:25], v[24:25], off
	s_wait_alu 0xfffe
	s_or_b32 exec_lo, exec_lo, s3
	s_and_saveexec_b32 s3, s2
	s_cbranch_execz .LBB34_37
.LBB34_44:                              ;   in Loop: Header=BB34_5 Depth=1
	v_add_co_u32 v10, vcc_lo, v63, v38
	s_wait_alu 0xfffd
	v_add_co_ci_u32_e64 v11, null, v64, v39, vcc_lo
	v_add_co_u32 v26, vcc_lo, v65, v38
	s_wait_alu 0xfffd
	v_add_co_ci_u32_e64 v27, null, v66, v39, vcc_lo
	global_load_b64 v[10:11], v[10:11], off
	global_load_b64 v[26:27], v[26:27], off
	s_wait_alu 0xfffe
	s_or_b32 exec_lo, exec_lo, s3
	s_and_saveexec_b32 s3, s2
	s_cbranch_execz .LBB34_38
.LBB34_45:                              ;   in Loop: Header=BB34_5 Depth=1
	v_add_co_u32 v12, vcc_lo, v59, v38
	s_wait_alu 0xfffd
	v_add_co_ci_u32_e64 v13, null, v60, v39, vcc_lo
	v_add_co_u32 v28, vcc_lo, v61, v38
	s_wait_alu 0xfffd
	v_add_co_ci_u32_e64 v29, null, v62, v39, vcc_lo
	global_load_b64 v[12:13], v[12:13], off
	global_load_b64 v[28:29], v[28:29], off
	s_wait_alu 0xfffe
	s_or_b32 exec_lo, exec_lo, s3
	s_and_saveexec_b32 s3, s2
	s_cbranch_execz .LBB34_39
.LBB34_46:                              ;   in Loop: Header=BB34_5 Depth=1
	v_add_co_u32 v14, vcc_lo, v55, v38
	s_wait_alu 0xfffd
	v_add_co_ci_u32_e64 v15, null, v56, v39, vcc_lo
	v_add_co_u32 v30, vcc_lo, v57, v38
	s_wait_alu 0xfffd
	v_add_co_ci_u32_e64 v31, null, v58, v39, vcc_lo
	global_load_b64 v[14:15], v[14:15], off
	global_load_b64 v[30:31], v[30:31], off
	s_wait_alu 0xfffe
	s_or_b32 exec_lo, exec_lo, s3
	s_and_saveexec_b32 s3, s2
	s_cbranch_execz .LBB34_3
.LBB34_47:                              ;   in Loop: Header=BB34_5 Depth=1
	v_add_co_u32 v16, vcc_lo, v51, v38
	s_wait_alu 0xfffd
	v_add_co_ci_u32_e64 v17, null, v52, v39, vcc_lo
	v_add_co_u32 v32, vcc_lo, v53, v38
	s_wait_alu 0xfffd
	v_add_co_ci_u32_e64 v33, null, v54, v39, vcc_lo
	global_load_b64 v[16:17], v[16:17], off
	global_load_b64 v[32:33], v[32:33], off
	s_branch .LBB34_3
.LBB34_48:
                                        ; implicit-def: $vgpr36_vgpr37
                                        ; implicit-def: $vgpr34_vgpr35
	s_branch .LBB34_50
.LBB34_49:
	s_cbranch_execnz .LBB34_81
.LBB34_50:
	v_mov_b32_e32 v36, 0
	v_dual_mov_b32 v37, 0 :: v_dual_mov_b32 v34, 0
	v_mov_b32_e32 v35, 0
	s_and_not1_b32 vcc_lo, exec_lo, s31
	s_wait_alu 0xfffe
	s_cbranch_vccnz .LBB34_81
; %bb.51:
	v_bfe_u32 v72, v0, 10, 10
	v_dual_mov_b32 v1, 0 :: v_dual_and_b32 v74, 0x3ff, v0
	s_lshl_b64 s[20:21], s[16:17], 3
	s_mov_b32 s3, 0
	s_delay_alu instid0(VALU_DEP_2) | instskip(SKIP_2) | instid1(VALU_DEP_3)
	v_dual_mov_b32 v34, 0 :: v_dual_lshlrev_b32 v73, 3, v72
	v_dual_mov_b32 v35, 0 :: v_dual_lshlrev_b32 v8, 6, v72
	v_dual_mov_b32 v5, v1 :: v_dual_add_nc_u32 v4, s30, v74
	v_add_co_u32 v10, s2, v73, s16
	s_wait_alu 0xf1ff
	v_add_co_ci_u32_e64 v11, null, 0, 0, s2
	s_delay_alu instid0(VALU_DEP_3) | instskip(NEXT) | instid1(VALU_DEP_3)
	v_lshlrev_b64_e32 v[38:39], 3, v[4:5]
	v_mul_lo_u32 v6, s7, v10
	v_mad_co_u64_u32 v[2:3], null, s6, v10, 0
	s_delay_alu instid0(VALU_DEP_4) | instskip(SKIP_4) | instid1(VALU_DEP_3)
	v_mul_lo_u32 v7, s6, v11
	s_load_b32 s2, s[0:1], 0x44
	s_mov_b32 s19, s3
	v_mov_b32_e32 v36, 0
	v_mov_b32_e32 v37, 0
	v_add3_u32 v3, v3, v7, v6
	v_add_co_u32 v6, s18, v8, s20
	s_wait_alu 0xf1ff
	v_add_co_ci_u32_e64 v7, null, 0, s21, s18
	s_delay_alu instid0(VALU_DEP_3) | instskip(NEXT) | instid1(VALU_DEP_3)
	v_lshlrev_b64_e32 v[4:5], 3, v[2:3]
	v_add_co_u32 v8, vcc_lo, v6, 8
	s_wait_alu 0xfffd
	s_delay_alu instid0(VALU_DEP_3) | instskip(NEXT) | instid1(VALU_DEP_3)
	v_add_co_ci_u32_e64 v9, null, 0, v7, vcc_lo
	v_add_co_u32 v75, vcc_lo, s8, v4
	s_wait_alu 0xfffd
	v_add_co_ci_u32_e64 v76, null, s9, v5, vcc_lo
	v_add_co_u32 v77, vcc_lo, s10, v4
	s_wait_alu 0xfffd
	;; [unrolled: 3-line block ×5, first 2 shown]
	v_add_co_ci_u32_e64 v18, null, 0, v7, vcc_lo
	v_add_co_u32 v19, vcc_lo, v6, 40
	v_mad_co_u64_u32 v[42:43], null, s6, v4, s[8:9]
	v_mul_lo_u32 v5, s6, v5
	v_mul_lo_u32 v15, s7, v4
	v_mad_co_u64_u32 v[56:57], null, s6, v4, s[10:11]
	s_wait_alu 0xfffd
	v_add_co_ci_u32_e64 v20, null, 0, v7, vcc_lo
	v_add_co_u32 v22, vcc_lo, v6, 48
	s_wait_alu 0xfffd
	v_add_co_ci_u32_e64 v24, null, 0, v7, vcc_lo
	v_add_co_u32 v6, vcc_lo, v6, 56
	v_mad_co_u64_u32 v[40:41], null, s6, v8, s[8:9]
	v_mul_lo_u32 v9, s6, v9
	v_mul_lo_u32 v12, s7, v8
	v_mad_co_u64_u32 v[54:55], null, s6, v8, s[10:11]
	s_wait_alu 0xfffd
	v_add_co_ci_u32_e64 v7, null, 0, v7, vcc_lo
	v_add_co_u32 v4, vcc_lo, v10, 7
	v_add3_u32 v43, v15, v43, v5
	v_add3_u32 v57, v15, v57, v5
	s_wait_alu 0xfffd
	v_add_co_ci_u32_e64 v5, null, 0, v11, vcc_lo
	v_mul_lo_u32 v26, s6, v7
	v_add_co_u32 v7, vcc_lo, v10, 6
	v_add3_u32 v41, v12, v41, v9
	v_add3_u32 v55, v12, v55, v9
	s_wait_alu 0xfffd
	v_add_co_ci_u32_e64 v12, null, 0, v11, vcc_lo
	v_mul_lo_u32 v8, s7, v4
	v_mul_lo_u32 v9, s6, v5
	v_mad_co_u64_u32 v[4:5], null, s6, v4, 0
	v_mad_co_u64_u32 v[44:45], null, s6, v13, s[8:9]
	v_mul_lo_u32 v17, s7, v13
	v_mad_co_u64_u32 v[52:53], null, s6, v6, s[8:9]
	v_mul_lo_u32 v27, s7, v6
	v_mad_co_u64_u32 v[58:59], null, s6, v13, s[10:11]
	v_mad_co_u64_u32 v[66:67], null, s6, v6, s[10:11]
	v_mul_lo_u32 v13, s7, v7
	v_mul_lo_u32 v12, s6, v12
	v_mad_co_u64_u32 v[6:7], null, s6, v7, 0
	v_add3_u32 v5, v5, v9, v8
	v_add_co_u32 v8, vcc_lo, v10, 5
	s_wait_alu 0xfffd
	v_add_co_ci_u32_e64 v9, null, 0, v11, vcc_lo
	s_delay_alu instid0(VALU_DEP_3) | instskip(SKIP_2) | instid1(VALU_DEP_4)
	v_lshlrev_b64_e32 v[4:5], 3, v[4:5]
	v_add3_u32 v7, v7, v12, v13
	v_mul_lo_u32 v12, s7, v8
	v_mul_lo_u32 v13, s6, v9
	v_mad_co_u64_u32 v[8:9], null, s6, v8, 0
	s_delay_alu instid0(VALU_DEP_4)
	v_lshlrev_b64_e32 v[6:7], 3, v[6:7]
	v_add_co_u32 v79, vcc_lo, s8, v4
	s_wait_alu 0xfffd
	v_add_co_ci_u32_e64 v80, null, s9, v5, vcc_lo
	v_add_co_u32 v81, vcc_lo, s10, v4
	s_wait_alu 0xfffd
	v_add_co_ci_u32_e64 v82, null, s11, v5, vcc_lo
	v_add_co_u32 v83, vcc_lo, s8, v6
	v_mul_lo_u32 v14, s6, v14
	v_add3_u32 v9, v9, v13, v12
	s_wait_alu 0xfffd
	v_add_co_ci_u32_e64 v84, null, s9, v7, vcc_lo
	v_add_co_u32 v12, vcc_lo, v10, 4
	s_wait_kmcnt 0x0
	s_lshl_b32 s18, s2, 7
	v_add_co_u32 v85, s2, s10, v6
	s_wait_alu 0xfffd
	v_add_co_ci_u32_e64 v6, null, 0, v11, vcc_lo
	v_lshlrev_b64_e32 v[4:5], 3, v[8:9]
	v_add_co_u32 v8, vcc_lo, v10, 3
	s_wait_alu 0xfffd
	v_add_co_ci_u32_e64 v9, null, 0, v11, vcc_lo
	v_add3_u32 v45, v17, v45, v14
	v_add3_u32 v59, v17, v59, v14
	s_wait_alu 0xf1ff
	v_add_co_ci_u32_e64 v86, null, s11, v7, s2
	v_mul_lo_u32 v13, s7, v12
	v_mul_lo_u32 v14, s6, v6
	v_mad_co_u64_u32 v[6:7], null, s6, v12, 0
	v_mul_lo_u32 v12, s7, v8
	v_mul_lo_u32 v15, s6, v9
	v_mad_co_u64_u32 v[8:9], null, s6, v8, 0
	v_add_co_u32 v87, vcc_lo, s8, v4
	s_wait_alu 0xfffd
	v_add_co_ci_u32_e64 v88, null, s9, v5, vcc_lo
	v_add3_u32 v7, v7, v14, v13
	v_add_co_u32 v89, vcc_lo, s10, v4
	s_wait_alu 0xfffd
	v_add_co_ci_u32_e64 v90, null, s11, v5, vcc_lo
	v_add_co_u32 v10, vcc_lo, v10, 2
	v_add3_u32 v9, v9, v15, v12
	s_wait_alu 0xfffd
	v_add_co_ci_u32_e64 v11, null, 0, v11, vcc_lo
	v_lshlrev_b64_e32 v[4:5], 3, v[6:7]
	v_mul_lo_u32 v12, s7, v10
	v_lshlrev_b64_e32 v[6:7], 3, v[8:9]
	s_delay_alu instid0(VALU_DEP_4)
	v_mul_lo_u32 v11, s6, v11
	v_mad_co_u64_u32 v[8:9], null, s6, v10, 0
	v_add_co_u32 v91, vcc_lo, s8, v4
	s_wait_alu 0xfffd
	v_add_co_ci_u32_e64 v92, null, s9, v5, vcc_lo
	v_add_co_u32 v93, vcc_lo, s10, v4
	s_wait_alu 0xfffd
	v_add_co_ci_u32_e64 v94, null, s11, v5, vcc_lo
	;; [unrolled: 3-line block ×3, first 2 shown]
	v_add3_u32 v9, v9, v11, v12
	v_add_co_u32 v97, vcc_lo, s10, v6
	s_wait_alu 0xfffd
	v_add_co_ci_u32_e64 v98, null, s11, v7, vcc_lo
	v_add_co_u32 v2, vcc_lo, v2, s6
	s_wait_alu 0xfffd
	v_add_co_ci_u32_e64 v3, null, s7, v3, vcc_lo
	v_lshlrev_b64_e32 v[4:5], 3, v[8:9]
	v_mad_co_u64_u32 v[46:47], null, s6, v16, s[8:9]
	s_delay_alu instid0(VALU_DEP_3)
	v_lshlrev_b64_e32 v[2:3], 3, v[2:3]
	v_mul_lo_u32 v18, s6, v18
	v_mul_lo_u32 v21, s7, v16
	v_mad_co_u64_u32 v[48:49], null, s6, v19, s[8:9]
	v_mul_lo_u32 v20, s6, v20
	v_mul_lo_u32 v23, s7, v19
	v_mad_co_u64_u32 v[50:51], null, s6, v22, s[8:9]
	;; [unrolled: 3-line block ×3, first 2 shown]
	v_mad_co_u64_u32 v[62:63], null, s6, v19, s[10:11]
	v_mad_co_u64_u32 v[64:65], null, s6, v22, s[10:11]
	v_add_co_u32 v99, vcc_lo, s8, v4
	s_wait_alu 0xfffd
	v_add_co_ci_u32_e64 v100, null, s9, v5, vcc_lo
	v_add_co_u32 v101, vcc_lo, s10, v4
	s_wait_alu 0xfffd
	v_add_co_ci_u32_e64 v102, null, s11, v5, vcc_lo
	;; [unrolled: 3-line block ×3, first 2 shown]
	v_add_co_u32 v105, vcc_lo, s10, v2
	v_add3_u32 v47, v21, v47, v18
	v_add3_u32 v49, v23, v49, v20
	v_add3_u32 v51, v25, v51, v24
	v_add3_u32 v53, v27, v53, v26
	v_add3_u32 v61, v21, v61, v18
	v_add3_u32 v63, v23, v63, v20
	v_add3_u32 v65, v25, v65, v24
	v_add3_u32 v67, v27, v67, v26
	s_wait_alu 0xfffd
	v_add_co_ci_u32_e64 v106, null, s11, v3, vcc_lo
	s_wait_alu 0xfffe
	s_mul_u64 s[20:21], s[6:7], s[18:19]
	s_add_nc_u64 s[8:9], s[0:1], 64
	s_wait_alu 0xfffe
	s_lshl_b64 s[10:11], s[20:21], 3
	s_add_nc_u64 s[20:21], s[16:17], 0x7f
	s_branch .LBB34_55
.LBB34_52:                              ;   in Loop: Header=BB34_55 Depth=1
	s_wait_alu 0xfffe
	s_or_b32 exec_lo, exec_lo, s22
.LBB34_53:                              ;   in Loop: Header=BB34_55 Depth=1
	s_wait_alu 0xfffe
	s_or_b32 exec_lo, exec_lo, s2
	v_add_co_u32 v6, vcc_lo, v77, v38
	s_wait_alu 0xfffd
	v_add_co_ci_u32_e64 v7, null, v78, v39, vcc_lo
	v_add_co_u32 v8, vcc_lo, v54, v38
	s_wait_alu 0xfffd
	v_add_co_ci_u32_e64 v9, null, v55, v39, vcc_lo
	global_load_b64 v[6:7], v[6:7], off
	v_add_co_u32 v10, vcc_lo, v75, v38
	s_wait_alu 0xfffd
	v_add_co_ci_u32_e64 v11, null, v76, v39, vcc_lo
	global_load_b64 v[8:9], v[8:9], off
	global_load_b64 v[10:11], v[10:11], off
	v_add_co_u32 v12, vcc_lo, v56, v38
	s_wait_alu 0xfffd
	v_add_co_ci_u32_e64 v13, null, v57, v39, vcc_lo
	v_add_co_u32 v14, vcc_lo, v40, v38
	s_wait_alu 0xfffd
	v_add_co_ci_u32_e64 v15, null, v41, v39, vcc_lo
	global_load_b64 v[12:13], v[12:13], off
	global_load_b64 v[14:15], v[14:15], off
	v_add_co_u32 v16, vcc_lo, v58, v38
	s_wait_alu 0xfffd
	v_add_co_ci_u32_e64 v17, null, v59, v39, vcc_lo
	;; [unrolled: 8-line block ×5, first 2 shown]
	v_add_co_u32 v30, vcc_lo, v64, v38
	s_wait_alu 0xfffd
	v_add_co_ci_u32_e64 v31, null, v65, v39, vcc_lo
	v_add_co_u32 v32, vcc_lo, v66, v38
	s_wait_alu 0xfffd
	v_add_co_ci_u32_e64 v33, null, v67, v39, vcc_lo
	global_load_b64 v[30:31], v[30:31], off
	global_load_b64 v[68:69], v[16:17], off
	;; [unrolled: 1-line block ×3, first 2 shown]
	v_add_co_u32 v16, vcc_lo, v50, v38
	s_wait_alu 0xfffd
	v_add_co_ci_u32_e64 v17, null, v51, v39, vcc_lo
	v_add_co_u32 v70, vcc_lo, v52, v38
	s_wait_alu 0xfffd
	v_add_co_ci_u32_e64 v71, null, v53, v39, vcc_lo
	global_load_b64 v[107:108], v[16:17], off
	global_load_b64 v[16:17], v[70:71], off
	s_wait_loadcnt 0x11
	ds_bpermute_b32 v70, v1, v4
	ds_bpermute_b32 v71, v1, v5
	s_wait_loadcnt 0x10
	ds_bpermute_b32 v109, v1, v2
	ds_bpermute_b32 v110, v1, v3
	s_wait_loadcnt_dscnt 0xf02
	v_add_f64_e64 v[6:7], v[6:7], -v[70:71]
	ds_bpermute_b32 v70, v1, v4 offset:4
	ds_bpermute_b32 v71, v1, v5 offset:4
	s_wait_loadcnt_dscnt 0xe00
	v_add_f64_e64 v[8:9], v[8:9], -v[70:71]
	ds_bpermute_b32 v70, v1, v4 offset:8
	ds_bpermute_b32 v71, v1, v5 offset:8
	s_wait_loadcnt 0xd
	v_mul_f64_e32 v[6:7], v[10:11], v[6:7]
	v_add_f64_e32 v[10:11], v[36:37], v[10:11]
	ds_bpermute_b32 v36, v1, v2 offset:4
	ds_bpermute_b32 v37, v1, v3 offset:4
	s_wait_loadcnt_dscnt 0xc02
	v_add_f64_e64 v[12:13], v[12:13], -v[70:71]
	s_wait_loadcnt 0xb
	v_mul_f64_e32 v[8:9], v[14:15], v[8:9]
	v_fma_f64 v[6:7], v[6:7], v[109:110], v[34:35]
	ds_bpermute_b32 v34, v1, v4 offset:12
	ds_bpermute_b32 v35, v1, v5 offset:12
	v_add_f64_e32 v[10:11], v[10:11], v[14:15]
	ds_bpermute_b32 v14, v1, v2 offset:8
	ds_bpermute_b32 v15, v1, v3 offset:8
	s_wait_loadcnt 0x9
	v_mul_f64_e32 v[12:13], v[18:19], v[12:13]
	s_wait_dscnt 0x2
	v_add_f64_e64 v[20:21], v[20:21], -v[34:35]
	v_fma_f64 v[6:7], v[8:9], v[36:37], v[6:7]
	ds_bpermute_b32 v8, v1, v4 offset:16
	ds_bpermute_b32 v9, v1, v5 offset:16
	v_add_f64_e32 v[10:11], v[10:11], v[18:19]
	ds_bpermute_b32 v18, v1, v2 offset:16
	ds_bpermute_b32 v19, v1, v3 offset:16
	s_wait_loadcnt_dscnt 0x802
	v_add_f64_e64 v[8:9], v[24:25], -v[8:9]
	s_wait_loadcnt 0x7
	v_mul_f64_e32 v[20:21], v[22:23], v[20:21]
	v_fma_f64 v[6:7], v[12:13], v[14:15], v[6:7]
	ds_bpermute_b32 v12, v1, v4 offset:20
	ds_bpermute_b32 v13, v1, v5 offset:20
	;; [unrolled: 1-line block ×4, first 2 shown]
	v_add_f64_e32 v[10:11], v[10:11], v[22:23]
	s_wait_loadcnt_dscnt 0x602
	v_add_f64_e64 v[12:13], v[28:29], -v[12:13]
	s_wait_loadcnt 0x5
	v_mul_f64_e32 v[8:9], v[26:27], v[8:9]
	s_wait_dscnt 0x0
	v_fma_f64 v[6:7], v[20:21], v[14:15], v[6:7]
	ds_bpermute_b32 v14, v1, v4 offset:24
	ds_bpermute_b32 v15, v1, v5 offset:24
	;; [unrolled: 1-line block ×4, first 2 shown]
	v_add_f64_e32 v[10:11], v[10:11], v[26:27]
	s_wait_loadcnt_dscnt 0x402
	v_add_f64_e64 v[14:15], v[30:31], -v[14:15]
	s_wait_loadcnt 0x3
	v_mul_f64_e32 v[12:13], v[68:69], v[12:13]
	s_wait_loadcnt_dscnt 0x200
	v_add_f64_e64 v[4:5], v[32:33], -v[4:5]
	v_fma_f64 v[6:7], v[8:9], v[18:19], v[6:7]
	ds_bpermute_b32 v8, v1, v2 offset:20
	ds_bpermute_b32 v9, v1, v3 offset:20
	v_add_f64_e32 v[10:11], v[10:11], v[68:69]
	s_wait_loadcnt 0x1
	v_mul_f64_e32 v[14:15], v[107:108], v[14:15]
	s_wait_loadcnt 0x0
	v_mul_f64_e32 v[4:5], v[16:17], v[4:5]
	s_wait_dscnt 0x0
	v_fma_f64 v[6:7], v[12:13], v[8:9], v[6:7]
	ds_bpermute_b32 v8, v1, v2 offset:24
	ds_bpermute_b32 v9, v1, v3 offset:24
	;; [unrolled: 1-line block ×4, first 2 shown]
	v_add_f64_e32 v[2:3], v[10:11], v[107:108]
	s_wait_dscnt 0x0
	v_mul_f64_e32 v[4:5], v[4:5], v[12:13]
	v_fma_f64 v[6:7], v[14:15], v[8:9], v[6:7]
.LBB34_54:                              ;   in Loop: Header=BB34_55 Depth=1
	v_add_co_u32 v75, vcc_lo, v75, s10
	s_wait_alu 0xfffd
	v_add_co_ci_u32_e64 v76, null, s11, v76, vcc_lo
	v_add_co_u32 v77, vcc_lo, v77, s10
	s_wait_alu 0xfffd
	v_add_co_ci_u32_e64 v78, null, s11, v78, vcc_lo
	;; [unrolled: 3-line block ×13, first 2 shown]
	v_add_co_u32 v62, vcc_lo, v62, s10
	v_add_f64_e32 v[34:35], v[6:7], v[4:5]
	v_add_f64_e32 v[36:37], v[2:3], v[16:17]
	s_wait_alu 0xfffd
	v_add_co_ci_u32_e64 v63, null, s11, v63, vcc_lo
	v_add_co_u32 v64, vcc_lo, v64, s10
	s_wait_alu 0xfffd
	v_add_co_ci_u32_e64 v65, null, s11, v65, vcc_lo
	v_add_co_u32 v66, vcc_lo, v66, s10
	s_wait_alu 0xfffd
	v_add_co_ci_u32_e64 v67, null, s11, v67, vcc_lo
	v_add_co_u32 v79, vcc_lo, v79, s10
	s_wait_alu 0xfffd
	v_add_co_ci_u32_e64 v80, null, s11, v80, vcc_lo
	v_add_co_u32 v81, vcc_lo, v81, s10
	s_wait_alu 0xfffd
	v_add_co_ci_u32_e64 v82, null, s11, v82, vcc_lo
	v_add_co_u32 v83, vcc_lo, v83, s10
	s_wait_alu 0xfffd
	v_add_co_ci_u32_e64 v84, null, s11, v84, vcc_lo
	v_add_co_u32 v85, vcc_lo, v85, s10
	s_wait_alu 0xfffd
	v_add_co_ci_u32_e64 v86, null, s11, v86, vcc_lo
	v_add_co_u32 v87, vcc_lo, v87, s10
	s_wait_alu 0xfffd
	v_add_co_ci_u32_e64 v88, null, s11, v88, vcc_lo
	v_add_co_u32 v89, vcc_lo, v89, s10
	s_wait_alu 0xfffd
	v_add_co_ci_u32_e64 v90, null, s11, v90, vcc_lo
	v_add_co_u32 v91, vcc_lo, v91, s10
	s_wait_alu 0xfffd
	v_add_co_ci_u32_e64 v92, null, s11, v92, vcc_lo
	v_add_co_u32 v93, vcc_lo, v93, s10
	s_wait_alu 0xfffd
	v_add_co_ci_u32_e64 v94, null, s11, v94, vcc_lo
	v_add_co_u32 v95, vcc_lo, v95, s10
	s_wait_alu 0xfffd
	v_add_co_ci_u32_e64 v96, null, s11, v96, vcc_lo
	v_add_co_u32 v97, vcc_lo, v97, s10
	s_wait_alu 0xfffd
	v_add_co_ci_u32_e64 v98, null, s11, v98, vcc_lo
	v_add_co_u32 v99, vcc_lo, v99, s10
	s_wait_alu 0xfffd
	v_add_co_ci_u32_e64 v100, null, s11, v100, vcc_lo
	v_add_co_u32 v101, vcc_lo, v101, s10
	s_add_nc_u64 s[16:17], s[16:17], s[18:19]
	s_wait_alu 0xfffd
	v_add_co_ci_u32_e64 v102, null, s11, v102, vcc_lo
	v_add_co_u32 v103, vcc_lo, v103, s10
	s_wait_alu 0xfffe
	v_cmp_ge_i64_e64 s2, s[16:17], s[4:5]
	s_wait_alu 0xfffd
	v_add_co_ci_u32_e64 v104, null, s11, v104, vcc_lo
	v_add_co_u32 v105, vcc_lo, v105, s10
	s_wait_alu 0xfffd
	v_add_co_ci_u32_e64 v106, null, s11, v106, vcc_lo
	s_and_b32 vcc_lo, exec_lo, s2
	s_add_nc_u64 s[20:21], s[20:21], s[18:19]
	s_wait_alu 0xfffe
	s_cbranch_vccnz .LBB34_81
.LBB34_55:                              ; =>This Inner Loop Header: Depth=1
	s_wait_alu 0xfffe
	v_cmp_ge_i64_e64 s2, s[20:21], s[4:5]
	v_add_co_u32 v107, s22, v73, s20
	s_wait_alu 0xf1ff
	v_add_co_ci_u32_e64 v108, null, 0, s21, s22
                                        ; implicit-def: $vgpr16_vgpr17
                                        ; implicit-def: $vgpr4_vgpr5
                                        ; implicit-def: $vgpr2_vgpr3
                                        ; implicit-def: $vgpr6_vgpr7
	s_and_b32 vcc_lo, exec_lo, s2
	s_mov_b32 s2, -1
	s_wait_alu 0xfffe
	s_cbranch_vccz .LBB34_77
; %bb.56:                               ;   in Loop: Header=BB34_55 Depth=1
	s_load_b32 s2, s[8:9], 0xc
	v_mov_b32_e32 v68, 0
	v_mov_b32_e32 v70, 0
	;; [unrolled: 1-line block ×4, first 2 shown]
	s_wait_kmcnt 0x0
	s_and_b32 s2, s2, 0xffff
	s_wait_alu 0xfffe
	v_mad_u32_u24 v2, v72, s2, v74
	s_mov_b32 s2, exec_lo
	s_delay_alu instid0(VALU_DEP_1) | instskip(NEXT) | instid1(VALU_DEP_1)
	v_and_b32_e32 v2, 31, v2
	v_cmpx_gt_u32_e32 8, v2
	s_cbranch_execz .LBB34_60
; %bb.57:                               ;   in Loop: Header=BB34_55 Depth=1
	v_add_co_u32 v2, vcc_lo, v107, v2
	s_wait_alu 0xfffd
	v_add_co_ci_u32_e64 v3, null, 0, v108, vcc_lo
	v_mov_b32_e32 v70, 0
	s_delay_alu instid0(VALU_DEP_3)
	v_add_co_u32 v2, vcc_lo, 0xffffff81, v2
	v_dual_mov_b32 v71, 0 :: v_dual_mov_b32 v68, 0
	s_wait_alu 0xfffd
	v_add_co_ci_u32_e64 v3, null, -1, v3, vcc_lo
	v_mov_b32_e32 v69, 0
	s_mov_b32 s22, exec_lo
	s_delay_alu instid0(VALU_DEP_2)
	v_cmpx_gt_i64_e64 s[4:5], v[2:3]
	s_cbranch_execz .LBB34_59
; %bb.58:                               ;   in Loop: Header=BB34_55 Depth=1
	v_lshlrev_b64_e32 v[2:3], 3, v[2:3]
	s_delay_alu instid0(VALU_DEP_1) | instskip(SKIP_1) | instid1(VALU_DEP_2)
	v_add_co_u32 v4, vcc_lo, s12, v2
	s_wait_alu 0xfffd
	v_add_co_ci_u32_e64 v5, null, s13, v3, vcc_lo
	v_add_co_u32 v2, vcc_lo, s14, v2
	s_wait_alu 0xfffd
	v_add_co_ci_u32_e64 v3, null, s15, v3, vcc_lo
	global_load_b64 v[70:71], v[4:5], off
	global_load_b64 v[68:69], v[2:3], off
.LBB34_59:                              ;   in Loop: Header=BB34_55 Depth=1
	s_wait_alu 0xfffe
	s_or_b32 exec_lo, exec_lo, s22
.LBB34_60:                              ;   in Loop: Header=BB34_55 Depth=1
	s_wait_alu 0xfffe
	s_or_b32 exec_lo, exec_lo, s2
	v_add_co_u32 v17, vcc_lo, 0xffffff81, v107
	s_wait_alu 0xfffd
	v_add_co_ci_u32_e64 v18, null, -1, v108, vcc_lo
	v_mov_b32_e32 v16, v1
	v_dual_mov_b32 v2, v1 :: v_dual_mov_b32 v3, v1
	v_dual_mov_b32 v4, v1 :: v_dual_mov_b32 v5, v1
	;; [unrolled: 1-line block ×7, first 2 shown]
	v_cmp_gt_i64_e32 vcc_lo, s[4:5], v[17:18]
	s_delay_alu instid0(VALU_DEP_3) | instskip(NEXT) | instid1(VALU_DEP_3)
	v_dual_mov_b32 v33, v16 :: v_dual_mov_b32 v30, v13
	v_dual_mov_b32 v31, v14 :: v_dual_mov_b32 v32, v15
	;; [unrolled: 1-line block ×8, first 2 shown]
	v_mov_b32_e32 v17, v16
	v_mov_b32_e32 v16, v15
	;; [unrolled: 1-line block ×16, first 2 shown]
	s_and_saveexec_b32 s2, vcc_lo
	s_cbranch_execz .LBB34_62
; %bb.61:                               ;   in Loop: Header=BB34_55 Depth=1
	v_add_co_u32 v2, vcc_lo, v75, v38
	s_wait_alu 0xfffd
	v_add_co_ci_u32_e64 v3, null, v76, v39, vcc_lo
	v_add_co_u32 v4, vcc_lo, v77, v38
	s_wait_alu 0xfffd
	v_add_co_ci_u32_e64 v5, null, v78, v39, vcc_lo
	global_load_b64 v[2:3], v[2:3], off
	global_load_b64 v[18:19], v[4:5], off
	v_dual_mov_b32 v4, v1 :: v_dual_mov_b32 v5, v1
	v_dual_mov_b32 v6, v1 :: v_dual_mov_b32 v7, v1
	;; [unrolled: 1-line block ×14, first 2 shown]
.LBB34_62:                              ;   in Loop: Header=BB34_55 Depth=1
	s_wait_alu 0xfffe
	s_or_b32 exec_lo, exec_lo, s2
	v_add_co_u32 v109, vcc_lo, 0xffffff82, v107
	s_wait_alu 0xfffd
	v_add_co_ci_u32_e64 v110, null, -1, v108, vcc_lo
	s_mov_b32 s2, exec_lo
	v_cmpx_gt_i64_e64 s[4:5], v[109:110]
	s_cbranch_execz .LBB34_64
; %bb.63:                               ;   in Loop: Header=BB34_55 Depth=1
	v_add_co_u32 v4, vcc_lo, v103, v38
	s_wait_alu 0xfffd
	v_add_co_ci_u32_e64 v5, null, v104, v39, vcc_lo
	v_add_co_u32 v20, vcc_lo, v105, v38
	s_wait_alu 0xfffd
	v_add_co_ci_u32_e64 v21, null, v106, v39, vcc_lo
	global_load_b64 v[4:5], v[4:5], off
	global_load_b64 v[20:21], v[20:21], off
.LBB34_64:                              ;   in Loop: Header=BB34_55 Depth=1
	s_wait_alu 0xfffe
	s_or_b32 exec_lo, exec_lo, s2
	v_add_co_u32 v109, vcc_lo, 0xffffff83, v107
	s_wait_alu 0xfffd
	v_add_co_ci_u32_e64 v110, null, -1, v108, vcc_lo
	s_mov_b32 s2, exec_lo
	v_cmpx_gt_i64_e64 s[4:5], v[109:110]
	s_cbranch_execz .LBB34_66
; %bb.65:                               ;   in Loop: Header=BB34_55 Depth=1
	v_add_co_u32 v6, vcc_lo, v99, v38
	s_wait_alu 0xfffd
	v_add_co_ci_u32_e64 v7, null, v100, v39, vcc_lo
	v_add_co_u32 v22, vcc_lo, v101, v38
	s_wait_alu 0xfffd
	v_add_co_ci_u32_e64 v23, null, v102, v39, vcc_lo
	global_load_b64 v[6:7], v[6:7], off
	global_load_b64 v[22:23], v[22:23], off
.LBB34_66:                              ;   in Loop: Header=BB34_55 Depth=1
	;; [unrolled: 18-line block ×7, first 2 shown]
	s_wait_alu 0xfffe
	s_or_b32 exec_lo, exec_lo, s2
	s_wait_loadcnt 0x1
	ds_bpermute_b32 v109, v1, v70
	ds_bpermute_b32 v110, v1, v71
	s_wait_loadcnt 0x0
	ds_bpermute_b32 v111, v1, v68
	ds_bpermute_b32 v112, v1, v69
	s_mov_b32 s2, 0
	s_wait_dscnt 0x2
	v_add_f64_e64 v[18:19], v[18:19], -v[109:110]
	ds_bpermute_b32 v109, v1, v70 offset:4
	ds_bpermute_b32 v110, v1, v71 offset:4
	s_wait_dscnt 0x0
	v_add_f64_e64 v[20:21], v[20:21], -v[109:110]
	ds_bpermute_b32 v109, v1, v70 offset:8
	ds_bpermute_b32 v110, v1, v71 offset:8
	v_mul_f64_e32 v[18:19], v[2:3], v[18:19]
	v_add_f64_e32 v[2:3], v[36:37], v[2:3]
	s_wait_dscnt 0x0
	v_add_f64_e64 v[22:23], v[22:23], -v[109:110]
	ds_bpermute_b32 v109, v1, v70 offset:12
	ds_bpermute_b32 v110, v1, v71 offset:12
	v_mul_f64_e32 v[20:21], v[4:5], v[20:21]
	s_wait_dscnt 0x0
	v_add_f64_e64 v[24:25], v[24:25], -v[109:110]
	v_fma_f64 v[18:19], v[18:19], v[111:112], v[34:35]
	ds_bpermute_b32 v111, v1, v68 offset:4
	ds_bpermute_b32 v112, v1, v69 offset:4
	v_add_f64_e32 v[2:3], v[4:5], v[2:3]
	v_mul_f64_e32 v[4:5], v[6:7], v[22:23]
	ds_bpermute_b32 v22, v1, v68 offset:8
	ds_bpermute_b32 v23, v1, v69 offset:8
	v_mul_f64_e32 v[24:25], v[8:9], v[24:25]
	s_wait_dscnt 0x2
	v_fma_f64 v[18:19], v[20:21], v[111:112], v[18:19]
	ds_bpermute_b32 v20, v1, v70 offset:16
	ds_bpermute_b32 v21, v1, v71 offset:16
	v_add_f64_e32 v[2:3], v[6:7], v[2:3]
	ds_bpermute_b32 v6, v1, v70 offset:20
	ds_bpermute_b32 v7, v1, v71 offset:20
	s_wait_dscnt 0x2
	v_add_f64_e64 v[20:21], v[26:27], -v[20:21]
	s_wait_dscnt 0x0
	v_add_f64_e64 v[6:7], v[28:29], -v[6:7]
	v_fma_f64 v[4:5], v[4:5], v[22:23], v[18:19]
	ds_bpermute_b32 v18, v1, v68 offset:12
	ds_bpermute_b32 v19, v1, v69 offset:12
	v_add_f64_e32 v[2:3], v[8:9], v[2:3]
	ds_bpermute_b32 v8, v1, v70 offset:24
	ds_bpermute_b32 v9, v1, v71 offset:24
	;; [unrolled: 1-line block ×4, first 2 shown]
	v_mul_f64_e32 v[20:21], v[10:11], v[20:21]
	s_wait_dscnt 0x2
	v_add_f64_e64 v[8:9], v[30:31], -v[8:9]
	v_mul_f64_e32 v[6:7], v[12:13], v[6:7]
	v_fma_f64 v[4:5], v[24:25], v[18:19], v[4:5]
	ds_bpermute_b32 v18, v1, v68 offset:16
	ds_bpermute_b32 v19, v1, v69 offset:16
	v_add_f64_e32 v[2:3], v[10:11], v[2:3]
	s_wait_dscnt 0x2
	v_add_f64_e64 v[10:11], v[32:33], -v[22:23]
	v_mul_f64_e32 v[8:9], v[14:15], v[8:9]
	s_wait_dscnt 0x0
	v_fma_f64 v[4:5], v[20:21], v[18:19], v[4:5]
	ds_bpermute_b32 v18, v1, v68 offset:20
	ds_bpermute_b32 v19, v1, v69 offset:20
	v_add_f64_e32 v[2:3], v[12:13], v[2:3]
	v_mul_f64_e32 v[10:11], v[16:17], v[10:11]
	ds_bpermute_b32 v12, v1, v68 offset:28
	ds_bpermute_b32 v13, v1, v69 offset:28
	s_wait_dscnt 0x2
	v_fma_f64 v[4:5], v[6:7], v[18:19], v[4:5]
	ds_bpermute_b32 v6, v1, v68 offset:24
	ds_bpermute_b32 v7, v1, v69 offset:24
	v_add_f64_e32 v[2:3], v[14:15], v[2:3]
	s_wait_dscnt 0x0
	v_fma_f64 v[6:7], v[8:9], v[6:7], v[4:5]
	v_mul_f64_e32 v[4:5], v[10:11], v[12:13]
.LBB34_77:                              ;   in Loop: Header=BB34_55 Depth=1
	s_wait_alu 0xfffe
	s_and_b32 vcc_lo, exec_lo, s2
	s_wait_alu 0xfffe
	s_cbranch_vccz .LBB34_54
; %bb.78:                               ;   in Loop: Header=BB34_55 Depth=1
	s_load_b32 s2, s[8:9], 0x0
	v_mov_b32_e32 v4, 0
	v_mov_b32_e32 v5, 0
	s_wait_kmcnt 0x0
	s_cmp_lt_u32 ttmp9, s2
	s_cselect_b32 s2, 12, 18
	s_wait_alu 0xfffe
	s_add_nc_u64 s[22:23], s[8:9], s[2:3]
	s_load_u16 s2, s[22:23], 0x0
	s_wait_kmcnt 0x0
	v_mad_u32_u24 v2, v72, s2, v74
	s_mov_b32 s2, exec_lo
	s_delay_alu instid0(VALU_DEP_1) | instskip(SKIP_2) | instid1(VALU_DEP_3)
	v_and_b32_e32 v6, 31, v2
	v_mov_b32_e32 v2, 0
	v_mov_b32_e32 v3, 0
	v_cmpx_gt_u32_e32 8, v6
	s_cbranch_execz .LBB34_53
; %bb.79:                               ;   in Loop: Header=BB34_55 Depth=1
	v_add_co_u32 v2, vcc_lo, v107, v6
	s_wait_alu 0xfffd
	v_add_co_ci_u32_e64 v3, null, 0, v108, vcc_lo
	v_mov_b32_e32 v4, 0
	s_delay_alu instid0(VALU_DEP_3) | instskip(SKIP_1) | instid1(VALU_DEP_3)
	v_add_co_u32 v6, vcc_lo, 0xffffff81, v2
	s_wait_alu 0xfffd
	v_add_co_ci_u32_e64 v7, null, -1, v3, vcc_lo
	v_dual_mov_b32 v5, 0 :: v_dual_mov_b32 v2, 0
	v_mov_b32_e32 v3, 0
	s_mov_b32 s22, exec_lo
	s_delay_alu instid0(VALU_DEP_3)
	v_cmpx_gt_i64_e64 s[4:5], v[6:7]
	s_cbranch_execz .LBB34_52
; %bb.80:                               ;   in Loop: Header=BB34_55 Depth=1
	v_lshlrev_b64_e32 v[2:3], 3, v[6:7]
	s_delay_alu instid0(VALU_DEP_1) | instskip(SKIP_1) | instid1(VALU_DEP_2)
	v_add_co_u32 v4, vcc_lo, s12, v2
	s_wait_alu 0xfffd
	v_add_co_ci_u32_e64 v5, null, s13, v3, vcc_lo
	v_add_co_u32 v2, vcc_lo, s14, v2
	s_wait_alu 0xfffd
	v_add_co_ci_u32_e64 v3, null, s15, v3, vcc_lo
	global_load_b64 v[4:5], v[4:5], off
	global_load_b64 v[2:3], v[2:3], off
	s_branch .LBB34_52
.LBB34_81:
	v_and_b32_e32 v11, 0x3ff, v0
	v_bfe_u32 v0, v0, 10, 10
	s_mov_b32 s2, exec_lo
	s_delay_alu instid0(VALU_DEP_1) | instskip(NEXT) | instid1(VALU_DEP_1)
	v_mad_u32_u24 v1, 0x41, v0, v11
	v_lshl_add_u32 v2, v1, 3, 0
	v_sub_nc_u32_e32 v6, v1, v0
	ds_store_b64 v2, v[34:35]
	ds_store_b64 v2, v[36:37] offset:8320
	s_wait_dscnt 0x0
	s_barrier_signal -1
	s_barrier_wait -1
	global_inv scope:SCOPE_SE
	v_cmpx_gt_u32_e32 0x800, v6
	s_cbranch_execz .LBB34_97
; %bb.82:
	s_load_b128 s[8:11], s[0:1], 0x30
	v_and_b32_e32 v0, 31, v11
	v_lshrrev_b32_e32 v8, 5, v6
                                        ; implicit-def: $vgpr2_vgpr3
	s_delay_alu instid0(VALU_DEP_2)
	v_cmp_gt_u32_e64 s0, 16, v0
	v_mul_u32_u24_e32 v7, 0x41, v0
                                        ; implicit-def: $vgpr0_vgpr1
	s_and_saveexec_b32 s1, s0
	s_cbranch_execz .LBB34_84
; %bb.83:
	s_delay_alu instid0(VALU_DEP_1) | instskip(NEXT) | instid1(VALU_DEP_1)
	v_add_nc_u32_e32 v0, v8, v7
	v_lshl_add_u32 v0, v0, 3, 0
	ds_load_b64 v[2:3], v0
	ds_load_b64 v[0:1], v0 offset:8320
.LBB34_84:
	s_or_b32 exec_lo, exec_lo, s1
	v_mbcnt_lo_u32_b32 v15, -1, 0
	s_mov_b32 s2, ttmp9
	s_mov_b32 s3, 0
	v_cmp_eq_u32_e64 s1, 0, v11
	s_wait_alu 0xfffe
	s_lshl_b64 s[2:3], s[2:3], 6
	v_xor_b32_e32 v4, 8, v15
	s_wait_kmcnt 0x0
	s_cmp_lg_u64 s[8:9], 0
	s_cselect_b32 s5, -1, 0
	s_cmp_lg_u64 s[10:11], 0
	v_cmp_gt_i32_e32 vcc_lo, 32, v4
	s_cselect_b32 s4, -1, 0
	s_wait_alu 0xfffd
	v_cndmask_b32_e32 v4, v15, v4, vcc_lo
	s_delay_alu instid0(VALU_DEP_1)
	v_lshlrev_b32_e32 v9, 2, v4
	s_wait_dscnt 0x1
	ds_bpermute_b32 v4, v9, v2
	ds_bpermute_b32 v5, v9, v3
	s_wait_dscnt 0x2
	ds_bpermute_b32 v12, v9, v0
	ds_bpermute_b32 v13, v9, v1
	s_wait_dscnt 0x2
	v_add_f64_e32 v[2:3], v[2:3], v[4:5]
	v_xor_b32_e32 v4, 4, v15
	s_wait_dscnt 0x0
	v_add_f64_e32 v[0:1], v[0:1], v[12:13]
	s_delay_alu instid0(VALU_DEP_2) | instskip(SKIP_2) | instid1(VALU_DEP_1)
	v_cmp_gt_i32_e32 vcc_lo, 32, v4
	s_wait_alu 0xfffd
	v_cndmask_b32_e32 v4, v15, v4, vcc_lo
	v_lshlrev_b32_e32 v10, 2, v4
	ds_bpermute_b32 v4, v10, v2
	ds_bpermute_b32 v5, v10, v3
	;; [unrolled: 1-line block ×4, first 2 shown]
	s_wait_dscnt 0x2
	v_add_f64_e32 v[2:3], v[2:3], v[4:5]
	v_xor_b32_e32 v4, 2, v15
	s_wait_dscnt 0x0
	v_add_f64_e32 v[0:1], v[0:1], v[12:13]
	s_delay_alu instid0(VALU_DEP_2) | instskip(SKIP_2) | instid1(VALU_DEP_1)
	v_cmp_gt_i32_e32 vcc_lo, 32, v4
	s_wait_alu 0xfffd
	v_cndmask_b32_e32 v4, v15, v4, vcc_lo
	v_lshlrev_b32_e32 v12, 2, v4
	ds_bpermute_b32 v4, v12, v2
	ds_bpermute_b32 v5, v12, v3
	;; [unrolled: 1-line block ×4, first 2 shown]
	s_wait_dscnt 0x2
	v_add_f64_e32 v[2:3], v[2:3], v[4:5]
	s_wait_dscnt 0x0
	v_add_f64_e32 v[4:5], v[0:1], v[13:14]
	v_xor_b32_e32 v0, 1, v15
	s_delay_alu instid0(VALU_DEP_1) | instskip(SKIP_2) | instid1(VALU_DEP_1)
	v_cmp_gt_i32_e32 vcc_lo, 32, v0
	s_wait_alu 0xfffd
	v_cndmask_b32_e32 v0, v15, v0, vcc_lo
	v_lshlrev_b32_e32 v13, 2, v0
	ds_bpermute_b32 v0, v13, v2
	ds_bpermute_b32 v1, v13, v3
	;; [unrolled: 1-line block ×4, first 2 shown]
	s_wait_dscnt 0x2
	v_add_f64_e32 v[0:1], v[2:3], v[0:1]
	s_wait_dscnt 0x0
	v_add_f64_e32 v[2:3], v[4:5], v[14:15]
	s_wait_alu 0xfffe
	v_or_b32_e32 v4, s2, v8
	v_mov_b32_e32 v5, s3
	s_delay_alu instid0(VALU_DEP_1)
	v_cmp_gt_i64_e32 vcc_lo, s[6:7], v[4:5]
	s_and_b32 s13, s1, vcc_lo
	s_wait_alu 0xfffe
	s_and_saveexec_b32 s12, s13
	s_cbranch_execz .LBB34_89
; %bb.85:
	v_lshlrev_b64_e32 v[4:5], 3, v[4:5]
	s_and_not1_b32 vcc_lo, exec_lo, s5
	s_wait_alu 0xfffe
	s_cbranch_vccnz .LBB34_87
; %bb.86:
	s_delay_alu instid0(VALU_DEP_1)
	v_add_co_u32 v14, vcc_lo, s8, v4
	s_wait_alu 0xfffd
	v_add_co_ci_u32_e64 v15, null, s9, v5, vcc_lo
	global_store_b64 v[14:15], v[0:1], off
.LBB34_87:
	s_and_not1_b32 vcc_lo, exec_lo, s4
	s_wait_alu 0xfffe
	s_cbranch_vccnz .LBB34_89
; %bb.88:
	v_add_co_u32 v4, vcc_lo, s10, v4
	s_wait_alu 0xfffd
	v_add_co_ci_u32_e64 v5, null, s11, v5, vcc_lo
	global_store_b64 v[4:5], v[2:3], off
.LBB34_89:
	s_wait_alu 0xfffe
	s_or_b32 exec_lo, exec_lo, s12
	v_cmp_gt_u32_e32 vcc_lo, 0x400, v6
	s_and_b32 exec_lo, exec_lo, vcc_lo
	s_cbranch_execz .LBB34_97
; %bb.90:
	s_and_saveexec_b32 s12, s0
	s_cbranch_execz .LBB34_92
; %bb.91:
	v_add_nc_u32_e32 v0, v8, v7
	s_delay_alu instid0(VALU_DEP_1)
	v_lshl_add_u32 v2, v0, 3, 0
	ds_load_b64 v[0:1], v2 offset:256
	ds_load_b64 v[2:3], v2 offset:8576
.LBB34_92:
	s_wait_alu 0xfffe
	s_or_b32 exec_lo, exec_lo, s12
	s_wait_dscnt 0x1
	ds_bpermute_b32 v4, v9, v0
	ds_bpermute_b32 v5, v9, v1
	s_wait_dscnt 0x2
	ds_bpermute_b32 v6, v9, v2
	ds_bpermute_b32 v7, v9, v3
	v_add_nc_u32_e32 v9, 32, v8
	s_wait_dscnt 0x2
	v_add_f64_e32 v[0:1], v[0:1], v[4:5]
	s_wait_dscnt 0x0
	v_add_f64_e32 v[2:3], v[2:3], v[6:7]
	ds_bpermute_b32 v4, v10, v0
	ds_bpermute_b32 v5, v10, v1
	;; [unrolled: 1-line block ×4, first 2 shown]
	v_mov_b32_e32 v10, s3
	v_or_b32_e32 v9, s2, v9
	s_delay_alu instid0(VALU_DEP_1)
	v_cmp_gt_i64_e32 vcc_lo, s[6:7], v[9:10]
	s_and_b32 s0, s1, vcc_lo
	s_wait_dscnt 0x2
	v_add_f64_e32 v[0:1], v[0:1], v[4:5]
	s_wait_dscnt 0x0
	v_add_f64_e32 v[2:3], v[2:3], v[6:7]
	ds_bpermute_b32 v4, v12, v0
	ds_bpermute_b32 v5, v12, v1
	;; [unrolled: 1-line block ×4, first 2 shown]
	s_wait_dscnt 0x2
	v_add_f64_e32 v[4:5], v[0:1], v[4:5]
	s_wait_dscnt 0x0
	v_add_f64_e32 v[0:1], v[2:3], v[6:7]
	ds_bpermute_b32 v6, v13, v4
	ds_bpermute_b32 v7, v13, v5
	;; [unrolled: 1-line block ×4, first 2 shown]
	s_and_b32 exec_lo, exec_lo, s0
	s_cbranch_execz .LBB34_97
; %bb.93:
	s_and_not1_b32 vcc_lo, exec_lo, s5
	s_wait_alu 0xfffe
	s_cbranch_vccnz .LBB34_95
; %bb.94:
	s_wait_dscnt 0x2
	v_add_f64_e32 v[4:5], v[4:5], v[6:7]
	v_add_co_u32 v6, s0, s2, v8
	s_delay_alu instid0(VALU_DEP_1) | instskip(NEXT) | instid1(VALU_DEP_1)
	v_add_co_ci_u32_e64 v7, null, s3, 0, s0
	v_lshlrev_b64_e32 v[6:7], 3, v[6:7]
	s_delay_alu instid0(VALU_DEP_1) | instskip(SKIP_1) | instid1(VALU_DEP_2)
	v_add_co_u32 v6, vcc_lo, s8, v6
	s_wait_alu 0xfffd
	v_add_co_ci_u32_e64 v7, null, s9, v7, vcc_lo
	global_store_b64 v[6:7], v[4:5], off offset:256
.LBB34_95:
	s_and_not1_b32 vcc_lo, exec_lo, s4
	s_wait_alu 0xfffe
	s_cbranch_vccnz .LBB34_97
; %bb.96:
	s_wait_dscnt 0x0
	v_add_f64_e32 v[0:1], v[0:1], v[2:3]
	v_add_co_u32 v2, s0, s2, v8
	s_wait_alu 0xf1ff
	v_add_co_ci_u32_e64 v3, null, s3, 0, s0
	s_delay_alu instid0(VALU_DEP_1) | instskip(NEXT) | instid1(VALU_DEP_1)
	v_lshlrev_b64_e32 v[2:3], 3, v[2:3]
	v_add_co_u32 v2, vcc_lo, s10, v2
	s_wait_alu 0xfffd
	s_delay_alu instid0(VALU_DEP_2)
	v_add_co_ci_u32_e64 v3, null, s11, v3, vcc_lo
	global_store_b64 v[2:3], v[0:1], off offset:256
.LBB34_97:
	s_nop 0
	s_sendmsg sendmsg(MSG_DEALLOC_VGPRS)
	s_endpgm
	.section	.rodata,"a",@progbits
	.p2align	6, 0x0
	.amdhsa_kernel _ZN2at6native12_GLOBAL__N_135GammaBetaBackwardCUDAKernelTemplateIddLj64ELj16ELj128ELb0ELb0ELb0EEEvllPKT_S5_PKT0_S8_PS3_S9_
		.amdhsa_group_segment_fixed_size 0
		.amdhsa_private_segment_fixed_size 0
		.amdhsa_kernarg_size 320
		.amdhsa_user_sgpr_count 2
		.amdhsa_user_sgpr_dispatch_ptr 0
		.amdhsa_user_sgpr_queue_ptr 0
		.amdhsa_user_sgpr_kernarg_segment_ptr 1
		.amdhsa_user_sgpr_dispatch_id 0
		.amdhsa_user_sgpr_private_segment_size 0
		.amdhsa_wavefront_size32 1
		.amdhsa_uses_dynamic_stack 0
		.amdhsa_enable_private_segment 0
		.amdhsa_system_sgpr_workgroup_id_x 1
		.amdhsa_system_sgpr_workgroup_id_y 1
		.amdhsa_system_sgpr_workgroup_id_z 0
		.amdhsa_system_sgpr_workgroup_info 0
		.amdhsa_system_vgpr_workitem_id 1
		.amdhsa_next_free_vgpr 113
		.amdhsa_next_free_sgpr 36
		.amdhsa_reserve_vcc 1
		.amdhsa_float_round_mode_32 0
		.amdhsa_float_round_mode_16_64 0
		.amdhsa_float_denorm_mode_32 3
		.amdhsa_float_denorm_mode_16_64 3
		.amdhsa_fp16_overflow 0
		.amdhsa_workgroup_processor_mode 1
		.amdhsa_memory_ordered 1
		.amdhsa_forward_progress 1
		.amdhsa_inst_pref_size 92
		.amdhsa_round_robin_scheduling 0
		.amdhsa_exception_fp_ieee_invalid_op 0
		.amdhsa_exception_fp_denorm_src 0
		.amdhsa_exception_fp_ieee_div_zero 0
		.amdhsa_exception_fp_ieee_overflow 0
		.amdhsa_exception_fp_ieee_underflow 0
		.amdhsa_exception_fp_ieee_inexact 0
		.amdhsa_exception_int_div_zero 0
	.end_amdhsa_kernel
	.section	.text._ZN2at6native12_GLOBAL__N_135GammaBetaBackwardCUDAKernelTemplateIddLj64ELj16ELj128ELb0ELb0ELb0EEEvllPKT_S5_PKT0_S8_PS3_S9_,"axG",@progbits,_ZN2at6native12_GLOBAL__N_135GammaBetaBackwardCUDAKernelTemplateIddLj64ELj16ELj128ELb0ELb0ELb0EEEvllPKT_S5_PKT0_S8_PS3_S9_,comdat
.Lfunc_end34:
	.size	_ZN2at6native12_GLOBAL__N_135GammaBetaBackwardCUDAKernelTemplateIddLj64ELj16ELj128ELb0ELb0ELb0EEEvllPKT_S5_PKT0_S8_PS3_S9_, .Lfunc_end34-_ZN2at6native12_GLOBAL__N_135GammaBetaBackwardCUDAKernelTemplateIddLj64ELj16ELj128ELb0ELb0ELb0EEEvllPKT_S5_PKT0_S8_PS3_S9_
                                        ; -- End function
	.set _ZN2at6native12_GLOBAL__N_135GammaBetaBackwardCUDAKernelTemplateIddLj64ELj16ELj128ELb0ELb0ELb0EEEvllPKT_S5_PKT0_S8_PS3_S9_.num_vgpr, 113
	.set _ZN2at6native12_GLOBAL__N_135GammaBetaBackwardCUDAKernelTemplateIddLj64ELj16ELj128ELb0ELb0ELb0EEEvllPKT_S5_PKT0_S8_PS3_S9_.num_agpr, 0
	.set _ZN2at6native12_GLOBAL__N_135GammaBetaBackwardCUDAKernelTemplateIddLj64ELj16ELj128ELb0ELb0ELb0EEEvllPKT_S5_PKT0_S8_PS3_S9_.numbered_sgpr, 36
	.set _ZN2at6native12_GLOBAL__N_135GammaBetaBackwardCUDAKernelTemplateIddLj64ELj16ELj128ELb0ELb0ELb0EEEvllPKT_S5_PKT0_S8_PS3_S9_.num_named_barrier, 0
	.set _ZN2at6native12_GLOBAL__N_135GammaBetaBackwardCUDAKernelTemplateIddLj64ELj16ELj128ELb0ELb0ELb0EEEvllPKT_S5_PKT0_S8_PS3_S9_.private_seg_size, 0
	.set _ZN2at6native12_GLOBAL__N_135GammaBetaBackwardCUDAKernelTemplateIddLj64ELj16ELj128ELb0ELb0ELb0EEEvllPKT_S5_PKT0_S8_PS3_S9_.uses_vcc, 1
	.set _ZN2at6native12_GLOBAL__N_135GammaBetaBackwardCUDAKernelTemplateIddLj64ELj16ELj128ELb0ELb0ELb0EEEvllPKT_S5_PKT0_S8_PS3_S9_.uses_flat_scratch, 0
	.set _ZN2at6native12_GLOBAL__N_135GammaBetaBackwardCUDAKernelTemplateIddLj64ELj16ELj128ELb0ELb0ELb0EEEvllPKT_S5_PKT0_S8_PS3_S9_.has_dyn_sized_stack, 0
	.set _ZN2at6native12_GLOBAL__N_135GammaBetaBackwardCUDAKernelTemplateIddLj64ELj16ELj128ELb0ELb0ELb0EEEvllPKT_S5_PKT0_S8_PS3_S9_.has_recursion, 0
	.set _ZN2at6native12_GLOBAL__N_135GammaBetaBackwardCUDAKernelTemplateIddLj64ELj16ELj128ELb0ELb0ELb0EEEvllPKT_S5_PKT0_S8_PS3_S9_.has_indirect_call, 0
	.section	.AMDGPU.csdata,"",@progbits
; Kernel info:
; codeLenInByte = 11696
; TotalNumSgprs: 38
; NumVgprs: 113
; ScratchSize: 0
; MemoryBound: 1
; FloatMode: 240
; IeeeMode: 1
; LDSByteSize: 0 bytes/workgroup (compile time only)
; SGPRBlocks: 0
; VGPRBlocks: 14
; NumSGPRsForWavesPerEU: 38
; NumVGPRsForWavesPerEU: 113
; Occupancy: 12
; WaveLimiterHint : 0
; COMPUTE_PGM_RSRC2:SCRATCH_EN: 0
; COMPUTE_PGM_RSRC2:USER_SGPR: 2
; COMPUTE_PGM_RSRC2:TRAP_HANDLER: 0
; COMPUTE_PGM_RSRC2:TGID_X_EN: 1
; COMPUTE_PGM_RSRC2:TGID_Y_EN: 1
; COMPUTE_PGM_RSRC2:TGID_Z_EN: 0
; COMPUTE_PGM_RSRC2:TIDIG_COMP_CNT: 1
	.section	.text._ZN2at6native12_GLOBAL__N_135GammaBetaBackwardCUDAKernelTemplateIddLj64ELj16ELj256ELb0ELb1ELb0EEEvllPKT_S5_PKT0_S8_PS3_S9_,"axG",@progbits,_ZN2at6native12_GLOBAL__N_135GammaBetaBackwardCUDAKernelTemplateIddLj64ELj16ELj256ELb0ELb1ELb0EEEvllPKT_S5_PKT0_S8_PS3_S9_,comdat
	.globl	_ZN2at6native12_GLOBAL__N_135GammaBetaBackwardCUDAKernelTemplateIddLj64ELj16ELj256ELb0ELb1ELb0EEEvllPKT_S5_PKT0_S8_PS3_S9_ ; -- Begin function _ZN2at6native12_GLOBAL__N_135GammaBetaBackwardCUDAKernelTemplateIddLj64ELj16ELj256ELb0ELb1ELb0EEEvllPKT_S5_PKT0_S8_PS3_S9_
	.p2align	8
	.type	_ZN2at6native12_GLOBAL__N_135GammaBetaBackwardCUDAKernelTemplateIddLj64ELj16ELj256ELb0ELb1ELb0EEEvllPKT_S5_PKT0_S8_PS3_S9_,@function
_ZN2at6native12_GLOBAL__N_135GammaBetaBackwardCUDAKernelTemplateIddLj64ELj16ELj256ELb0ELb1ELb0EEEvllPKT_S5_PKT0_S8_PS3_S9_: ; @_ZN2at6native12_GLOBAL__N_135GammaBetaBackwardCUDAKernelTemplateIddLj64ELj16ELj256ELb0ELb1ELb0EEEvllPKT_S5_PKT0_S8_PS3_S9_
; %bb.0:
	s_load_b128 s[16:19], s[0:1], 0x0
	s_lshl_b32 s2, ttmp7, 8
	s_mov_b32 s3, 0
	v_bfe_u32 v15, v0, 10, 10
	s_wait_kmcnt 0x0
	v_cmp_gt_i64_e64 s4, s[16:17], s[2:3]
	s_and_b32 vcc_lo, exec_lo, s4
	s_cbranch_vccnz .LBB35_2
; %bb.1:
	v_bfe_u32 v1, v0, 10, 10
	s_mov_b32 s4, s3
	s_branch .LBB35_3
.LBB35_2:
	s_mov_b32 s4, -1
                                        ; implicit-def: $vgpr1
.LBB35_3:
	s_load_b128 s[12:15], s[0:1], 0x30
	v_mov_b32_e32 v12, 0
	v_dual_mov_b32 v13, 0 :: v_dual_mov_b32 v10, 0
	v_dual_mov_b32 v11, 0 :: v_dual_and_b32 v14, 0x3ff, v0
	s_and_not1_b32 vcc_lo, exec_lo, s4
	s_cbranch_vccnz .LBB35_11
; %bb.4:
	s_clause 0x2
	s_load_b32 s20, s[0:1], 0x4c
	s_load_b32 s22, s[0:1], 0x44
	s_load_b256 s[4:11], s[0:1], 0x10
	v_dual_mov_b32 v1, 0 :: v_dual_lshlrev_b32 v2, 4, v15
	v_lshl_add_u32 v0, ttmp9, 6, v14
	s_mov_b32 s21, 0
	v_mov_b32_e32 v10, 0
	s_delay_alu instid0(VALU_DEP_3) | instskip(SKIP_3) | instid1(VALU_DEP_3)
	v_add_co_u32 v2, s0, v2, s2
	s_wait_alu 0xf1ff
	v_add_co_ci_u32_e64 v3, null, 0, 0, s0
	v_mov_b32_e32 v12, 0
	v_mul_lo_u32 v6, s19, v2
	v_mad_co_u64_u32 v[4:5], null, s18, v2, 0
	s_delay_alu instid0(VALU_DEP_4)
	v_mul_lo_u32 v7, s18, v3
	v_dual_mov_b32 v16, 16 :: v_dual_mov_b32 v17, 4
	v_dual_mov_b32 v18, 8 :: v_dual_mov_b32 v19, 12
	s_wait_kmcnt 0x0
	s_and_b32 s0, s20, 0xffff
	s_lshl_b32 s20, s22, 8
	s_wait_alu 0xfffe
	v_mad_u32_u24 v8, v15, s0, v14
	v_add3_u32 v5, v5, v7, v6
	v_dual_mov_b32 v20, 20 :: v_dual_mov_b32 v21, 24
	s_delay_alu instid0(VALU_DEP_3) | instskip(NEXT) | instid1(VALU_DEP_3)
	v_dual_mov_b32 v27, 48 :: v_dual_and_b32 v8, 31, v8
	v_lshlrev_b64_e32 v[6:7], 3, v[4:5]
	v_dual_mov_b32 v22, 28 :: v_dual_mov_b32 v23, 32
	v_dual_mov_b32 v24, 36 :: v_dual_mov_b32 v25, 40
	s_delay_alu instid0(VALU_DEP_4)
	v_cmp_gt_u32_e64 s0, 16, v8
	v_add_co_u32 v2, vcc_lo, v2, v8
	v_lshlrev_b64_e32 v[8:9], 3, v[0:1]
	v_add_co_ci_u32_e64 v3, null, 0, v3, vcc_lo
	v_dual_mov_b32 v26, 44 :: v_dual_mov_b32 v29, 60
	v_dual_mov_b32 v28, 52 :: v_dual_mov_b32 v11, 0
	s_delay_alu instid0(VALU_DEP_4) | instskip(NEXT) | instid1(VALU_DEP_4)
	v_add_co_u32 v30, vcc_lo, v6, v8
	v_lshlrev_b64_e32 v[4:5], 3, v[2:3]
	v_dual_mov_b32 v0, 56 :: v_dual_mov_b32 v13, 0
	s_wait_alu 0xfffd
	v_add_co_ci_u32_e64 v31, null, v7, v9, vcc_lo
	s_mul_u64 s[24:25], s[18:19], s[20:21]
	s_lshl_b64 s[22:23], s[20:21], 3
	s_lshl_b64 s[24:25], s[24:25], 3
	;; [unrolled: 1-line block ×3, first 2 shown]
	s_branch .LBB35_7
.LBB35_5:                               ;   in Loop: Header=BB35_7 Depth=1
	s_or_b32 exec_lo, exec_lo, s26
.LBB35_6:                               ;   in Loop: Header=BB35_7 Depth=1
	s_wait_alu 0xfffe
	s_or_b32 exec_lo, exec_lo, s1
	v_add_co_u32 v32, vcc_lo, s6, v30
	s_wait_alu 0xfffd
	v_add_co_ci_u32_e64 v33, null, s7, v31, vcc_lo
	s_wait_loadcnt 0x1
	ds_bpermute_b32 v66, v1, v8
	ds_bpermute_b32 v67, v1, v9
	s_wait_loadcnt 0x0
	ds_bpermute_b32 v76, v1, v6
	global_load_b64 v[34:35], v[32:33], off
	v_add_co_u32 v32, vcc_lo, v32, s18
	s_wait_alu 0xfffd
	v_add_co_ci_u32_e64 v33, null, s19, v33, vcc_lo
	v_add_co_u32 v36, vcc_lo, s4, v30
	s_wait_alu 0xfffd
	v_add_co_ci_u32_e64 v37, null, s5, v31, vcc_lo
	global_load_b64 v[38:39], v[32:33], off
	global_load_b64 v[40:41], v[36:37], off
	v_add_co_u32 v32, vcc_lo, v32, s18
	s_wait_alu 0xfffd
	v_add_co_ci_u32_e64 v33, null, s19, v33, vcc_lo
	v_add_co_u32 v36, vcc_lo, v36, s18
	s_wait_alu 0xfffd
	v_add_co_ci_u32_e64 v37, null, s19, v37, vcc_lo
	global_load_b64 v[42:43], v[32:33], off
	;; [unrolled: 8-line block ×9, first 2 shown]
	global_load_b64 v[74:75], v[36:37], off
	v_add_co_u32 v32, vcc_lo, v32, s18
	s_wait_alu 0xfffd
	v_add_co_ci_u32_e64 v33, null, s19, v33, vcc_lo
	v_add_co_u32 v36, vcc_lo, v36, s18
	s_wait_alu 0xfffd
	v_add_co_ci_u32_e64 v37, null, s19, v37, vcc_lo
	ds_bpermute_b32 v77, v1, v7
	global_load_b64 v[78:79], v[32:33], off
	global_load_b64 v[80:81], v[36:37], off
	v_add_co_u32 v32, vcc_lo, v32, s18
	s_wait_alu 0xfffd
	v_add_co_ci_u32_e64 v33, null, s19, v33, vcc_lo
	v_add_co_u32 v36, vcc_lo, v36, s18
	s_wait_alu 0xfffd
	v_add_co_ci_u32_e64 v37, null, s19, v37, vcc_lo
	s_add_nc_u64 s[2:3], s[2:3], s[20:21]
	s_wait_alu 0xfffe
	v_cmp_lt_i64_e64 s1, s[2:3], s[16:17]
	s_wait_loadcnt_dscnt 0x1402
	v_add_f64_e64 v[34:35], v[34:35], -v[66:67]
	ds_bpermute_b32 v66, v17, v8
	ds_bpermute_b32 v67, v17, v9
	s_wait_loadcnt 0x12
	v_add_f64_e32 v[12:13], v[12:13], v[40:41]
	s_wait_dscnt 0x0
	v_add_f64_e64 v[38:39], v[38:39], -v[66:67]
	ds_bpermute_b32 v66, v18, v8
	ds_bpermute_b32 v67, v18, v9
	v_mul_f64_e32 v[34:35], v[40:41], v[34:35]
	ds_bpermute_b32 v40, v17, v6
	ds_bpermute_b32 v41, v17, v7
	s_wait_loadcnt_dscnt 0x1102
	v_add_f64_e64 v[42:43], v[42:43], -v[66:67]
	s_wait_loadcnt 0x10
	v_add_f64_e32 v[12:13], v[12:13], v[44:45]
	v_mul_f64_e32 v[38:39], v[44:45], v[38:39]
	v_fma_f64 v[10:11], v[34:35], v[76:77], v[10:11]
	ds_bpermute_b32 v34, v19, v8
	ds_bpermute_b32 v35, v19, v9
	global_load_b64 v[66:67], v[32:33], off
	global_load_b64 v[76:77], v[36:37], off
	v_add_co_u32 v32, vcc_lo, v32, s18
	s_wait_loadcnt 0x10
	v_mul_f64_e32 v[42:43], v[48:49], v[42:43]
	s_wait_alu 0xfffd
	v_add_co_ci_u32_e64 v33, null, s19, v33, vcc_lo
	v_add_co_u32 v36, vcc_lo, v36, s18
	s_wait_alu 0xfffd
	v_add_co_ci_u32_e64 v37, null, s19, v37, vcc_lo
	v_add_f64_e32 v[12:13], v[12:13], v[48:49]
	s_wait_dscnt 0x0
	v_add_f64_e64 v[34:35], v[46:47], -v[34:35]
	global_load_b64 v[44:45], v[32:33], off
	global_load_b64 v[46:47], v[36:37], off
	v_add_co_u32 v32, vcc_lo, v32, s18
	s_wait_alu 0xfffd
	v_add_co_ci_u32_e64 v33, null, s19, v33, vcc_lo
	v_add_co_u32 v36, vcc_lo, v36, s18
	s_wait_alu 0xfffd
	v_add_co_ci_u32_e64 v37, null, s19, v37, vcc_lo
	v_fma_f64 v[10:11], v[38:39], v[40:41], v[10:11]
	ds_bpermute_b32 v38, v16, v8
	ds_bpermute_b32 v39, v16, v9
	;; [unrolled: 1-line block ×4, first 2 shown]
	s_wait_loadcnt 0x10
	v_add_f64_e32 v[12:13], v[12:13], v[52:53]
	s_wait_dscnt 0x2
	v_add_f64_e64 v[38:39], v[50:51], -v[38:39]
	v_mul_f64_e32 v[34:35], v[52:53], v[34:35]
	global_load_b64 v[48:49], v[32:33], off
	global_load_b64 v[50:51], v[36:37], off
	v_add_co_u32 v32, vcc_lo, v32, s18
	s_wait_alu 0xfffd
	v_add_co_ci_u32_e64 v33, null, s19, v33, vcc_lo
	v_add_co_u32 v36, vcc_lo, v36, s18
	s_wait_alu 0xfffd
	v_add_co_ci_u32_e64 v37, null, s19, v37, vcc_lo
	s_wait_dscnt 0x0
	v_fma_f64 v[10:11], v[42:43], v[40:41], v[10:11]
	ds_bpermute_b32 v40, v20, v8
	ds_bpermute_b32 v41, v20, v9
	;; [unrolled: 1-line block ×4, first 2 shown]
	s_wait_loadcnt 0x10
	v_add_f64_e32 v[12:13], v[12:13], v[56:57]
	s_wait_dscnt 0x2
	v_add_f64_e64 v[40:41], v[54:55], -v[40:41]
	v_mul_f64_e32 v[38:39], v[56:57], v[38:39]
	global_load_b64 v[52:53], v[32:33], off
	global_load_b64 v[54:55], v[36:37], off
	v_add_co_u32 v32, vcc_lo, v32, s18
	s_wait_alu 0xfffd
	v_add_co_ci_u32_e64 v33, null, s19, v33, vcc_lo
	v_add_co_u32 v36, vcc_lo, v36, s18
	s_wait_alu 0xfffd
	v_add_co_ci_u32_e64 v37, null, s19, v37, vcc_lo
	global_load_b64 v[32:33], v[32:33], off
	global_load_b64 v[56:57], v[36:37], off
	v_add_co_u32 v36, vcc_lo, v36, s18
	s_wait_dscnt 0x0
	v_fma_f64 v[10:11], v[34:35], v[42:43], v[10:11]
	ds_bpermute_b32 v34, v21, v8
	ds_bpermute_b32 v35, v21, v9
	;; [unrolled: 1-line block ×4, first 2 shown]
	s_wait_alu 0xfffd
	v_add_co_ci_u32_e64 v37, null, s19, v37, vcc_lo
	v_add_co_u32 v4, vcc_lo, v4, s22
	s_wait_alu 0xfffd
	v_add_co_ci_u32_e64 v5, null, s23, v5, vcc_lo
	global_load_b64 v[36:37], v[36:37], off
	v_add_co_u32 v2, vcc_lo, v2, s20
	s_wait_loadcnt 0x13
	v_add_f64_e32 v[12:13], v[12:13], v[60:61]
	s_wait_alu 0xfffd
	v_add_co_ci_u32_e64 v3, null, 0, v3, vcc_lo
	v_add_co_u32 v30, vcc_lo, v30, s24
	s_wait_alu 0xfffd
	v_add_co_ci_u32_e64 v31, null, s25, v31, vcc_lo
	s_and_b32 vcc_lo, exec_lo, s1
	s_wait_dscnt 0x2
	v_add_f64_e64 v[34:35], v[58:59], -v[34:35]
	v_mul_f64_e32 v[40:41], v[60:61], v[40:41]
	s_wait_dscnt 0x0
	v_fma_f64 v[10:11], v[38:39], v[42:43], v[10:11]
	ds_bpermute_b32 v38, v22, v8
	ds_bpermute_b32 v39, v22, v9
	ds_bpermute_b32 v42, v20, v6
	ds_bpermute_b32 v43, v20, v7
	s_wait_loadcnt 0x11
	v_add_f64_e32 v[12:13], v[12:13], v[64:65]
	s_wait_dscnt 0x2
	v_add_f64_e64 v[38:39], v[62:63], -v[38:39]
	v_mul_f64_e32 v[34:35], v[64:65], v[34:35]
	s_wait_dscnt 0x0
	v_fma_f64 v[10:11], v[40:41], v[42:43], v[10:11]
	ds_bpermute_b32 v40, v23, v8
	ds_bpermute_b32 v41, v23, v9
	ds_bpermute_b32 v42, v21, v6
	ds_bpermute_b32 v43, v21, v7
	s_wait_loadcnt 0xf
	v_add_f64_e32 v[12:13], v[12:13], v[70:71]
	;; [unrolled: 11-line block ×7, first 2 shown]
	s_wait_dscnt 0x2
	v_add_f64_e64 v[38:39], v[48:49], -v[38:39]
	v_mul_f64_e32 v[34:35], v[50:51], v[34:35]
	s_wait_dscnt 0x0
	v_fma_f64 v[10:11], v[40:41], v[42:43], v[10:11]
	ds_bpermute_b32 v40, v0, v8
	ds_bpermute_b32 v41, v0, v9
	;; [unrolled: 1-line block ×6, first 2 shown]
	s_wait_loadcnt 0x3
	v_add_f64_e32 v[12:13], v[12:13], v[54:55]
	s_wait_dscnt 0x4
	v_add_f64_e64 v[40:41], v[52:53], -v[40:41]
	v_mul_f64_e32 v[38:39], v[54:55], v[38:39]
	s_wait_loadcnt_dscnt 0x200
	v_add_f64_e64 v[8:9], v[32:33], -v[8:9]
	v_fma_f64 v[10:11], v[34:35], v[42:43], v[10:11]
	ds_bpermute_b32 v34, v28, v6
	ds_bpermute_b32 v35, v28, v7
	s_wait_loadcnt 0x1
	v_add_f64_e32 v[12:13], v[12:13], v[56:57]
	v_mul_f64_e32 v[32:33], v[56:57], v[40:41]
	s_wait_loadcnt 0x0
	v_mul_f64_e32 v[8:9], v[36:37], v[8:9]
	s_wait_dscnt 0x0
	v_fma_f64 v[10:11], v[38:39], v[34:35], v[10:11]
	ds_bpermute_b32 v34, v0, v6
	ds_bpermute_b32 v35, v0, v7
	;; [unrolled: 1-line block ×4, first 2 shown]
	v_add_f64_e32 v[12:13], v[12:13], v[36:37]
	s_wait_dscnt 0x2
	v_fma_f64 v[10:11], v[32:33], v[34:35], v[10:11]
	s_wait_dscnt 0x0
	s_delay_alu instid0(VALU_DEP_1)
	v_fma_f64 v[10:11], v[8:9], v[6:7], v[10:11]
	s_wait_alu 0xfffe
	s_cbranch_vccz .LBB35_10
.LBB35_7:                               ; =>This Inner Loop Header: Depth=1
	v_mov_b32_e32 v6, 0
	v_dual_mov_b32 v7, 0 :: v_dual_mov_b32 v8, 0
	v_mov_b32_e32 v9, 0
	s_and_saveexec_b32 s1, s0
	s_cbranch_execz .LBB35_6
; %bb.8:                                ;   in Loop: Header=BB35_7 Depth=1
	v_mov_b32_e32 v8, 0
	v_dual_mov_b32 v9, 0 :: v_dual_mov_b32 v6, 0
	v_mov_b32_e32 v7, 0
	s_mov_b32 s26, exec_lo
	v_cmpx_gt_i64_e64 s[16:17], v[2:3]
	s_cbranch_execz .LBB35_5
; %bb.9:                                ;   in Loop: Header=BB35_7 Depth=1
	v_add_co_u32 v6, vcc_lo, s8, v4
	s_wait_alu 0xfffd
	v_add_co_ci_u32_e64 v7, null, s9, v5, vcc_lo
	v_add_co_u32 v32, vcc_lo, s10, v4
	s_wait_alu 0xfffd
	v_add_co_ci_u32_e64 v33, null, s11, v5, vcc_lo
	global_load_b64 v[8:9], v[6:7], off
	global_load_b64 v[6:7], v[32:33], off
	s_branch .LBB35_5
.LBB35_10:
	v_mov_b32_e32 v1, v15
.LBB35_11:
	s_delay_alu instid0(VALU_DEP_1) | instskip(SKIP_1) | instid1(VALU_DEP_1)
	v_mad_u32_u24 v0, 0x41, v1, v14
	s_mov_b32 s0, exec_lo
	v_lshl_add_u32 v2, v0, 3, 0
	v_sub_nc_u32_e32 v6, v0, v1
	ds_store_b64 v2, v[10:11]
	ds_store_b64 v2, v[12:13] offset:8320
	s_wait_dscnt 0x0
	s_barrier_signal -1
	s_barrier_wait -1
	global_inv scope:SCOPE_SE
	v_cmpx_gt_u32_e32 0x800, v6
	s_cbranch_execz .LBB35_27
; %bb.12:
	v_and_b32_e32 v0, 31, v14
	v_lshrrev_b32_e32 v8, 5, v6
                                        ; implicit-def: $vgpr2_vgpr3
	s_delay_alu instid0(VALU_DEP_2)
	v_cmp_gt_u32_e64 s0, 16, v0
	v_mul_u32_u24_e32 v7, 0x41, v0
                                        ; implicit-def: $vgpr0_vgpr1
	s_wait_alu 0xfffe
	s_and_saveexec_b32 s1, s0
	s_cbranch_execz .LBB35_14
; %bb.13:
	s_delay_alu instid0(VALU_DEP_1) | instskip(NEXT) | instid1(VALU_DEP_1)
	v_add_nc_u32_e32 v0, v8, v7
	v_lshl_add_u32 v0, v0, 3, 0
	ds_load_b64 v[2:3], v0
	ds_load_b64 v[0:1], v0 offset:8320
.LBB35_14:
	s_wait_alu 0xfffe
	s_or_b32 exec_lo, exec_lo, s1
	v_mbcnt_lo_u32_b32 v15, -1, 0
	s_mov_b32 s2, ttmp9
	s_mov_b32 s3, 0
	v_cmp_eq_u32_e64 s1, 0, v14
	s_wait_alu 0xfffe
	s_lshl_b64 s[2:3], s[2:3], 6
	v_xor_b32_e32 v4, 8, v15
	s_wait_kmcnt 0x0
	s_cmp_lg_u64 s[12:13], 0
	s_cselect_b32 s5, -1, 0
	s_cmp_lg_u64 s[14:15], 0
	v_cmp_gt_i32_e32 vcc_lo, 32, v4
	s_cselect_b32 s4, -1, 0
	s_wait_alu 0xfffd
	v_cndmask_b32_e32 v4, v15, v4, vcc_lo
	s_delay_alu instid0(VALU_DEP_1)
	v_lshlrev_b32_e32 v9, 2, v4
	s_wait_dscnt 0x1
	ds_bpermute_b32 v4, v9, v2
	ds_bpermute_b32 v5, v9, v3
	s_wait_dscnt 0x2
	ds_bpermute_b32 v10, v9, v0
	ds_bpermute_b32 v11, v9, v1
	s_wait_dscnt 0x2
	v_add_f64_e32 v[2:3], v[2:3], v[4:5]
	v_xor_b32_e32 v4, 4, v15
	s_wait_dscnt 0x0
	v_add_f64_e32 v[0:1], v[0:1], v[10:11]
	s_delay_alu instid0(VALU_DEP_2) | instskip(SKIP_2) | instid1(VALU_DEP_1)
	v_cmp_gt_i32_e32 vcc_lo, 32, v4
	s_wait_alu 0xfffd
	v_cndmask_b32_e32 v4, v15, v4, vcc_lo
	v_lshlrev_b32_e32 v10, 2, v4
	ds_bpermute_b32 v4, v10, v2
	ds_bpermute_b32 v5, v10, v3
	;; [unrolled: 1-line block ×4, first 2 shown]
	s_wait_dscnt 0x2
	v_add_f64_e32 v[2:3], v[2:3], v[4:5]
	v_xor_b32_e32 v4, 2, v15
	s_wait_dscnt 0x0
	v_add_f64_e32 v[0:1], v[0:1], v[11:12]
	s_delay_alu instid0(VALU_DEP_2) | instskip(SKIP_2) | instid1(VALU_DEP_1)
	v_cmp_gt_i32_e32 vcc_lo, 32, v4
	s_wait_alu 0xfffd
	v_cndmask_b32_e32 v4, v15, v4, vcc_lo
	v_lshlrev_b32_e32 v11, 2, v4
	ds_bpermute_b32 v4, v11, v2
	ds_bpermute_b32 v5, v11, v3
	;; [unrolled: 1-line block ×4, first 2 shown]
	s_wait_dscnt 0x2
	v_add_f64_e32 v[2:3], v[2:3], v[4:5]
	s_wait_dscnt 0x0
	v_add_f64_e32 v[4:5], v[0:1], v[12:13]
	v_xor_b32_e32 v0, 1, v15
	s_delay_alu instid0(VALU_DEP_1) | instskip(SKIP_2) | instid1(VALU_DEP_1)
	v_cmp_gt_i32_e32 vcc_lo, 32, v0
	s_wait_alu 0xfffd
	v_cndmask_b32_e32 v0, v15, v0, vcc_lo
	v_lshlrev_b32_e32 v12, 2, v0
	ds_bpermute_b32 v0, v12, v2
	ds_bpermute_b32 v1, v12, v3
	;; [unrolled: 1-line block ×4, first 2 shown]
	s_wait_dscnt 0x2
	v_add_f64_e32 v[0:1], v[2:3], v[0:1]
	s_wait_dscnt 0x0
	v_add_f64_e32 v[2:3], v[4:5], v[15:16]
	s_and_saveexec_b32 s6, s1
	s_cbranch_execz .LBB35_19
; %bb.15:
	s_wait_alu 0xfffe
	v_mov_b32_e32 v5, s3
	v_or_b32_e32 v4, s2, v8
	s_and_not1_b32 vcc_lo, exec_lo, s5
	s_delay_alu instid0(VALU_DEP_1)
	v_lshlrev_b64_e32 v[4:5], 3, v[4:5]
	s_wait_alu 0xfffe
	s_cbranch_vccnz .LBB35_17
; %bb.16:
	s_delay_alu instid0(VALU_DEP_1) | instskip(SKIP_1) | instid1(VALU_DEP_2)
	v_add_co_u32 v13, vcc_lo, s12, v4
	s_wait_alu 0xfffd
	v_add_co_ci_u32_e64 v14, null, s13, v5, vcc_lo
	global_store_b64 v[13:14], v[0:1], off
.LBB35_17:
	s_and_not1_b32 vcc_lo, exec_lo, s4
	s_wait_alu 0xfffe
	s_cbranch_vccnz .LBB35_19
; %bb.18:
	v_add_co_u32 v4, vcc_lo, s14, v4
	s_wait_alu 0xfffd
	v_add_co_ci_u32_e64 v5, null, s15, v5, vcc_lo
	global_store_b64 v[4:5], v[2:3], off
.LBB35_19:
	s_wait_alu 0xfffe
	s_or_b32 exec_lo, exec_lo, s6
	v_cmp_gt_u32_e32 vcc_lo, 0x400, v6
	s_and_b32 exec_lo, exec_lo, vcc_lo
	s_cbranch_execz .LBB35_27
; %bb.20:
	s_and_saveexec_b32 s6, s0
	s_cbranch_execz .LBB35_22
; %bb.21:
	v_add_nc_u32_e32 v0, v8, v7
	s_delay_alu instid0(VALU_DEP_1)
	v_lshl_add_u32 v2, v0, 3, 0
	ds_load_b64 v[0:1], v2 offset:256
	ds_load_b64 v[2:3], v2 offset:8576
.LBB35_22:
	s_wait_alu 0xfffe
	s_or_b32 exec_lo, exec_lo, s6
	s_wait_dscnt 0x1
	ds_bpermute_b32 v4, v9, v0
	ds_bpermute_b32 v5, v9, v1
	s_wait_dscnt 0x2
	ds_bpermute_b32 v6, v9, v2
	ds_bpermute_b32 v7, v9, v3
	s_wait_dscnt 0x2
	v_add_f64_e32 v[0:1], v[0:1], v[4:5]
	s_wait_dscnt 0x0
	v_add_f64_e32 v[2:3], v[2:3], v[6:7]
	ds_bpermute_b32 v4, v10, v0
	ds_bpermute_b32 v5, v10, v1
	ds_bpermute_b32 v6, v10, v2
	ds_bpermute_b32 v7, v10, v3
	s_wait_dscnt 0x2
	v_add_f64_e32 v[0:1], v[0:1], v[4:5]
	s_wait_dscnt 0x0
	v_add_f64_e32 v[2:3], v[2:3], v[6:7]
	ds_bpermute_b32 v4, v11, v0
	ds_bpermute_b32 v5, v11, v1
	;; [unrolled: 8-line block ×3, first 2 shown]
	ds_bpermute_b32 v2, v12, v0
	ds_bpermute_b32 v3, v12, v1
	s_and_b32 exec_lo, exec_lo, s1
	s_cbranch_execz .LBB35_27
; %bb.23:
	s_and_not1_b32 vcc_lo, exec_lo, s5
	s_wait_alu 0xfffe
	s_cbranch_vccnz .LBB35_25
; %bb.24:
	s_wait_dscnt 0x2
	v_add_f64_e32 v[4:5], v[4:5], v[6:7]
	v_add_co_u32 v6, s0, s2, v8
	s_wait_alu 0xf1ff
	v_add_co_ci_u32_e64 v7, null, s3, 0, s0
	s_delay_alu instid0(VALU_DEP_1) | instskip(NEXT) | instid1(VALU_DEP_1)
	v_lshlrev_b64_e32 v[6:7], 3, v[6:7]
	v_add_co_u32 v6, vcc_lo, s12, v6
	s_wait_alu 0xfffd
	s_delay_alu instid0(VALU_DEP_2)
	v_add_co_ci_u32_e64 v7, null, s13, v7, vcc_lo
	global_store_b64 v[6:7], v[4:5], off offset:256
.LBB35_25:
	s_and_not1_b32 vcc_lo, exec_lo, s4
	s_wait_alu 0xfffe
	s_cbranch_vccnz .LBB35_27
; %bb.26:
	s_wait_dscnt 0x0
	v_add_f64_e32 v[0:1], v[0:1], v[2:3]
	v_add_co_u32 v2, s0, s2, v8
	s_wait_alu 0xf1ff
	v_add_co_ci_u32_e64 v3, null, s3, 0, s0
	s_delay_alu instid0(VALU_DEP_1) | instskip(NEXT) | instid1(VALU_DEP_1)
	v_lshlrev_b64_e32 v[2:3], 3, v[2:3]
	v_add_co_u32 v2, vcc_lo, s14, v2
	s_wait_alu 0xfffd
	s_delay_alu instid0(VALU_DEP_2)
	v_add_co_ci_u32_e64 v3, null, s15, v3, vcc_lo
	global_store_b64 v[2:3], v[0:1], off offset:256
.LBB35_27:
	s_endpgm
	.section	.rodata,"a",@progbits
	.p2align	6, 0x0
	.amdhsa_kernel _ZN2at6native12_GLOBAL__N_135GammaBetaBackwardCUDAKernelTemplateIddLj64ELj16ELj256ELb0ELb1ELb0EEEvllPKT_S5_PKT0_S8_PS3_S9_
		.amdhsa_group_segment_fixed_size 0
		.amdhsa_private_segment_fixed_size 0
		.amdhsa_kernarg_size 320
		.amdhsa_user_sgpr_count 2
		.amdhsa_user_sgpr_dispatch_ptr 0
		.amdhsa_user_sgpr_queue_ptr 0
		.amdhsa_user_sgpr_kernarg_segment_ptr 1
		.amdhsa_user_sgpr_dispatch_id 0
		.amdhsa_user_sgpr_private_segment_size 0
		.amdhsa_wavefront_size32 1
		.amdhsa_uses_dynamic_stack 0
		.amdhsa_enable_private_segment 0
		.amdhsa_system_sgpr_workgroup_id_x 1
		.amdhsa_system_sgpr_workgroup_id_y 1
		.amdhsa_system_sgpr_workgroup_id_z 0
		.amdhsa_system_sgpr_workgroup_info 0
		.amdhsa_system_vgpr_workitem_id 1
		.amdhsa_next_free_vgpr 82
		.amdhsa_next_free_sgpr 27
		.amdhsa_reserve_vcc 1
		.amdhsa_float_round_mode_32 0
		.amdhsa_float_round_mode_16_64 0
		.amdhsa_float_denorm_mode_32 3
		.amdhsa_float_denorm_mode_16_64 3
		.amdhsa_fp16_overflow 0
		.amdhsa_workgroup_processor_mode 1
		.amdhsa_memory_ordered 1
		.amdhsa_forward_progress 1
		.amdhsa_inst_pref_size 30
		.amdhsa_round_robin_scheduling 0
		.amdhsa_exception_fp_ieee_invalid_op 0
		.amdhsa_exception_fp_denorm_src 0
		.amdhsa_exception_fp_ieee_div_zero 0
		.amdhsa_exception_fp_ieee_overflow 0
		.amdhsa_exception_fp_ieee_underflow 0
		.amdhsa_exception_fp_ieee_inexact 0
		.amdhsa_exception_int_div_zero 0
	.end_amdhsa_kernel
	.section	.text._ZN2at6native12_GLOBAL__N_135GammaBetaBackwardCUDAKernelTemplateIddLj64ELj16ELj256ELb0ELb1ELb0EEEvllPKT_S5_PKT0_S8_PS3_S9_,"axG",@progbits,_ZN2at6native12_GLOBAL__N_135GammaBetaBackwardCUDAKernelTemplateIddLj64ELj16ELj256ELb0ELb1ELb0EEEvllPKT_S5_PKT0_S8_PS3_S9_,comdat
.Lfunc_end35:
	.size	_ZN2at6native12_GLOBAL__N_135GammaBetaBackwardCUDAKernelTemplateIddLj64ELj16ELj256ELb0ELb1ELb0EEEvllPKT_S5_PKT0_S8_PS3_S9_, .Lfunc_end35-_ZN2at6native12_GLOBAL__N_135GammaBetaBackwardCUDAKernelTemplateIddLj64ELj16ELj256ELb0ELb1ELb0EEEvllPKT_S5_PKT0_S8_PS3_S9_
                                        ; -- End function
	.set _ZN2at6native12_GLOBAL__N_135GammaBetaBackwardCUDAKernelTemplateIddLj64ELj16ELj256ELb0ELb1ELb0EEEvllPKT_S5_PKT0_S8_PS3_S9_.num_vgpr, 82
	.set _ZN2at6native12_GLOBAL__N_135GammaBetaBackwardCUDAKernelTemplateIddLj64ELj16ELj256ELb0ELb1ELb0EEEvllPKT_S5_PKT0_S8_PS3_S9_.num_agpr, 0
	.set _ZN2at6native12_GLOBAL__N_135GammaBetaBackwardCUDAKernelTemplateIddLj64ELj16ELj256ELb0ELb1ELb0EEEvllPKT_S5_PKT0_S8_PS3_S9_.numbered_sgpr, 27
	.set _ZN2at6native12_GLOBAL__N_135GammaBetaBackwardCUDAKernelTemplateIddLj64ELj16ELj256ELb0ELb1ELb0EEEvllPKT_S5_PKT0_S8_PS3_S9_.num_named_barrier, 0
	.set _ZN2at6native12_GLOBAL__N_135GammaBetaBackwardCUDAKernelTemplateIddLj64ELj16ELj256ELb0ELb1ELb0EEEvllPKT_S5_PKT0_S8_PS3_S9_.private_seg_size, 0
	.set _ZN2at6native12_GLOBAL__N_135GammaBetaBackwardCUDAKernelTemplateIddLj64ELj16ELj256ELb0ELb1ELb0EEEvllPKT_S5_PKT0_S8_PS3_S9_.uses_vcc, 1
	.set _ZN2at6native12_GLOBAL__N_135GammaBetaBackwardCUDAKernelTemplateIddLj64ELj16ELj256ELb0ELb1ELb0EEEvllPKT_S5_PKT0_S8_PS3_S9_.uses_flat_scratch, 0
	.set _ZN2at6native12_GLOBAL__N_135GammaBetaBackwardCUDAKernelTemplateIddLj64ELj16ELj256ELb0ELb1ELb0EEEvllPKT_S5_PKT0_S8_PS3_S9_.has_dyn_sized_stack, 0
	.set _ZN2at6native12_GLOBAL__N_135GammaBetaBackwardCUDAKernelTemplateIddLj64ELj16ELj256ELb0ELb1ELb0EEEvllPKT_S5_PKT0_S8_PS3_S9_.has_recursion, 0
	.set _ZN2at6native12_GLOBAL__N_135GammaBetaBackwardCUDAKernelTemplateIddLj64ELj16ELj256ELb0ELb1ELb0EEEvllPKT_S5_PKT0_S8_PS3_S9_.has_indirect_call, 0
	.section	.AMDGPU.csdata,"",@progbits
; Kernel info:
; codeLenInByte = 3816
; TotalNumSgprs: 29
; NumVgprs: 82
; ScratchSize: 0
; MemoryBound: 0
; FloatMode: 240
; IeeeMode: 1
; LDSByteSize: 0 bytes/workgroup (compile time only)
; SGPRBlocks: 0
; VGPRBlocks: 10
; NumSGPRsForWavesPerEU: 29
; NumVGPRsForWavesPerEU: 82
; Occupancy: 16
; WaveLimiterHint : 0
; COMPUTE_PGM_RSRC2:SCRATCH_EN: 0
; COMPUTE_PGM_RSRC2:USER_SGPR: 2
; COMPUTE_PGM_RSRC2:TRAP_HANDLER: 0
; COMPUTE_PGM_RSRC2:TGID_X_EN: 1
; COMPUTE_PGM_RSRC2:TGID_Y_EN: 1
; COMPUTE_PGM_RSRC2:TGID_Z_EN: 0
; COMPUTE_PGM_RSRC2:TIDIG_COMP_CNT: 1
	.section	.text._ZN2at6native12_GLOBAL__N_135GammaBetaBackwardCUDAKernelTemplateIddLj64ELj16ELj256ELb0ELb0ELb0EEEvllPKT_S5_PKT0_S8_PS3_S9_,"axG",@progbits,_ZN2at6native12_GLOBAL__N_135GammaBetaBackwardCUDAKernelTemplateIddLj64ELj16ELj256ELb0ELb0ELb0EEEvllPKT_S5_PKT0_S8_PS3_S9_,comdat
	.globl	_ZN2at6native12_GLOBAL__N_135GammaBetaBackwardCUDAKernelTemplateIddLj64ELj16ELj256ELb0ELb0ELb0EEEvllPKT_S5_PKT0_S8_PS3_S9_ ; -- Begin function _ZN2at6native12_GLOBAL__N_135GammaBetaBackwardCUDAKernelTemplateIddLj64ELj16ELj256ELb0ELb0ELb0EEEvllPKT_S5_PKT0_S8_PS3_S9_
	.p2align	8
	.type	_ZN2at6native12_GLOBAL__N_135GammaBetaBackwardCUDAKernelTemplateIddLj64ELj16ELj256ELb0ELb0ELb0EEEvllPKT_S5_PKT0_S8_PS3_S9_,@function
_ZN2at6native12_GLOBAL__N_135GammaBetaBackwardCUDAKernelTemplateIddLj64ELj16ELj256ELb0ELb0ELb0EEEvllPKT_S5_PKT0_S8_PS3_S9_: ; @_ZN2at6native12_GLOBAL__N_135GammaBetaBackwardCUDAKernelTemplateIddLj64ELj16ELj256ELb0ELb0ELb0EEEvllPKT_S5_PKT0_S8_PS3_S9_
; %bb.0:
	s_clause 0x1
	s_load_b256 s[4:11], s[0:1], 0x0
	s_load_b128 s[12:15], s[0:1], 0x20
	s_lshl_b32 s30, ttmp9, 6
	s_mov_b32 s17, 0
	s_or_b32 s16, s30, 63
	v_mov_b32_e32 v144, v0
	s_wait_kmcnt 0x0
	v_cmp_le_i64_e64 s2, s[6:7], s[16:17]
	s_lshl_b32 s16, ttmp7, 8
	s_wait_alu 0xfffe
	v_cmp_gt_i64_e64 s31, s[4:5], s[16:17]
	s_and_b32 vcc_lo, exec_lo, s2
	v_cndmask_b32_e64 v0, 0, 1, s31
	s_delay_alu instid0(VALU_DEP_1)
	v_cmp_ne_u32_e64 s2, 1, v0
	s_cbranch_vccz .LBB36_80
; %bb.1:
	v_mov_b32_e32 v147, 0
	v_dual_mov_b32 v148, 0 :: v_dual_mov_b32 v145, 0
	v_mov_b32_e32 v146, 0
	s_and_b32 vcc_lo, exec_lo, s2
	s_cbranch_vccnz .LBB36_81
; %bb.2:
	v_bfe_u32 v76, v144, 10, 10
	v_dual_mov_b32 v145, 0 :: v_dual_and_b32 v78, 0x3ff, v144
	v_mov_b32_e32 v1, 0
	s_load_b32 s3, s[0:1], 0x44
	s_delay_alu instid0(VALU_DEP_3) | instskip(NEXT) | instid1(VALU_DEP_2)
	v_dual_mov_b32 v146, 0 :: v_dual_lshlrev_b32 v77, 4, v76
	v_dual_mov_b32 v5, v1 :: v_dual_add_nc_u32 v4, s30, v78
	s_mov_b32 s19, 0
	s_delay_alu instid0(VALU_DEP_2) | instskip(NEXT) | instid1(VALU_DEP_1)
	v_add_co_u32 v10, s2, v77, s16
	v_add_co_ci_u32_e64 v11, null, 0, 0, s2
	s_delay_alu instid0(VALU_DEP_3) | instskip(NEXT) | instid1(VALU_DEP_3)
	v_cmp_gt_i64_e64 s2, s[6:7], v[4:5]
	v_add_co_u32 v6, vcc_lo, v10, 15
	v_mul_lo_u32 v0, s7, v10
	s_delay_alu instid0(VALU_DEP_4) | instskip(SKIP_3) | instid1(VALU_DEP_3)
	v_mul_lo_u32 v8, s6, v11
	v_add_co_ci_u32_e64 v7, null, 0, v11, vcc_lo
	v_mad_co_u64_u32 v[2:3], null, s6, v10, 0
	v_mul_lo_u32 v9, s7, v6
	v_mul_lo_u32 v12, s6, v7
	v_mad_co_u64_u32 v[6:7], null, s6, v6, 0
	v_lshlrev_b64_e32 v[38:39], 3, v[4:5]
	s_wait_kmcnt 0x0
	s_lshl_b32 s22, s3, 8
	v_add3_u32 v3, v3, v8, v0
	v_add_co_u32 v0, vcc_lo, v10, 14
	s_wait_alu 0xfffd
	v_add_co_ci_u32_e64 v8, null, 0, v11, vcc_lo
	v_add3_u32 v7, v7, v12, v9
	v_lshlrev_b64_e32 v[4:5], 3, v[2:3]
	v_mul_lo_u32 v12, s7, v0
	s_delay_alu instid0(VALU_DEP_4)
	v_mul_lo_u32 v13, s6, v8
	v_mad_co_u64_u32 v[8:9], null, s6, v0, 0
	v_lshlrev_b64_e32 v[6:7], 3, v[6:7]
	v_add_co_u32 v79, vcc_lo, s8, v4
	s_wait_alu 0xfffd
	v_add_co_ci_u32_e64 v80, null, s9, v5, vcc_lo
	v_add_co_u32 v81, vcc_lo, s10, v4
	v_add3_u32 v9, v9, v13, v12
	s_wait_alu 0xfffd
	v_add_co_ci_u32_e64 v82, null, s11, v5, vcc_lo
	v_add_co_u32 v83, vcc_lo, s8, v6
	s_wait_alu 0xfffd
	v_add_co_ci_u32_e64 v84, null, s9, v7, vcc_lo
	v_add_co_u32 v0, vcc_lo, v10, 13
	v_add_co_u32 v85, s3, s10, v6
	v_lshlrev_b64_e32 v[4:5], 3, v[8:9]
	s_wait_alu 0xfffd
	v_add_co_ci_u32_e64 v6, null, 0, v11, vcc_lo
	v_add_co_u32 v8, vcc_lo, v10, 12
	s_wait_alu 0xfffd
	v_add_co_ci_u32_e64 v9, null, 0, v11, vcc_lo
	s_wait_alu 0xf1ff
	v_add_co_ci_u32_e64 v86, null, s11, v7, s3
	v_mul_lo_u32 v12, s7, v0
	v_mul_lo_u32 v13, s6, v6
	v_mad_co_u64_u32 v[6:7], null, s6, v0, 0
	v_mul_lo_u32 v0, s7, v8
	v_mul_lo_u32 v14, s6, v9
	v_mad_co_u64_u32 v[8:9], null, s6, v8, 0
	v_add_co_u32 v87, vcc_lo, s8, v4
	s_wait_alu 0xfffd
	v_add_co_ci_u32_e64 v88, null, s9, v5, vcc_lo
	v_add_co_u32 v89, vcc_lo, s10, v4
	s_wait_alu 0xfffd
	v_add_co_ci_u32_e64 v90, null, s11, v5, vcc_lo
	v_add3_u32 v9, v9, v14, v0
	v_add_co_u32 v0, vcc_lo, v10, 11
	v_add3_u32 v7, v7, v13, v12
	s_wait_alu 0xfffd
	v_add_co_ci_u32_e64 v12, null, 0, v11, vcc_lo
	s_delay_alu instid0(VALU_DEP_3)
	v_mul_lo_u32 v13, s7, v0
	s_mov_b32 s23, s19
	v_lshlrev_b64_e32 v[4:5], 3, v[6:7]
	v_lshlrev_b64_e32 v[6:7], 3, v[8:9]
	v_mul_lo_u32 v12, s6, v12
	v_mad_co_u64_u32 v[8:9], null, s6, v0, 0
	v_mov_b32_e32 v147, 0
	v_add_co_u32 v91, vcc_lo, s8, v4
	s_wait_alu 0xfffd
	v_add_co_ci_u32_e64 v92, null, s9, v5, vcc_lo
	v_add_co_u32 v93, vcc_lo, s10, v4
	v_add3_u32 v9, v9, v12, v13
	s_wait_alu 0xfffd
	v_add_co_ci_u32_e64 v94, null, s11, v5, vcc_lo
	v_add_co_u32 v95, vcc_lo, s8, v6
	s_wait_alu 0xfffd
	v_add_co_ci_u32_e64 v96, null, s9, v7, vcc_lo
	v_add_co_u32 v0, vcc_lo, v10, 10
	v_add_co_u32 v97, s3, s10, v6
	v_lshlrev_b64_e32 v[4:5], 3, v[8:9]
	s_wait_alu 0xfffd
	v_add_co_ci_u32_e64 v6, null, 0, v11, vcc_lo
	v_add_co_u32 v8, vcc_lo, v10, 9
	s_wait_alu 0xfffd
	v_add_co_ci_u32_e64 v9, null, 0, v11, vcc_lo
	s_wait_alu 0xf1ff
	v_add_co_ci_u32_e64 v98, null, s11, v7, s3
	v_mul_lo_u32 v12, s7, v0
	v_mul_lo_u32 v13, s6, v6
	v_mad_co_u64_u32 v[6:7], null, s6, v0, 0
	v_mul_lo_u32 v14, s7, v8
	v_mul_lo_u32 v15, s6, v9
	v_mad_co_u64_u32 v[8:9], null, s6, v8, 0
	v_add_co_u32 v0, vcc_lo, s8, v4
	s_wait_alu 0xfffd
	v_add_co_ci_u32_e64 v99, null, s9, v5, vcc_lo
	v_add_co_u32 v100, vcc_lo, s10, v4
	v_add3_u32 v7, v7, v13, v12
	s_wait_alu 0xfffd
	v_add_co_ci_u32_e64 v101, null, s11, v5, vcc_lo
	v_add_co_u32 v12, vcc_lo, v10, 8
	v_add3_u32 v9, v9, v15, v14
	s_wait_alu 0xfffd
	v_add_co_ci_u32_e64 v13, null, 0, v11, vcc_lo
	v_lshlrev_b64_e32 v[4:5], 3, v[6:7]
	v_mul_lo_u32 v14, s7, v12
	v_lshlrev_b64_e32 v[6:7], 3, v[8:9]
	s_delay_alu instid0(VALU_DEP_4)
	v_mul_lo_u32 v13, s6, v13
	v_mad_co_u64_u32 v[8:9], null, s6, v12, 0
	v_add_co_u32 v102, vcc_lo, s8, v4
	s_wait_alu 0xfffd
	v_add_co_ci_u32_e64 v103, null, s9, v5, vcc_lo
	v_add_co_u32 v104, vcc_lo, s10, v4
	s_delay_alu instid0(VALU_DEP_4)
	v_add3_u32 v9, v9, v13, v14
	s_wait_alu 0xfffd
	v_add_co_ci_u32_e64 v105, null, s11, v5, vcc_lo
	v_add_co_u32 v106, vcc_lo, s8, v6
	s_wait_alu 0xfffd
	v_add_co_ci_u32_e64 v107, null, s9, v7, vcc_lo
	v_add_co_u32 v12, vcc_lo, v10, 7
	v_add_co_u32 v108, s3, s10, v6
	v_lshlrev_b64_e32 v[4:5], 3, v[8:9]
	s_wait_alu 0xfffd
	v_add_co_ci_u32_e64 v6, null, 0, v11, vcc_lo
	v_add_co_u32 v8, vcc_lo, v10, 6
	s_wait_alu 0xfffd
	v_add_co_ci_u32_e64 v9, null, 0, v11, vcc_lo
	s_wait_alu 0xf1ff
	v_add_co_ci_u32_e64 v109, null, s11, v7, s3
	v_mul_lo_u32 v13, s7, v12
	v_mul_lo_u32 v14, s6, v6
	v_mad_co_u64_u32 v[6:7], null, s6, v12, 0
	v_mul_lo_u32 v12, s7, v8
	v_mul_lo_u32 v15, s6, v9
	v_mad_co_u64_u32 v[8:9], null, s6, v8, 0
	v_add_co_u32 v110, vcc_lo, s8, v4
	s_wait_alu 0xfffd
	v_add_co_ci_u32_e64 v111, null, s9, v5, vcc_lo
	v_add_co_u32 v112, vcc_lo, s10, v4
	v_add3_u32 v7, v7, v14, v13
	s_wait_alu 0xfffd
	v_add_co_ci_u32_e64 v113, null, s11, v5, vcc_lo
	v_add3_u32 v9, v9, v15, v12
	v_add_co_u32 v12, vcc_lo, v10, 5
	s_wait_alu 0xfffd
	v_add_co_ci_u32_e64 v13, null, 0, v11, vcc_lo
	v_lshlrev_b64_e32 v[4:5], 3, v[6:7]
	v_lshlrev_b64_e32 v[6:7], 3, v[8:9]
	v_mul_lo_u32 v14, s7, v12
	s_delay_alu instid0(VALU_DEP_4)
	v_mul_lo_u32 v13, s6, v13
	v_mad_co_u64_u32 v[8:9], null, s6, v12, 0
	v_add_co_u32 v114, vcc_lo, s8, v4
	s_wait_alu 0xfffd
	v_add_co_ci_u32_e64 v115, null, s9, v5, vcc_lo
	v_add_co_u32 v116, vcc_lo, s10, v4
	s_wait_alu 0xfffd
	v_add_co_ci_u32_e64 v117, null, s11, v5, vcc_lo
	v_add_co_u32 v118, vcc_lo, s8, v6
	v_add3_u32 v9, v9, v13, v14
	s_wait_alu 0xfffd
	v_add_co_ci_u32_e64 v119, null, s9, v7, vcc_lo
	v_add_co_u32 v12, vcc_lo, v10, 4
	v_add_co_u32 v120, s3, s10, v6
	s_wait_alu 0xfffd
	v_add_co_ci_u32_e64 v6, null, 0, v11, vcc_lo
	v_lshlrev_b64_e32 v[4:5], 3, v[8:9]
	v_add_co_u32 v8, vcc_lo, v10, 3
	s_wait_alu 0xfffd
	v_add_co_ci_u32_e64 v9, null, 0, v11, vcc_lo
	s_wait_alu 0xf1ff
	v_add_co_ci_u32_e64 v121, null, s11, v7, s3
	v_mul_lo_u32 v13, s7, v12
	v_mul_lo_u32 v14, s6, v6
	v_mad_co_u64_u32 v[6:7], null, s6, v12, 0
	v_mul_lo_u32 v12, s7, v8
	v_mul_lo_u32 v15, s6, v9
	v_mad_co_u64_u32 v[8:9], null, s6, v8, 0
	v_add_co_u32 v122, vcc_lo, s8, v4
	s_wait_alu 0xfffd
	v_add_co_ci_u32_e64 v123, null, s9, v5, vcc_lo
	v_add3_u32 v7, v7, v14, v13
	v_add_co_u32 v124, vcc_lo, s10, v4
	s_wait_alu 0xfffd
	v_add_co_ci_u32_e64 v125, null, s11, v5, vcc_lo
	v_add_co_u32 v10, vcc_lo, v10, 2
	v_add3_u32 v9, v9, v15, v12
	s_wait_alu 0xfffd
	v_add_co_ci_u32_e64 v11, null, 0, v11, vcc_lo
	v_lshlrev_b64_e32 v[4:5], 3, v[6:7]
	v_mul_lo_u32 v12, s7, v10
	v_lshlrev_b64_e32 v[6:7], 3, v[8:9]
	s_delay_alu instid0(VALU_DEP_4)
	v_mul_lo_u32 v11, s6, v11
	v_mad_co_u64_u32 v[8:9], null, s6, v10, 0
	v_add_co_u32 v126, vcc_lo, s8, v4
	s_wait_alu 0xfffd
	v_add_co_ci_u32_e64 v127, null, s9, v5, vcc_lo
	v_add_co_u32 v128, vcc_lo, s10, v4
	s_wait_alu 0xfffd
	v_add_co_ci_u32_e64 v129, null, s11, v5, vcc_lo
	;; [unrolled: 3-line block ×3, first 2 shown]
	v_add3_u32 v9, v9, v11, v12
	v_add_co_u32 v132, vcc_lo, s10, v6
	s_wait_alu 0xfffd
	v_add_co_ci_u32_e64 v133, null, s11, v7, vcc_lo
	v_add_co_u32 v2, vcc_lo, v2, s6
	s_wait_alu 0xfffd
	v_add_co_ci_u32_e64 v3, null, s7, v3, vcc_lo
	v_lshlrev_b64_e32 v[4:5], 3, v[8:9]
	v_mov_b32_e32 v148, 0
	s_mul_u64 s[24:25], s[6:7], s[22:23]
	s_delay_alu instid0(VALU_DEP_3)
	v_lshlrev_b64_e32 v[2:3], 3, v[2:3]
	s_add_nc_u64 s[20:21], s[0:1], 64
	s_lshl_b64 s[24:25], s[24:25], 3
	v_add_co_u32 v134, vcc_lo, s8, v4
	s_wait_alu 0xfffd
	v_add_co_ci_u32_e64 v135, null, s9, v5, vcc_lo
	v_add_co_u32 v136, vcc_lo, s10, v4
	s_wait_alu 0xfffd
	v_add_co_ci_u32_e64 v137, null, s11, v5, vcc_lo
	;; [unrolled: 3-line block ×4, first 2 shown]
	s_add_nc_u64 s[26:27], s[16:17], 0xff
	s_mov_b64 s[28:29], s[16:17]
	s_branch .LBB36_5
.LBB36_3:                               ;   in Loop: Header=BB36_5 Depth=1
	s_wait_alu 0xfffe
	s_or_b32 exec_lo, exec_lo, s3
	s_wait_loadcnt 0x1
	ds_bpermute_b32 v34, v1, v40
	ds_bpermute_b32 v35, v1, v41
	ds_bpermute_b32 v36, v1, v40 offset:4
	ds_bpermute_b32 v37, v1, v41 offset:4
	s_wait_loadcnt_dscnt 0x2
	v_add_f64_e64 v[34:35], v[44:45], -v[34:35]
	ds_bpermute_b32 v44, v1, v40 offset:8
	s_wait_dscnt 0x1
	v_add_f64_e64 v[36:37], v[50:51], -v[36:37]
	ds_bpermute_b32 v45, v1, v41 offset:8
	ds_bpermute_b32 v50, v1, v42
	ds_bpermute_b32 v51, v1, v43
	s_wait_dscnt 0x2
	v_add_f64_e64 v[44:45], v[48:49], -v[44:45]
	ds_bpermute_b32 v48, v1, v40 offset:12
	ds_bpermute_b32 v49, v1, v41 offset:12
	v_mul_f64_e32 v[34:35], v[2:3], v[34:35]
	v_add_f64_e32 v[2:3], v[147:148], v[2:3]
	v_mul_f64_e32 v[36:37], v[4:5], v[36:37]
	s_wait_dscnt 0x0
	v_add_f64_e64 v[48:49], v[54:55], -v[48:49]
	v_mul_f64_e32 v[44:45], v[6:7], v[44:45]
	v_fma_f64 v[34:35], v[34:35], v[50:51], v[145:146]
	ds_bpermute_b32 v50, v1, v42 offset:4
	ds_bpermute_b32 v51, v1, v43 offset:4
	v_add_f64_e32 v[2:3], v[4:5], v[2:3]
	ds_bpermute_b32 v4, v1, v40 offset:16
	ds_bpermute_b32 v5, v1, v41 offset:16
	v_mul_f64_e32 v[48:49], v[8:9], v[48:49]
	s_wait_dscnt 0x0
	v_add_f64_e64 v[4:5], v[52:53], -v[4:5]
	v_fma_f64 v[34:35], v[36:37], v[50:51], v[34:35]
	ds_bpermute_b32 v36, v1, v42 offset:8
	ds_bpermute_b32 v37, v1, v43 offset:8
	v_add_f64_e32 v[2:3], v[6:7], v[2:3]
	ds_bpermute_b32 v6, v1, v40 offset:20
	ds_bpermute_b32 v7, v1, v41 offset:20
	s_wait_dscnt 0x0
	v_add_f64_e64 v[6:7], v[58:59], -v[6:7]
	v_mul_f64_e32 v[4:5], v[10:11], v[4:5]
	v_fma_f64 v[34:35], v[44:45], v[36:37], v[34:35]
	ds_bpermute_b32 v36, v1, v42 offset:12
	ds_bpermute_b32 v37, v1, v43 offset:12
	v_add_f64_e32 v[2:3], v[8:9], v[2:3]
	ds_bpermute_b32 v8, v1, v40 offset:24
	ds_bpermute_b32 v9, v1, v41 offset:24
	s_wait_dscnt 0x0
	v_add_f64_e64 v[8:9], v[56:57], -v[8:9]
	v_mul_f64_e32 v[6:7], v[12:13], v[6:7]
	;; [unrolled: 9-line block ×3, first 2 shown]
	v_fma_f64 v[4:5], v[4:5], v[36:37], v[34:35]
	ds_bpermute_b32 v34, v1, v42 offset:20
	ds_bpermute_b32 v35, v1, v43 offset:20
	v_add_f64_e32 v[2:3], v[12:13], v[2:3]
	ds_bpermute_b32 v12, v1, v42 offset:24
	ds_bpermute_b32 v13, v1, v43 offset:24
	v_mul_f64_e32 v[10:11], v[16:17], v[10:11]
	s_wait_dscnt 0x2
	v_fma_f64 v[4:5], v[6:7], v[34:35], v[4:5]
	ds_bpermute_b32 v6, v1, v40 offset:32
	ds_bpermute_b32 v7, v1, v41 offset:32
	v_add_f64_e32 v[2:3], v[14:15], v[2:3]
	s_wait_dscnt 0x0
	v_add_f64_e64 v[6:7], v[60:61], -v[6:7]
	v_fma_f64 v[4:5], v[8:9], v[12:13], v[4:5]
	ds_bpermute_b32 v8, v1, v40 offset:36
	ds_bpermute_b32 v9, v1, v41 offset:36
	ds_bpermute_b32 v12, v1, v42 offset:28
	ds_bpermute_b32 v13, v1, v43 offset:28
	v_add_f64_e32 v[2:3], v[16:17], v[2:3]
	s_wait_dscnt 0x2
	v_add_f64_e64 v[8:9], v[66:67], -v[8:9]
	v_mul_f64_e32 v[6:7], v[18:19], v[6:7]
	s_wait_dscnt 0x0
	v_fma_f64 v[4:5], v[10:11], v[12:13], v[4:5]
	ds_bpermute_b32 v10, v1, v40 offset:40
	ds_bpermute_b32 v11, v1, v41 offset:40
	ds_bpermute_b32 v12, v1, v42 offset:32
	ds_bpermute_b32 v13, v1, v43 offset:32
	v_add_f64_e32 v[2:3], v[18:19], v[2:3]
	s_wait_dscnt 0x2
	v_add_f64_e64 v[10:11], v[64:65], -v[10:11]
	v_mul_f64_e32 v[8:9], v[20:21], v[8:9]
	s_wait_dscnt 0x0
	;; [unrolled: 10-line block ×6, first 2 shown]
	v_fma_f64 v[4:5], v[8:9], v[12:13], v[4:5]
	ds_bpermute_b32 v8, v1, v42 offset:52
	ds_bpermute_b32 v9, v1, v43 offset:52
	v_mul_f64_e32 v[6:7], v[30:31], v[6:7]
	s_wait_dscnt 0x0
	v_fma_f64 v[4:5], v[10:11], v[8:9], v[4:5]
	v_add_f64_e32 v[8:9], v[28:29], v[2:3]
	ds_bpermute_b32 v2, v1, v42 offset:56
	ds_bpermute_b32 v3, v1, v43 offset:56
	;; [unrolled: 1-line block ×4, first 2 shown]
	s_wait_dscnt 0x2
	v_fma_f64 v[2:3], v[6:7], v[2:3], v[4:5]
	v_add_f64_e32 v[4:5], v[30:31], v[8:9]
	ds_bpermute_b32 v6, v1, v40 offset:60
	ds_bpermute_b32 v7, v1, v41 offset:60
.LBB36_4:                               ;   in Loop: Header=BB36_5 Depth=1
	s_wait_dscnt 0x0
	v_add_f64_e64 v[6:7], v[46:47], -v[6:7]
	v_add_f64_e32 v[147:148], v[4:5], v[32:33]
	v_add_co_u32 v79, vcc_lo, v79, s24
	s_wait_alu 0xfffd
	v_add_co_ci_u32_e64 v80, null, s25, v80, vcc_lo
	v_add_co_u32 v81, vcc_lo, v81, s24
	s_wait_alu 0xfffd
	v_add_co_ci_u32_e64 v82, null, s25, v82, vcc_lo
	;; [unrolled: 3-line block ×9, first 2 shown]
	v_mul_f64_e32 v[4:5], v[32:33], v[6:7]
	v_add_co_u32 v97, vcc_lo, v97, s24
	s_wait_alu 0xfffd
	v_add_co_ci_u32_e64 v98, null, s25, v98, vcc_lo
	v_add_co_u32 v0, vcc_lo, v0, s24
	s_wait_alu 0xfffd
	v_add_co_ci_u32_e64 v99, null, s25, v99, vcc_lo
	;; [unrolled: 3-line block ×9, first 2 shown]
	v_add_co_u32 v114, vcc_lo, v114, s24
	v_fma_f64 v[145:146], v[4:5], v[42:43], v[2:3]
	s_wait_alu 0xfffd
	v_add_co_ci_u32_e64 v115, null, s25, v115, vcc_lo
	v_add_co_u32 v116, vcc_lo, v116, s24
	s_wait_alu 0xfffd
	v_add_co_ci_u32_e64 v117, null, s25, v117, vcc_lo
	v_add_co_u32 v118, vcc_lo, v118, s24
	;; [unrolled: 3-line block ×11, first 2 shown]
	s_add_nc_u64 s[28:29], s[28:29], s[22:23]
	s_wait_alu 0xfffd
	v_add_co_ci_u32_e64 v137, null, s25, v137, vcc_lo
	v_add_co_u32 v138, vcc_lo, v138, s24
	s_wait_alu 0xfffe
	v_cmp_lt_i64_e64 s3, s[28:29], s[4:5]
	s_wait_alu 0xfffd
	v_add_co_ci_u32_e64 v139, null, s25, v139, vcc_lo
	v_add_co_u32 v140, vcc_lo, v140, s24
	s_wait_alu 0xfffd
	v_add_co_ci_u32_e64 v141, null, s25, v141, vcc_lo
	s_and_b32 vcc_lo, exec_lo, s3
	s_add_nc_u64 s[26:27], s[26:27], s[22:23]
	s_wait_alu 0xfffe
	s_cbranch_vccz .LBB36_81
.LBB36_5:                               ; =>This Inner Loop Header: Depth=1
	v_cmp_ge_i64_e64 s3, s[26:27], s[4:5]
	v_add_co_u32 v142, s18, v77, s26
	s_wait_alu 0xf1ff
	v_add_co_ci_u32_e64 v143, null, 0, s27, s18
                                        ; implicit-def: $vgpr2_vgpr3_vgpr4_vgpr5_vgpr6_vgpr7_vgpr8_vgpr9_vgpr10_vgpr11_vgpr12_vgpr13_vgpr14_vgpr15_vgpr16_vgpr17_vgpr18_vgpr19_vgpr20_vgpr21_vgpr22_vgpr23_vgpr24_vgpr25_vgpr26_vgpr27_vgpr28_vgpr29_vgpr30_vgpr31_vgpr32_vgpr33
                                        ; implicit-def: $vgpr42_vgpr43
                                        ; implicit-def: $vgpr46_vgpr47
                                        ; implicit-def: $vgpr6
	s_and_b32 vcc_lo, exec_lo, s3
	s_mov_b32 s3, -1
                                        ; implicit-def: $vgpr4_vgpr5
                                        ; implicit-def: $vgpr2_vgpr3
	s_wait_alu 0xfffe
	s_cbranch_vccz .LBB36_43
; %bb.6:                                ;   in Loop: Header=BB36_5 Depth=1
	s_load_b32 s3, s[20:21], 0xc
	v_mov_b32_e32 v44, 0
	v_mov_b32_e32 v42, 0
	v_dual_mov_b32 v40, 0 :: v_dual_mov_b32 v43, 0
	v_mov_b32_e32 v41, 0
	v_mov_b32_e32 v45, 0
	s_wait_kmcnt 0x0
	s_and_b32 s3, s3, 0xffff
	s_wait_alu 0xfffe
	v_mad_u32_u24 v2, v76, s3, v78
	s_mov_b32 s3, exec_lo
	s_delay_alu instid0(VALU_DEP_1) | instskip(NEXT) | instid1(VALU_DEP_1)
	v_and_b32_e32 v2, 31, v2
	v_cmpx_gt_u32_e32 16, v2
	s_cbranch_execz .LBB36_10
; %bb.7:                                ;   in Loop: Header=BB36_5 Depth=1
	v_add_co_u32 v2, vcc_lo, v142, v2
	s_wait_alu 0xfffd
	v_add_co_ci_u32_e64 v3, null, 0, v143, vcc_lo
	v_mov_b32_e32 v40, 0
	s_delay_alu instid0(VALU_DEP_3)
	v_add_co_u32 v2, vcc_lo, 0xffffff01, v2
	v_dual_mov_b32 v41, 0 :: v_dual_mov_b32 v42, 0
	s_wait_alu 0xfffd
	v_add_co_ci_u32_e64 v3, null, -1, v3, vcc_lo
	v_mov_b32_e32 v43, 0
	s_mov_b32 s18, exec_lo
	s_delay_alu instid0(VALU_DEP_2)
	v_cmpx_gt_i64_e64 s[4:5], v[2:3]
	s_cbranch_execz .LBB36_9
; %bb.8:                                ;   in Loop: Header=BB36_5 Depth=1
	v_lshlrev_b64_e32 v[2:3], 3, v[2:3]
	s_delay_alu instid0(VALU_DEP_1) | instskip(SKIP_1) | instid1(VALU_DEP_2)
	v_add_co_u32 v4, vcc_lo, s12, v2
	s_wait_alu 0xfffd
	v_add_co_ci_u32_e64 v5, null, s13, v3, vcc_lo
	v_add_co_u32 v2, vcc_lo, s14, v2
	s_wait_alu 0xfffd
	v_add_co_ci_u32_e64 v3, null, s15, v3, vcc_lo
	global_load_b64 v[40:41], v[4:5], off
	global_load_b64 v[42:43], v[2:3], off
.LBB36_9:                               ;   in Loop: Header=BB36_5 Depth=1
	s_wait_alu 0xfffe
	s_or_b32 exec_lo, exec_lo, s18
.LBB36_10:                              ;   in Loop: Header=BB36_5 Depth=1
	s_wait_alu 0xfffe
	s_or_b32 exec_lo, exec_lo, s3
	v_add_co_u32 v33, vcc_lo, 0xffffff01, v142
	s_wait_alu 0xfffd
	v_add_co_ci_u32_e64 v34, null, -1, v143, vcc_lo
	v_mov_b32_e32 v32, v1
	v_dual_mov_b32 v2, v1 :: v_dual_mov_b32 v3, v1
	s_delay_alu instid0(VALU_DEP_3)
	v_cmp_gt_i64_e32 vcc_lo, s[4:5], v[33:34]
	v_dual_mov_b32 v4, v1 :: v_dual_mov_b32 v5, v1
	v_dual_mov_b32 v6, v1 :: v_dual_mov_b32 v7, v1
	;; [unrolled: 1-line block ×14, first 2 shown]
	v_mov_b32_e32 v33, v32
	s_delay_alu instid0(VALU_DEP_2) | instskip(NEXT) | instid1(VALU_DEP_3)
	v_mov_b32_e32 v32, v31
	v_mov_b32_e32 v31, v30
	;; [unrolled: 1-line block ×31, first 2 shown]
	s_and_b32 s18, s2, vcc_lo
	s_wait_alu 0xfffe
	s_and_saveexec_b32 s3, s18
	s_cbranch_execz .LBB36_12
; %bb.11:                               ;   in Loop: Header=BB36_5 Depth=1
	v_add_co_u32 v2, vcc_lo, v79, v38
	s_wait_alu 0xfffd
	v_add_co_ci_u32_e64 v3, null, v80, v39, vcc_lo
	v_add_co_u32 v4, vcc_lo, v81, v38
	s_wait_alu 0xfffd
	v_add_co_ci_u32_e64 v5, null, v82, v39, vcc_lo
	global_load_b64 v[2:3], v[2:3], off
	global_load_b64 v[44:45], v[4:5], off
	v_dual_mov_b32 v4, v1 :: v_dual_mov_b32 v5, v1
	v_dual_mov_b32 v6, v1 :: v_dual_mov_b32 v7, v1
	v_dual_mov_b32 v8, v1 :: v_dual_mov_b32 v9, v1
	v_dual_mov_b32 v10, v1 :: v_dual_mov_b32 v11, v1
	v_dual_mov_b32 v12, v1 :: v_dual_mov_b32 v13, v1
	v_dual_mov_b32 v14, v1 :: v_dual_mov_b32 v15, v1
	v_dual_mov_b32 v16, v1 :: v_dual_mov_b32 v17, v1
	v_dual_mov_b32 v18, v1 :: v_dual_mov_b32 v19, v1
	v_dual_mov_b32 v20, v1 :: v_dual_mov_b32 v21, v1
	v_dual_mov_b32 v22, v1 :: v_dual_mov_b32 v23, v1
	v_dual_mov_b32 v24, v1 :: v_dual_mov_b32 v25, v1
	v_dual_mov_b32 v26, v1 :: v_dual_mov_b32 v27, v1
	v_dual_mov_b32 v28, v1 :: v_dual_mov_b32 v29, v1
	v_dual_mov_b32 v30, v1 :: v_dual_mov_b32 v31, v1
	v_dual_mov_b32 v32, v1 :: v_dual_mov_b32 v33, v1
.LBB36_12:                              ;   in Loop: Header=BB36_5 Depth=1
	s_wait_alu 0xfffe
	s_or_b32 exec_lo, exec_lo, s3
	v_add_co_u32 v34, vcc_lo, 0xffffff02, v142
	s_wait_alu 0xfffd
	v_add_co_ci_u32_e64 v35, null, -1, v143, vcc_lo
	v_mov_b32_e32 v48, 0
	v_dual_mov_b32 v49, 0 :: v_dual_mov_b32 v50, 0
	s_delay_alu instid0(VALU_DEP_3)
	v_cmp_gt_i64_e32 vcc_lo, s[4:5], v[34:35]
	v_mov_b32_e32 v51, 0
	s_and_b32 s18, s2, vcc_lo
	s_wait_alu 0xfffe
	s_and_saveexec_b32 s3, s18
	s_cbranch_execz .LBB36_14
; %bb.13:                               ;   in Loop: Header=BB36_5 Depth=1
	v_add_co_u32 v4, vcc_lo, v138, v38
	s_wait_alu 0xfffd
	v_add_co_ci_u32_e64 v5, null, v139, v39, vcc_lo
	v_add_co_u32 v34, vcc_lo, v140, v38
	s_wait_alu 0xfffd
	v_add_co_ci_u32_e64 v35, null, v141, v39, vcc_lo
	global_load_b64 v[4:5], v[4:5], off
	global_load_b64 v[50:51], v[34:35], off
.LBB36_14:                              ;   in Loop: Header=BB36_5 Depth=1
	s_wait_alu 0xfffe
	s_or_b32 exec_lo, exec_lo, s3
	v_add_co_u32 v34, vcc_lo, 0xffffff03, v142
	s_wait_alu 0xfffd
	v_add_co_ci_u32_e64 v35, null, -1, v143, vcc_lo
	s_delay_alu instid0(VALU_DEP_1)
	v_cmp_gt_i64_e32 vcc_lo, s[4:5], v[34:35]
	s_and_b32 s18, s2, vcc_lo
	s_wait_alu 0xfffe
	s_and_saveexec_b32 s3, s18
	s_cbranch_execz .LBB36_16
; %bb.15:                               ;   in Loop: Header=BB36_5 Depth=1
	v_add_co_u32 v6, vcc_lo, v134, v38
	s_wait_alu 0xfffd
	v_add_co_ci_u32_e64 v7, null, v135, v39, vcc_lo
	v_add_co_u32 v34, vcc_lo, v136, v38
	s_wait_alu 0xfffd
	v_add_co_ci_u32_e64 v35, null, v137, v39, vcc_lo
	global_load_b64 v[6:7], v[6:7], off
	global_load_b64 v[48:49], v[34:35], off
.LBB36_16:                              ;   in Loop: Header=BB36_5 Depth=1
	s_wait_alu 0xfffe
	s_or_b32 exec_lo, exec_lo, s3
	v_add_co_u32 v34, vcc_lo, 0xffffff04, v142
	s_wait_alu 0xfffd
	v_add_co_ci_u32_e64 v35, null, -1, v143, vcc_lo
	v_mov_b32_e32 v52, 0
	v_dual_mov_b32 v53, 0 :: v_dual_mov_b32 v54, 0
	s_delay_alu instid0(VALU_DEP_3)
	v_cmp_gt_i64_e32 vcc_lo, s[4:5], v[34:35]
	v_mov_b32_e32 v55, 0
	s_and_b32 s18, s2, vcc_lo
	s_wait_alu 0xfffe
	s_and_saveexec_b32 s3, s18
	s_cbranch_execz .LBB36_18
; %bb.17:                               ;   in Loop: Header=BB36_5 Depth=1
	v_add_co_u32 v8, vcc_lo, v130, v38
	s_wait_alu 0xfffd
	v_add_co_ci_u32_e64 v9, null, v131, v39, vcc_lo
	v_add_co_u32 v34, vcc_lo, v132, v38
	s_wait_alu 0xfffd
	v_add_co_ci_u32_e64 v35, null, v133, v39, vcc_lo
	global_load_b64 v[8:9], v[8:9], off
	global_load_b64 v[54:55], v[34:35], off
.LBB36_18:                              ;   in Loop: Header=BB36_5 Depth=1
	s_wait_alu 0xfffe
	s_or_b32 exec_lo, exec_lo, s3
	v_add_co_u32 v34, vcc_lo, 0xffffff05, v142
	s_wait_alu 0xfffd
	v_add_co_ci_u32_e64 v35, null, -1, v143, vcc_lo
	s_delay_alu instid0(VALU_DEP_1)
	v_cmp_gt_i64_e32 vcc_lo, s[4:5], v[34:35]
	s_and_b32 s18, s2, vcc_lo
	s_wait_alu 0xfffe
	s_and_saveexec_b32 s3, s18
	s_cbranch_execz .LBB36_20
; %bb.19:                               ;   in Loop: Header=BB36_5 Depth=1
	v_add_co_u32 v10, vcc_lo, v126, v38
	s_wait_alu 0xfffd
	v_add_co_ci_u32_e64 v11, null, v127, v39, vcc_lo
	v_add_co_u32 v34, vcc_lo, v128, v38
	s_wait_alu 0xfffd
	v_add_co_ci_u32_e64 v35, null, v129, v39, vcc_lo
	global_load_b64 v[10:11], v[10:11], off
	global_load_b64 v[52:53], v[34:35], off
.LBB36_20:                              ;   in Loop: Header=BB36_5 Depth=1
	;; [unrolled: 45-line block ×7, first 2 shown]
	s_wait_alu 0xfffe
	s_or_b32 exec_lo, exec_lo, s3
	v_add_co_u32 v34, vcc_lo, 0xffffff10, v142
	s_wait_alu 0xfffd
	v_add_co_ci_u32_e64 v35, null, -1, v143, vcc_lo
	v_mov_b32_e32 v46, 0
	v_mov_b32_e32 v47, 0
	s_delay_alu instid0(VALU_DEP_3)
	v_cmp_gt_i64_e32 vcc_lo, s[4:5], v[34:35]
	s_and_b32 s18, s2, vcc_lo
	s_wait_alu 0xfffe
	s_and_saveexec_b32 s3, s18
	s_cbranch_execz .LBB36_42
; %bb.41:                               ;   in Loop: Header=BB36_5 Depth=1
	v_add_co_u32 v32, vcc_lo, v83, v38
	s_wait_alu 0xfffd
	v_add_co_ci_u32_e64 v33, null, v84, v39, vcc_lo
	v_add_co_u32 v34, vcc_lo, v85, v38
	s_wait_alu 0xfffd
	v_add_co_ci_u32_e64 v35, null, v86, v39, vcc_lo
	global_load_b64 v[32:33], v[32:33], off
	global_load_b64 v[46:47], v[34:35], off
.LBB36_42:                              ;   in Loop: Header=BB36_5 Depth=1
	s_wait_alu 0xfffe
	s_or_b32 exec_lo, exec_lo, s3
	s_wait_loadcnt 0x1
	ds_bpermute_b32 v34, v1, v40
	ds_bpermute_b32 v35, v1, v41
	ds_bpermute_b32 v36, v1, v40 offset:4
	ds_bpermute_b32 v37, v1, v41 offset:4
	s_mov_b32 s3, 0
	s_wait_loadcnt_dscnt 0x2
	v_add_f64_e64 v[34:35], v[44:45], -v[34:35]
	ds_bpermute_b32 v44, v1, v40 offset:8
	s_wait_dscnt 0x1
	v_add_f64_e64 v[36:37], v[50:51], -v[36:37]
	ds_bpermute_b32 v45, v1, v41 offset:8
	ds_bpermute_b32 v50, v1, v42
	ds_bpermute_b32 v51, v1, v43
	s_wait_dscnt 0x2
	v_add_f64_e64 v[44:45], v[48:49], -v[44:45]
	ds_bpermute_b32 v48, v1, v40 offset:12
	ds_bpermute_b32 v49, v1, v41 offset:12
	v_mul_f64_e32 v[34:35], v[2:3], v[34:35]
	v_add_f64_e32 v[2:3], v[147:148], v[2:3]
	v_mul_f64_e32 v[36:37], v[4:5], v[36:37]
	s_wait_dscnt 0x0
	v_add_f64_e64 v[48:49], v[54:55], -v[48:49]
	v_mul_f64_e32 v[44:45], v[6:7], v[44:45]
	v_fma_f64 v[34:35], v[34:35], v[50:51], v[145:146]
	ds_bpermute_b32 v50, v1, v42 offset:4
	ds_bpermute_b32 v51, v1, v43 offset:4
	v_add_f64_e32 v[2:3], v[4:5], v[2:3]
	ds_bpermute_b32 v4, v1, v40 offset:16
	ds_bpermute_b32 v5, v1, v41 offset:16
	v_mul_f64_e32 v[48:49], v[8:9], v[48:49]
	s_wait_dscnt 0x0
	v_add_f64_e64 v[4:5], v[52:53], -v[4:5]
	v_fma_f64 v[34:35], v[36:37], v[50:51], v[34:35]
	ds_bpermute_b32 v36, v1, v42 offset:8
	ds_bpermute_b32 v37, v1, v43 offset:8
	v_add_f64_e32 v[2:3], v[6:7], v[2:3]
	ds_bpermute_b32 v6, v1, v40 offset:20
	ds_bpermute_b32 v7, v1, v41 offset:20
	s_wait_dscnt 0x0
	v_add_f64_e64 v[6:7], v[58:59], -v[6:7]
	v_mul_f64_e32 v[4:5], v[10:11], v[4:5]
	v_fma_f64 v[34:35], v[44:45], v[36:37], v[34:35]
	ds_bpermute_b32 v36, v1, v42 offset:12
	ds_bpermute_b32 v37, v1, v43 offset:12
	v_add_f64_e32 v[2:3], v[8:9], v[2:3]
	ds_bpermute_b32 v8, v1, v40 offset:24
	ds_bpermute_b32 v9, v1, v41 offset:24
	s_wait_dscnt 0x0
	v_add_f64_e64 v[8:9], v[56:57], -v[8:9]
	v_mul_f64_e32 v[6:7], v[12:13], v[6:7]
	;; [unrolled: 9-line block ×3, first 2 shown]
	v_fma_f64 v[4:5], v[4:5], v[36:37], v[34:35]
	ds_bpermute_b32 v34, v1, v42 offset:20
	ds_bpermute_b32 v35, v1, v43 offset:20
	v_add_f64_e32 v[2:3], v[12:13], v[2:3]
	ds_bpermute_b32 v12, v1, v42 offset:24
	ds_bpermute_b32 v13, v1, v43 offset:24
	v_mul_f64_e32 v[10:11], v[16:17], v[10:11]
	s_wait_dscnt 0x2
	v_fma_f64 v[4:5], v[6:7], v[34:35], v[4:5]
	ds_bpermute_b32 v6, v1, v40 offset:32
	ds_bpermute_b32 v7, v1, v41 offset:32
	v_add_f64_e32 v[2:3], v[14:15], v[2:3]
	s_wait_dscnt 0x0
	v_add_f64_e64 v[6:7], v[60:61], -v[6:7]
	v_fma_f64 v[4:5], v[8:9], v[12:13], v[4:5]
	ds_bpermute_b32 v8, v1, v40 offset:36
	ds_bpermute_b32 v9, v1, v41 offset:36
	ds_bpermute_b32 v12, v1, v42 offset:28
	ds_bpermute_b32 v13, v1, v43 offset:28
	v_add_f64_e32 v[2:3], v[16:17], v[2:3]
	s_wait_dscnt 0x2
	v_add_f64_e64 v[8:9], v[66:67], -v[8:9]
	v_mul_f64_e32 v[6:7], v[18:19], v[6:7]
	s_wait_dscnt 0x0
	v_fma_f64 v[4:5], v[10:11], v[12:13], v[4:5]
	ds_bpermute_b32 v10, v1, v40 offset:40
	ds_bpermute_b32 v11, v1, v41 offset:40
	ds_bpermute_b32 v12, v1, v42 offset:32
	ds_bpermute_b32 v13, v1, v43 offset:32
	v_add_f64_e32 v[2:3], v[18:19], v[2:3]
	s_wait_dscnt 0x2
	v_add_f64_e64 v[10:11], v[64:65], -v[10:11]
	v_mul_f64_e32 v[8:9], v[20:21], v[8:9]
	s_wait_dscnt 0x0
	;; [unrolled: 10-line block ×6, first 2 shown]
	v_fma_f64 v[4:5], v[8:9], v[12:13], v[4:5]
	ds_bpermute_b32 v8, v1, v42 offset:52
	ds_bpermute_b32 v9, v1, v43 offset:52
	v_mul_f64_e32 v[6:7], v[30:31], v[6:7]
	s_wait_dscnt 0x0
	v_fma_f64 v[4:5], v[10:11], v[8:9], v[4:5]
	v_add_f64_e32 v[8:9], v[28:29], v[2:3]
	ds_bpermute_b32 v2, v1, v42 offset:56
	ds_bpermute_b32 v3, v1, v43 offset:56
	;; [unrolled: 1-line block ×4, first 2 shown]
	s_wait_dscnt 0x2
	v_fma_f64 v[2:3], v[6:7], v[2:3], v[4:5]
	v_add_f64_e32 v[4:5], v[30:31], v[8:9]
	ds_bpermute_b32 v6, v1, v40 offset:60
	ds_bpermute_b32 v7, v1, v41 offset:60
.LBB36_43:                              ;   in Loop: Header=BB36_5 Depth=1
	s_wait_alu 0xfffe
	s_and_b32 vcc_lo, exec_lo, s3
	s_wait_alu 0xfffe
	s_cbranch_vccz .LBB36_4
; %bb.44:                               ;   in Loop: Header=BB36_5 Depth=1
	s_load_b32 s3, s[20:21], 0x0
	v_mov_b32_e32 v44, 0
	s_wait_dscnt 0x2
	v_mov_b32_e32 v42, 0
	v_dual_mov_b32 v40, 0 :: v_dual_mov_b32 v43, 0
	v_mov_b32_e32 v41, 0
	v_mov_b32_e32 v45, 0
	s_wait_kmcnt 0x0
	s_cmp_lt_u32 ttmp9, s3
	s_cselect_b32 s18, 12, 18
	s_wait_alu 0xfffe
	s_add_nc_u64 s[34:35], s[20:21], s[18:19]
	s_load_u16 s3, s[34:35], 0x0
	s_wait_kmcnt 0x0
	v_mad_u32_u24 v2, v76, s3, v78
	s_mov_b32 s3, exec_lo
	s_delay_alu instid0(VALU_DEP_1) | instskip(NEXT) | instid1(VALU_DEP_1)
	v_and_b32_e32 v2, 31, v2
	v_cmpx_gt_u32_e32 16, v2
	s_cbranch_execz .LBB36_48
; %bb.45:                               ;   in Loop: Header=BB36_5 Depth=1
	v_add_co_u32 v2, vcc_lo, v142, v2
	s_wait_alu 0xfffd
	v_add_co_ci_u32_e64 v3, null, 0, v143, vcc_lo
	v_mov_b32_e32 v40, 0
	s_delay_alu instid0(VALU_DEP_3)
	v_add_co_u32 v2, vcc_lo, 0xffffff01, v2
	v_dual_mov_b32 v41, 0 :: v_dual_mov_b32 v42, 0
	s_wait_alu 0xfffd
	v_add_co_ci_u32_e64 v3, null, -1, v3, vcc_lo
	v_mov_b32_e32 v43, 0
	s_mov_b32 s18, exec_lo
	s_delay_alu instid0(VALU_DEP_2)
	v_cmpx_gt_i64_e64 s[4:5], v[2:3]
	s_cbranch_execz .LBB36_47
; %bb.46:                               ;   in Loop: Header=BB36_5 Depth=1
	v_lshlrev_b64_e32 v[2:3], 3, v[2:3]
	s_delay_alu instid0(VALU_DEP_1) | instskip(SKIP_1) | instid1(VALU_DEP_2)
	v_add_co_u32 v4, vcc_lo, s12, v2
	s_wait_alu 0xfffd
	v_add_co_ci_u32_e64 v5, null, s13, v3, vcc_lo
	v_add_co_u32 v2, vcc_lo, s14, v2
	s_wait_alu 0xfffd
	v_add_co_ci_u32_e64 v3, null, s15, v3, vcc_lo
	global_load_b64 v[40:41], v[4:5], off
	global_load_b64 v[42:43], v[2:3], off
.LBB36_47:                              ;   in Loop: Header=BB36_5 Depth=1
	s_wait_alu 0xfffe
	s_or_b32 exec_lo, exec_lo, s18
.LBB36_48:                              ;   in Loop: Header=BB36_5 Depth=1
	s_wait_alu 0xfffe
	s_or_b32 exec_lo, exec_lo, s3
	v_mov_b32_e32 v32, v1
	v_dual_mov_b32 v2, v1 :: v_dual_mov_b32 v3, v1
	v_dual_mov_b32 v4, v1 :: v_dual_mov_b32 v5, v1
	s_wait_dscnt 0x0
	v_dual_mov_b32 v6, v1 :: v_dual_mov_b32 v7, v1
	v_dual_mov_b32 v8, v1 :: v_dual_mov_b32 v9, v1
	;; [unrolled: 1-line block ×13, first 2 shown]
	v_mov_b32_e32 v33, v32
	s_delay_alu instid0(VALU_DEP_2) | instskip(NEXT) | instid1(VALU_DEP_3)
	v_mov_b32_e32 v32, v31
	v_mov_b32_e32 v31, v30
	;; [unrolled: 1-line block ×31, first 2 shown]
	s_and_saveexec_b32 s3, s2
	s_cbranch_execz .LBB36_50
; %bb.49:                               ;   in Loop: Header=BB36_5 Depth=1
	v_add_co_u32 v2, vcc_lo, v79, v38
	s_wait_alu 0xfffd
	v_add_co_ci_u32_e64 v3, null, v80, v39, vcc_lo
	v_add_co_u32 v4, vcc_lo, v81, v38
	s_wait_alu 0xfffd
	v_add_co_ci_u32_e64 v5, null, v82, v39, vcc_lo
	global_load_b64 v[2:3], v[2:3], off
	global_load_b64 v[44:45], v[4:5], off
	v_dual_mov_b32 v4, v1 :: v_dual_mov_b32 v5, v1
	v_dual_mov_b32 v6, v1 :: v_dual_mov_b32 v7, v1
	;; [unrolled: 1-line block ×15, first 2 shown]
.LBB36_50:                              ;   in Loop: Header=BB36_5 Depth=1
	s_wait_alu 0xfffe
	s_or_b32 exec_lo, exec_lo, s3
	v_mov_b32_e32 v48, 0
	v_dual_mov_b32 v49, 0 :: v_dual_mov_b32 v50, 0
	v_mov_b32_e32 v51, 0
	s_and_saveexec_b32 s3, s2
	s_cbranch_execz .LBB36_52
; %bb.51:                               ;   in Loop: Header=BB36_5 Depth=1
	v_add_co_u32 v4, vcc_lo, v138, v38
	s_wait_alu 0xfffd
	v_add_co_ci_u32_e64 v5, null, v139, v39, vcc_lo
	v_add_co_u32 v34, vcc_lo, v140, v38
	s_wait_alu 0xfffd
	v_add_co_ci_u32_e64 v35, null, v141, v39, vcc_lo
	global_load_b64 v[4:5], v[4:5], off
	global_load_b64 v[50:51], v[34:35], off
.LBB36_52:                              ;   in Loop: Header=BB36_5 Depth=1
	s_wait_alu 0xfffe
	s_or_b32 exec_lo, exec_lo, s3
	s_and_saveexec_b32 s3, s2
	s_cbranch_execz .LBB36_54
; %bb.53:                               ;   in Loop: Header=BB36_5 Depth=1
	v_add_co_u32 v6, vcc_lo, v134, v38
	s_wait_alu 0xfffd
	v_add_co_ci_u32_e64 v7, null, v135, v39, vcc_lo
	v_add_co_u32 v34, vcc_lo, v136, v38
	s_wait_alu 0xfffd
	v_add_co_ci_u32_e64 v35, null, v137, v39, vcc_lo
	global_load_b64 v[6:7], v[6:7], off
	global_load_b64 v[48:49], v[34:35], off
.LBB36_54:                              ;   in Loop: Header=BB36_5 Depth=1
	s_wait_alu 0xfffe
	s_or_b32 exec_lo, exec_lo, s3
	v_mov_b32_e32 v52, 0
	v_dual_mov_b32 v53, 0 :: v_dual_mov_b32 v54, 0
	v_mov_b32_e32 v55, 0
	s_and_saveexec_b32 s3, s2
	s_cbranch_execz .LBB36_56
; %bb.55:                               ;   in Loop: Header=BB36_5 Depth=1
	v_add_co_u32 v8, vcc_lo, v130, v38
	s_wait_alu 0xfffd
	v_add_co_ci_u32_e64 v9, null, v131, v39, vcc_lo
	v_add_co_u32 v34, vcc_lo, v132, v38
	s_wait_alu 0xfffd
	v_add_co_ci_u32_e64 v35, null, v133, v39, vcc_lo
	global_load_b64 v[8:9], v[8:9], off
	global_load_b64 v[54:55], v[34:35], off
.LBB36_56:                              ;   in Loop: Header=BB36_5 Depth=1
	s_wait_alu 0xfffe
	s_or_b32 exec_lo, exec_lo, s3
	s_and_saveexec_b32 s3, s2
	s_cbranch_execz .LBB36_58
; %bb.57:                               ;   in Loop: Header=BB36_5 Depth=1
	v_add_co_u32 v10, vcc_lo, v126, v38
	s_wait_alu 0xfffd
	v_add_co_ci_u32_e64 v11, null, v127, v39, vcc_lo
	v_add_co_u32 v34, vcc_lo, v128, v38
	s_wait_alu 0xfffd
	v_add_co_ci_u32_e64 v35, null, v129, v39, vcc_lo
	global_load_b64 v[10:11], v[10:11], off
	global_load_b64 v[52:53], v[34:35], off
.LBB36_58:                              ;   in Loop: Header=BB36_5 Depth=1
	;; [unrolled: 31-line block ×7, first 2 shown]
	s_wait_alu 0xfffe
	s_or_b32 exec_lo, exec_lo, s3
	v_mov_b32_e32 v46, 0
	v_mov_b32_e32 v47, 0
	s_and_saveexec_b32 s3, s2
	s_cbranch_execz .LBB36_3
; %bb.79:                               ;   in Loop: Header=BB36_5 Depth=1
	v_add_co_u32 v32, vcc_lo, v83, v38
	s_wait_alu 0xfffd
	v_add_co_ci_u32_e64 v33, null, v84, v39, vcc_lo
	v_add_co_u32 v34, vcc_lo, v85, v38
	s_wait_alu 0xfffd
	v_add_co_ci_u32_e64 v35, null, v86, v39, vcc_lo
	global_load_b64 v[32:33], v[32:33], off
	global_load_b64 v[46:47], v[34:35], off
	s_branch .LBB36_3
.LBB36_80:
                                        ; implicit-def: $vgpr147_vgpr148
                                        ; implicit-def: $vgpr145_vgpr146
	s_branch .LBB36_82
.LBB36_81:
	s_cbranch_execnz .LBB36_130
.LBB36_82:
	v_mov_b32_e32 v147, 0
	v_dual_mov_b32 v148, 0 :: v_dual_mov_b32 v145, 0
	v_mov_b32_e32 v146, 0
	s_and_not1_b32 vcc_lo, exec_lo, s31
	s_wait_alu 0xfffe
	s_cbranch_vccnz .LBB36_130
; %bb.83:
	v_bfe_u32 v0, v144, 10, 10
	s_lshl_b64 s[2:3], s[16:17], 3
	s_add_nc_u64 s[20:21], s[16:17], 0xff
	s_delay_alu instid0(VALU_DEP_1)
	v_lshlrev_b32_e32 v2, 4, v0
	scratch_store_b32 off, v0, off offset:64 ; 4-byte Folded Spill
	v_lshlrev_b32_e32 v1, 7, v0
	v_add_co_u32 v0, s18, v2, s16
	s_wait_alu 0xf1ff
	v_add_co_ci_u32_e64 v3, null, 0, 0, s18
	s_wait_alu 0xfffe
	v_add_co_u32 v4, s2, v1, s2
	scratch_store_b32 off, v2, off offset:68 ; 4-byte Folded Spill
	v_mul_lo_u32 v6, s7, v0
	v_mul_lo_u32 v7, s6, v3
	v_mad_co_u64_u32 v[1:2], null, s6, v0, 0
	s_wait_alu 0xf1ff
	v_add_co_ci_u32_e64 v5, null, 0, s3, s2
	v_add_co_u32 v8, vcc_lo, v4, 8
	s_load_b32 s2, s[0:1], 0x44
	v_add_co_ci_u32_e64 v9, null, 0, v5, vcc_lo
	v_add_co_u32 v10, vcc_lo, v4, 16
	s_wait_alu 0xfffd
	v_add_co_ci_u32_e64 v11, null, 0, v5, vcc_lo
	v_add3_u32 v2, v2, v7, v6
	v_add_co_u32 v6, vcc_lo, v4, 24
	s_wait_alu 0xfffd
	v_add_co_ci_u32_e64 v7, null, 0, v5, vcc_lo
	v_add_co_u32 v14, vcc_lo, v4, 32
	s_wait_alu 0xfffd
	v_add_co_ci_u32_e64 v15, null, 0, v5, vcc_lo
	v_add_co_u32 v17, vcc_lo, v4, 40
	s_wait_alu 0xfffd
	v_add_co_ci_u32_e64 v19, null, 0, v5, vcc_lo
	v_add_co_u32 v20, vcc_lo, v4, 48
	s_wait_alu 0xfffd
	v_add_co_ci_u32_e64 v21, null, 0, v5, vcc_lo
	v_add_co_u32 v23, vcc_lo, v4, 56
	s_wait_alu 0xfffd
	v_add_co_ci_u32_e64 v25, null, 0, v5, vcc_lo
	v_add_co_u32 v26, vcc_lo, v4, 64
	s_wait_alu 0xfffd
	v_add_co_ci_u32_e64 v27, null, 0, v5, vcc_lo
	v_add_co_u32 v30, vcc_lo, 0x48, v4
	s_wait_alu 0xfffd
	v_add_co_ci_u32_e64 v31, null, 0, v5, vcc_lo
	v_add_co_u32 v32, vcc_lo, 0x50, v4
	s_wait_alu 0xfffd
	v_add_co_ci_u32_e64 v33, null, 0, v5, vcc_lo
	v_add_co_u32 v35, vcc_lo, 0x58, v4
	s_wait_alu 0xfffd
	v_add_co_ci_u32_e64 v37, null, 0, v5, vcc_lo
	v_add_co_u32 v90, vcc_lo, 0x60, v4
	s_wait_alu 0xfffd
	v_add_co_ci_u32_e64 v62, null, 0, v5, vcc_lo
	v_add_co_u32 v92, vcc_lo, 0x68, v4
	s_wait_alu 0xfffd
	v_add_co_ci_u32_e64 v64, null, 0, v5, vcc_lo
	v_add_co_u32 v98, vcc_lo, 0x70, v4
	s_wait_alu 0xfffd
	v_add_co_ci_u32_e64 v66, null, 0, v5, vcc_lo
	v_add_co_u32 v4, vcc_lo, 0x78, v4
	v_mad_co_u64_u32 v[60:61], null, s6, v90, s[8:9]
	v_mul_lo_u32 v95, s6, v62
	v_mul_lo_u32 v96, s7, v90
	v_mad_co_u64_u32 v[62:63], null, s6, v92, s[8:9]
	v_mul_lo_u32 v97, s6, v64
	v_mul_lo_u32 v99, s7, v92
	v_mad_co_u64_u32 v[90:91], null, s6, v90, s[10:11]
	v_mad_co_u64_u32 v[92:93], null, s6, v92, s[10:11]
	s_wait_alu 0xfffd
	v_add_co_ci_u32_e64 v5, null, 0, v5, vcc_lo
	v_mad_co_u64_u32 v[42:43], null, s6, v6, s[8:9]
	v_mul_lo_u32 v7, s6, v7
	v_mul_lo_u32 v16, s7, v6
	v_mad_co_u64_u32 v[72:73], null, s6, v6, s[10:11]
	v_mul_lo_u32 v102, s6, v5
	v_add_co_u32 v5, vcc_lo, v0, 15
	v_mad_co_u64_u32 v[40:41], null, s6, v10, s[8:9]
	v_mul_lo_u32 v11, s6, v11
	v_mul_lo_u32 v13, s7, v10
	v_mad_co_u64_u32 v[70:71], null, s6, v10, s[10:11]
	v_add3_u32 v61, v96, v61, v95
	v_mul_lo_u32 v100, s6, v66
	v_mad_co_u64_u32 v[66:67], null, s6, v4, s[8:9]
	v_mul_lo_u32 v103, s7, v4
	v_add3_u32 v63, v99, v63, v97
	v_add3_u32 v91, v96, v91, v95
	;; [unrolled: 1-line block ×3, first 2 shown]
	v_mad_co_u64_u32 v[96:97], null, s6, v4, s[10:11]
	s_wait_alu 0xfffd
	v_add_co_ci_u32_e64 v4, null, 0, v3, vcc_lo
	v_add_co_u32 v6, vcc_lo, v0, 14
	v_mad_co_u64_u32 v[38:39], null, s6, v8, s[8:9]
	v_mul_lo_u32 v9, s6, v9
	v_mul_lo_u32 v12, s7, v8
	v_mad_co_u64_u32 v[68:69], null, s6, v8, s[10:11]
	v_add3_u32 v43, v16, v43, v7
	v_add3_u32 v73, v16, v73, v7
	s_wait_alu 0xfffd
	v_add_co_ci_u32_e64 v7, null, 0, v3, vcc_lo
	v_add3_u32 v41, v13, v41, v11
	v_add3_u32 v71, v13, v71, v11
	v_mul_lo_u32 v10, s7, v6
	s_delay_alu instid0(VALU_DEP_4)
	v_mul_lo_u32 v11, s6, v7
	v_mad_co_u64_u32 v[6:7], null, s6, v6, 0
	v_add3_u32 v39, v12, v39, v9
	v_mad_co_u64_u32 v[44:45], null, s6, v14, s[8:9]
	v_mul_lo_u32 v15, s6, v15
	v_mul_lo_u32 v18, s7, v14
	v_mad_co_u64_u32 v[74:75], null, s6, v14, s[10:11]
	v_add3_u32 v69, v12, v69, v9
	v_mul_lo_u32 v8, s7, v5
	v_mul_lo_u32 v9, s6, v4
	v_mad_co_u64_u32 v[4:5], null, s6, v5, 0
	v_mad_co_u64_u32 v[46:47], null, s6, v17, s[8:9]
	v_mul_lo_u32 v19, s6, v19
	v_mul_lo_u32 v22, s7, v17
	v_mad_co_u64_u32 v[76:77], null, s6, v17, s[10:11]
	v_add_co_u32 v12, vcc_lo, v0, 13
	v_mad_co_u64_u32 v[48:49], null, s6, v20, s[8:9]
	v_mul_lo_u32 v21, s6, v21
	v_mul_lo_u32 v24, s7, v20
	v_mad_co_u64_u32 v[78:79], null, s6, v20, s[10:11]
	s_wait_alu 0xfffd
	v_add_co_ci_u32_e64 v13, null, 0, v3, vcc_lo
	v_add3_u32 v7, v7, v11, v10
	v_add_co_u32 v10, vcc_lo, v0, 12
	v_add3_u32 v45, v18, v45, v15
	v_add3_u32 v75, v18, v75, v15
	;; [unrolled: 1-line block ×3, first 2 shown]
	v_mul_lo_u32 v18, s7, v12
	v_mad_co_u64_u32 v[8:9], null, s6, v12, 0
	s_wait_alu 0xfffd
	v_add_co_ci_u32_e64 v11, null, 0, v3, vcc_lo
	v_add_co_u32 v12, vcc_lo, v0, 11
	v_mad_co_u64_u32 v[50:51], null, s6, v23, s[8:9]
	v_mul_lo_u32 v25, s6, v25
	v_mul_lo_u32 v28, s7, v23
	v_mad_co_u64_u32 v[80:81], null, s6, v23, s[10:11]
	v_add3_u32 v47, v22, v47, v19
	v_add3_u32 v77, v22, v77, v19
	v_mul_lo_u32 v19, s6, v13
	s_wait_alu 0xfffd
	v_add_co_ci_u32_e64 v13, null, 0, v3, vcc_lo
	v_add_co_u32 v14, vcc_lo, v0, 10
	s_wait_alu 0xfffd
	v_add_co_ci_u32_e64 v15, null, 0, v3, vcc_lo
	v_add3_u32 v49, v24, v49, v21
	v_add3_u32 v79, v24, v79, v21
	v_mul_lo_u32 v20, s7, v10
	v_mul_lo_u32 v21, s6, v11
	v_mad_co_u64_u32 v[10:11], null, s6, v10, 0
	v_mul_lo_u32 v22, s7, v12
	v_mul_lo_u32 v23, s6, v13
	v_mad_co_u64_u32 v[12:13], null, s6, v12, 0
	v_add3_u32 v51, v28, v51, v25
	v_add3_u32 v81, v28, v81, v25
	v_mul_lo_u32 v24, s7, v14
	v_add_co_u32 v16, vcc_lo, v0, 9
	v_mul_lo_u32 v25, s6, v15
	v_mad_co_u64_u32 v[14:15], null, s6, v14, 0
	s_wait_alu 0xfffd
	v_add_co_ci_u32_e64 v17, null, 0, v3, vcc_lo
	v_add3_u32 v9, v9, v19, v18
	v_add_co_u32 v18, vcc_lo, v0, 8
	v_mad_co_u64_u32 v[52:53], null, s6, v26, s[8:9]
	v_mul_lo_u32 v27, s6, v27
	v_mul_lo_u32 v29, s7, v26
	v_mad_co_u64_u32 v[82:83], null, s6, v26, s[10:11]
	v_add3_u32 v11, v11, v21, v20
	s_wait_alu 0xfffd
	v_add_co_ci_u32_e64 v19, null, 0, v3, vcc_lo
	v_add_co_u32 v20, vcc_lo, v0, 7
	v_add3_u32 v13, v13, v23, v22
	s_wait_alu 0xfffd
	v_add_co_ci_u32_e64 v21, null, 0, v3, vcc_lo
	v_add_co_u32 v22, vcc_lo, v0, 6
	;; [unrolled: 4-line block ×3, first 2 shown]
	v_mad_co_u64_u32 v[56:57], null, s6, v32, s[8:9]
	v_mul_lo_u32 v33, s6, v33
	v_mul_lo_u32 v36, s7, v32
	v_mad_co_u64_u32 v[86:87], null, s6, v32, s[10:11]
	s_wait_alu 0xfffd
	v_add_co_ci_u32_e64 v25, null, 0, v3, vcc_lo
	v_add_co_u32 v26, vcc_lo, v0, 4
	v_add3_u32 v53, v29, v53, v27
	v_add3_u32 v83, v29, v83, v27
	s_wait_alu 0xfffd
	v_add_co_ci_u32_e64 v27, null, 0, v3, vcc_lo
	v_add_co_u32 v28, vcc_lo, v0, 3
	v_mad_co_u64_u32 v[54:55], null, s6, v30, s[8:9]
	v_mul_lo_u32 v31, s6, v31
	v_mul_lo_u32 v34, s7, v30
	v_mad_co_u64_u32 v[84:85], null, s6, v30, s[10:11]
	s_wait_alu 0xfffd
	v_add_co_ci_u32_e64 v29, null, 0, v3, vcc_lo
	v_add_co_u32 v0, vcc_lo, v0, 2
	s_wait_alu 0xfffd
	v_add_co_ci_u32_e64 v3, null, 0, v3, vcc_lo
	v_add3_u32 v57, v36, v57, v33
	v_add3_u32 v87, v36, v87, v33
	v_mul_lo_u32 v32, s7, v16
	v_mul_lo_u32 v33, s6, v17
	v_mad_co_u64_u32 v[16:17], null, s6, v16, 0
	v_add3_u32 v55, v34, v55, v31
	v_add3_u32 v85, v34, v85, v31
	v_mul_lo_u32 v3, s6, v3
	v_mul_lo_u32 v106, s7, v0
	v_mad_co_u64_u32 v[30:31], null, s6, v0, 0
	v_add3_u32 v17, v17, v33, v32
	v_lshlrev_b64_e32 v[32:33], 3, v[1:2]
	v_add_co_u32 v1, vcc_lo, v1, s6
	s_wait_alu 0xfffd
	v_add_co_ci_u32_e64 v2, null, s7, v2, vcc_lo
	v_add3_u32 v31, v31, v3, v106
	v_lshlrev_b64_e32 v[3:4], 3, v[4:5]
	v_add_co_u32 v138, vcc_lo, s8, v32
	s_wait_alu 0xfffd
	v_add_co_ci_u32_e64 v139, null, s9, v33, vcc_lo
	v_add_co_u32 v140, vcc_lo, s10, v32
	v_lshlrev_b64_e32 v[5:6], 3, v[6:7]
	s_wait_alu 0xfffd
	v_add_co_ci_u32_e64 v141, null, s11, v33, vcc_lo
	v_add_co_u32 v142, vcc_lo, s8, v3
	s_wait_alu 0xfffd
	v_add_co_ci_u32_e64 v143, null, s9, v4, vcc_lo
	v_mov_b32_e32 v7, v144
	v_add_co_u32 v144, vcc_lo, s10, v3
	s_wait_alu 0xfffd
	v_add_co_ci_u32_e64 v145, null, s11, v4, vcc_lo
	v_add_co_u32 v146, vcc_lo, s8, v5
	v_lshlrev_b64_e32 v[3:4], 3, v[8:9]
	s_wait_alu 0xfffd
	v_add_co_ci_u32_e64 v147, null, s9, v6, vcc_lo
	v_add_co_u32 v148, vcc_lo, s10, v5
	s_wait_alu 0xfffd
	v_add_co_ci_u32_e64 v149, null, s11, v6, vcc_lo
	v_lshlrev_b64_e32 v[5:6], 3, v[10:11]
	v_add_co_u32 v150, vcc_lo, s8, v3
	s_wait_alu 0xfffd
	v_add_co_ci_u32_e64 v151, null, s9, v4, vcc_lo
	v_add_co_u32 v152, vcc_lo, s10, v3
	v_mad_co_u64_u32 v[58:59], null, s6, v35, s[8:9]
	v_mul_lo_u32 v37, s6, v37
	v_mul_lo_u32 v94, s7, v35
	v_mad_co_u64_u32 v[88:89], null, s6, v35, s[10:11]
	s_wait_alu 0xfffd
	v_add_co_ci_u32_e64 v153, null, s11, v4, vcc_lo
	v_add_co_u32 v154, vcc_lo, s8, v5
	v_lshlrev_b64_e32 v[3:4], 3, v[12:13]
	v_mul_lo_u32 v34, s7, v18
	v_mul_lo_u32 v35, s6, v19
	v_mad_co_u64_u32 v[18:19], null, s6, v18, 0
	s_wait_alu 0xfffd
	v_add_co_ci_u32_e64 v155, null, s9, v6, vcc_lo
	v_add_co_u32 v156, vcc_lo, s10, v5
	s_wait_alu 0xfffd
	v_add_co_ci_u32_e64 v157, null, s11, v6, vcc_lo
	v_lshlrev_b64_e32 v[5:6], 3, v[14:15]
	v_add_co_u32 v158, vcc_lo, s8, v3
	v_add3_u32 v59, v94, v59, v37
	v_add3_u32 v89, v94, v89, v37
	v_mul_lo_u32 v36, s7, v20
	v_mul_lo_u32 v37, s6, v21
	v_mad_co_u64_u32 v[20:21], null, s6, v20, 0
	s_wait_alu 0xfffd
	v_add_co_ci_u32_e64 v159, null, s9, v4, vcc_lo
	v_add_co_u32 v160, vcc_lo, s10, v3
	v_mad_co_u64_u32 v[64:65], null, s6, v98, s[8:9]
	v_mul_lo_u32 v101, s7, v98
	v_mad_co_u64_u32 v[94:95], null, s6, v98, s[10:11]
	v_add3_u32 v19, v19, v35, v34
	s_wait_alu 0xfffd
	v_add_co_ci_u32_e64 v161, null, s11, v4, vcc_lo
	v_add_co_u32 v162, vcc_lo, s8, v5
	v_lshlrev_b64_e32 v[3:4], 3, v[16:17]
	v_mul_lo_u32 v98, s7, v22
	v_mul_lo_u32 v99, s6, v23
	v_mad_co_u64_u32 v[22:23], null, s6, v22, 0
	s_wait_alu 0xfffd
	v_add_co_ci_u32_e64 v163, null, s9, v6, vcc_lo
	v_add_co_u32 v164, vcc_lo, s10, v5
	s_wait_alu 0xfffd
	v_add_co_ci_u32_e64 v165, null, s11, v6, vcc_lo
	v_lshlrev_b64_e32 v[5:6], 3, v[18:19]
	v_add3_u32 v21, v21, v37, v36
	v_add_co_u32 v166, vcc_lo, s8, v3
	v_add3_u32 v65, v101, v65, v100
	v_add3_u32 v95, v101, v95, v100
	v_mul_lo_u32 v100, s7, v24
	v_mul_lo_u32 v101, s6, v25
	v_mad_co_u64_u32 v[24:25], null, s6, v24, 0
	s_wait_alu 0xfffd
	v_add_co_ci_u32_e64 v167, null, s9, v4, vcc_lo
	v_add_co_u32 v168, vcc_lo, s10, v3
	v_add3_u32 v23, v23, v99, v98
	s_wait_alu 0xfffd
	v_add_co_ci_u32_e64 v169, null, s11, v4, vcc_lo
	v_add_co_u32 v170, vcc_lo, s8, v5
	v_lshlrev_b64_e32 v[3:4], 3, v[20:21]
	v_add3_u32 v67, v103, v67, v102
	v_add3_u32 v97, v103, v97, v102
	v_mul_lo_u32 v102, s7, v26
	v_mul_lo_u32 v103, s6, v27
	v_mad_co_u64_u32 v[26:27], null, s6, v26, 0
	s_wait_alu 0xfffd
	v_add_co_ci_u32_e64 v171, null, s9, v6, vcc_lo
	v_add_co_u32 v172, vcc_lo, s10, v5
	s_wait_alu 0xfffd
	v_add_co_ci_u32_e64 v173, null, s11, v6, vcc_lo
	v_lshlrev_b64_e32 v[5:6], 3, v[22:23]
	v_add3_u32 v25, v25, v101, v100
	v_add_co_u32 v174, vcc_lo, s8, v3
	v_mul_lo_u32 v104, s6, v29
	v_mul_lo_u32 v105, s7, v28
	v_mad_co_u64_u32 v[28:29], null, s6, v28, 0
	s_wait_alu 0xfffd
	v_add_co_ci_u32_e64 v175, null, s9, v4, vcc_lo
	v_add_co_u32 v176, vcc_lo, s10, v3
	v_add3_u32 v27, v27, v103, v102
	s_wait_alu 0xfffd
	v_add_co_ci_u32_e64 v177, null, s11, v4, vcc_lo
	v_add_co_u32 v178, vcc_lo, s8, v5
	v_lshlrev_b64_e32 v[3:4], 3, v[24:25]
	s_wait_alu 0xfffd
	v_add_co_ci_u32_e64 v179, null, s9, v6, vcc_lo
	v_add_co_u32 v180, vcc_lo, s10, v5
	s_wait_alu 0xfffd
	v_add_co_ci_u32_e64 v181, null, s11, v6, vcc_lo
	v_lshlrev_b64_e32 v[5:6], 3, v[26:27]
	v_add3_u32 v29, v29, v104, v105
	v_add_co_u32 v182, vcc_lo, s8, v3
	s_wait_alu 0xfffd
	v_add_co_ci_u32_e64 v183, null, s9, v4, vcc_lo
	v_add_co_u32 v184, vcc_lo, s10, v3
	s_wait_alu 0xfffd
	v_add_co_ci_u32_e64 v185, null, s11, v4, vcc_lo
	v_add_co_u32 v186, vcc_lo, s8, v5
	v_lshlrev_b64_e32 v[3:4], 3, v[28:29]
	s_wait_alu 0xfffd
	v_add_co_ci_u32_e64 v187, null, s9, v6, vcc_lo
	v_add_co_u32 v188, vcc_lo, s10, v5
	s_wait_alu 0xfffd
	v_add_co_ci_u32_e64 v189, null, s11, v6, vcc_lo
	v_lshlrev_b64_e32 v[5:6], 3, v[30:31]
	v_add_co_u32 v190, vcc_lo, s8, v3
	s_wait_alu 0xfffd
	v_add_co_ci_u32_e64 v191, null, s9, v4, vcc_lo
	v_add_co_u32 v137, vcc_lo, s10, v3
	v_lshlrev_b64_e32 v[2:3], 3, v[1:2]
	s_wait_alu 0xfffd
	v_add_co_ci_u32_e64 v0, null, s11, v4, vcc_lo
	v_add_co_u32 v136, vcc_lo, s8, v5
	s_wait_alu 0xfffd
	v_add_co_ci_u32_e64 v106, null, s9, v6, vcc_lo
	v_add_co_u32 v107, vcc_lo, s10, v5
	s_wait_alu 0xfffd
	v_add_co_ci_u32_e64 v108, null, s11, v6, vcc_lo
	v_dual_mov_b32 v1, 0 :: v_dual_and_b32 v4, 0x3ff, v7
	v_add_co_u32 v109, vcc_lo, s8, v2
	s_wait_alu 0xfffd
	v_add_co_ci_u32_e64 v110, null, s9, v3, vcc_lo
	v_add_co_u32 v111, vcc_lo, s10, v2
	s_wait_alu 0xfffd
	v_add_co_ci_u32_e64 v112, null, s11, v3, vcc_lo
	v_dual_mov_b32 v2, 0 :: v_dual_mov_b32 v5, v1
	v_mov_b32_e32 v3, 0
	scratch_store_b32 off, v4, off offset:72 ; 4-byte Folded Spill
	v_add_nc_u32_e32 v4, s30, v4
	s_mov_b32 s3, 0
	s_wait_kmcnt 0x0
	s_lshl_b32 s8, s2, 8
	s_wait_alu 0xfffe
	s_mov_b32 s9, s3
	scratch_store_b64 off, v[2:3], off      ; 8-byte Folded Spill
	v_lshlrev_b64_e32 v[98:99], 3, v[4:5]
	v_mov_b32_e32 v2, 0
	v_mov_b32_e32 v3, 0
	s_wait_alu 0xfffe
	s_mul_u64 s[18:19], s[6:7], s[8:9]
	s_add_nc_u64 s[10:11], s[0:1], 64
	s_wait_alu 0xfffe
	s_lshl_b64 s[18:19], s[18:19], 3
	s_clause 0x1
	scratch_store_b32 off, v7, off offset:76
	scratch_store_b64 off, v[2:3], off offset:8
	s_branch .LBB36_87
.LBB36_84:                              ;   in Loop: Header=BB36_87 Depth=1
	s_wait_alu 0xfffe
	s_or_b32 exec_lo, exec_lo, s22
.LBB36_85:                              ;   in Loop: Header=BB36_87 Depth=1
	s_wait_alu 0xfffe
	s_or_b32 exec_lo, exec_lo, s2
	v_add_co_u32 v6, vcc_lo, v140, v98
	s_wait_alu 0xfffd
	v_add_co_ci_u32_e64 v7, null, v141, v99, vcc_lo
	s_wait_loadcnt 0x1
	ds_bpermute_b32 v113, v1, v4
	ds_bpermute_b32 v114, v1, v5
	ds_bpermute_b32 v117, v1, v4 offset:4
	global_load_b64 v[10:11], v[6:7], off
	v_add_co_u32 v6, vcc_lo, v68, v98
	s_wait_alu 0xfffd
	v_add_co_ci_u32_e64 v7, null, v69, v99, vcc_lo
	v_add_co_u32 v8, vcc_lo, v138, v98
	s_wait_alu 0xfffd
	v_add_co_ci_u32_e64 v9, null, v139, v99, vcc_lo
	global_load_b64 v[12:13], v[6:7], off
	global_load_b64 v[14:15], v[8:9], off
	v_add_co_u32 v6, vcc_lo, v70, v98
	s_wait_alu 0xfffd
	v_add_co_ci_u32_e64 v7, null, v71, v99, vcc_lo
	v_add_co_u32 v8, vcc_lo, v38, v98
	s_wait_alu 0xfffd
	v_add_co_ci_u32_e64 v9, null, v39, v99, vcc_lo
	global_load_b64 v[16:17], v[6:7], off
	;; [unrolled: 8-line block ×5, first 2 shown]
	global_load_b64 v[30:31], v[8:9], off
	v_add_co_u32 v6, vcc_lo, v78, v98
	s_wait_alu 0xfffd
	v_add_co_ci_u32_e64 v7, null, v79, v99, vcc_lo
	v_add_co_u32 v8, vcc_lo, v46, v98
	s_wait_alu 0xfffd
	v_add_co_ci_u32_e64 v9, null, v47, v99, vcc_lo
	ds_bpermute_b32 v118, v1, v5 offset:4
	global_load_b64 v[32:33], v[6:7], off
	global_load_b64 v[6:7], v[8:9], off
	v_add_co_u32 v8, vcc_lo, v80, v98
	s_wait_alu 0xfffd
	v_add_co_ci_u32_e64 v9, null, v81, v99, vcc_lo
	v_add_co_u32 v100, vcc_lo, v48, v98
	s_wait_alu 0xfffd
	v_add_co_ci_u32_e64 v101, null, v49, v99, vcc_lo
	global_load_b64 v[102:103], v[8:9], off
	global_load_b64 v[8:9], v[100:101], off
	v_add_co_u32 v100, vcc_lo, v82, v98
	s_wait_alu 0xfffd
	v_add_co_ci_u32_e64 v101, null, v83, v99, vcc_lo
	v_add_co_u32 v104, vcc_lo, v50, v98
	s_wait_alu 0xfffd
	v_add_co_ci_u32_e64 v105, null, v51, v99, vcc_lo
	global_load_b64 v[100:101], v[100:101], off
	global_load_b64 v[104:105], v[104:105], off
	ds_bpermute_b32 v119, v1, v4 offset:8
	ds_bpermute_b32 v120, v1, v5 offset:8
	s_wait_loadcnt 0x11
	ds_bpermute_b32 v123, v1, v2
	ds_bpermute_b32 v124, v1, v3
	ds_bpermute_b32 v36, v1, v4 offset:12
	ds_bpermute_b32 v37, v1, v5 offset:12
	s_wait_loadcnt_dscnt 0x1008
	v_add_f64_e64 v[10:11], v[10:11], -v[113:114]
	v_add_co_u32 v113, vcc_lo, v84, v98
	s_wait_alu 0xfffd
	v_add_co_ci_u32_e64 v114, null, v85, v99, vcc_lo
	v_add_co_u32 v115, vcc_lo, v52, v98
	s_wait_alu 0xfffd
	v_add_co_ci_u32_e64 v116, null, v53, v99, vcc_lo
	global_load_b64 v[113:114], v[113:114], off
	global_load_b64 v[115:116], v[115:116], off
	s_wait_loadcnt_dscnt 0x1106
	v_add_f64_e64 v[12:13], v[12:13], -v[117:118]
	v_add_co_u32 v117, vcc_lo, v86, v98
	s_wait_alu 0xfffd
	v_add_co_ci_u32_e64 v118, null, v87, v99, vcc_lo
	v_add_co_u32 v121, vcc_lo, v54, v98
	s_wait_alu 0xfffd
	v_add_co_ci_u32_e64 v122, null, v55, v99, vcc_lo
	global_load_b64 v[117:118], v[117:118], off
	global_load_b64 v[121:122], v[121:122], off
	scratch_load_b64 v[34:35], off, off offset:8 th:TH_LOAD_LU ; 8-byte Folded Reload
	s_wait_loadcnt_dscnt 0x1204
	v_add_f64_e64 v[16:17], v[16:17], -v[119:120]
	s_wait_loadcnt_dscnt 0x1000
	v_add_f64_e64 v[20:21], v[20:21], -v[36:37]
	v_mul_f64_e32 v[10:11], v[14:15], v[10:11]
	v_mul_f64_e32 v[12:13], v[18:19], v[12:13]
	s_wait_loadcnt 0xf
	s_delay_alu instid0(VALU_DEP_4) | instskip(SKIP_1) | instid1(VALU_DEP_4)
	v_mul_f64_e32 v[16:17], v[22:23], v[16:17]
	s_wait_loadcnt 0xd
	v_mul_f64_e32 v[20:21], v[26:27], v[20:21]
	s_wait_loadcnt 0x0
	v_add_f64_e32 v[14:15], v[34:35], v[14:15]
	scratch_load_b64 v[34:35], off, off th:TH_LOAD_LU ; 8-byte Folded Reload
	v_add_f64_e32 v[14:15], v[14:15], v[18:19]
	s_delay_alu instid0(VALU_DEP_1) | instskip(NEXT) | instid1(VALU_DEP_1)
	v_add_f64_e32 v[14:15], v[14:15], v[22:23]
	v_add_f64_e32 v[14:15], v[14:15], v[26:27]
	ds_bpermute_b32 v26, v1, v2 offset:16
	ds_bpermute_b32 v27, v1, v3 offset:16
	v_add_f64_e32 v[14:15], v[14:15], v[30:31]
	s_wait_loadcnt 0x0
	v_fma_f64 v[10:11], v[10:11], v[123:124], v[34:35]
	v_add_co_u32 v34, vcc_lo, v88, v98
	s_wait_alu 0xfffd
	v_add_co_ci_u32_e64 v35, null, v89, v99, vcc_lo
	v_add_co_u32 v119, vcc_lo, v56, v98
	s_wait_alu 0xfffd
	v_add_co_ci_u32_e64 v120, null, v57, v99, vcc_lo
	ds_bpermute_b32 v123, v1, v2 offset:4
	ds_bpermute_b32 v124, v1, v3 offset:4
	global_load_b64 v[34:35], v[34:35], off
	global_load_b64 v[119:120], v[119:120], off
	v_add_co_u32 v18, vcc_lo, v90, v98
	s_wait_alu 0xfffd
	v_add_co_ci_u32_e64 v19, null, v91, v99, vcc_lo
	v_add_co_u32 v36, vcc_lo, v58, v98
	s_wait_alu 0xfffd
	v_add_co_ci_u32_e64 v37, null, v59, v99, vcc_lo
	global_load_b64 v[18:19], v[18:19], off
	global_load_b64 v[36:37], v[36:37], off
	v_add_co_u32 v22, vcc_lo, v92, v98
	s_wait_alu 0xfffd
	v_add_co_ci_u32_e64 v23, null, v93, v99, vcc_lo
	s_wait_dscnt 0x0
	v_fma_f64 v[10:11], v[12:13], v[123:124], v[10:11]
	ds_bpermute_b32 v12, v1, v4 offset:16
	ds_bpermute_b32 v13, v1, v5 offset:16
	;; [unrolled: 1-line block ×4, first 2 shown]
	s_wait_dscnt 0x2
	v_add_f64_e64 v[12:13], v[24:25], -v[12:13]
	v_add_co_u32 v24, vcc_lo, v60, v98
	s_wait_alu 0xfffd
	v_add_co_ci_u32_e64 v25, null, v61, v99, vcc_lo
	global_load_b64 v[22:23], v[22:23], off
	global_load_b64 v[24:25], v[24:25], off
	s_wait_dscnt 0x0
	v_fma_f64 v[10:11], v[16:17], v[123:124], v[10:11]
	ds_bpermute_b32 v16, v1, v4 offset:20
	ds_bpermute_b32 v17, v1, v5 offset:20
	ds_bpermute_b32 v123, v1, v2 offset:12
	ds_bpermute_b32 v124, v1, v3 offset:12
	s_wait_dscnt 0x2
	v_add_f64_e64 v[16:17], v[28:29], -v[16:17]
	v_mul_f64_e32 v[12:13], v[30:31], v[12:13]
	v_add_co_u32 v28, vcc_lo, v62, v98
	s_wait_alu 0xfffd
	v_add_co_ci_u32_e64 v29, null, v63, v99, vcc_lo
	s_wait_dscnt 0x0
	v_fma_f64 v[10:11], v[20:21], v[123:124], v[10:11]
	v_add_co_u32 v123, vcc_lo, v94, v98
	s_wait_alu 0xfffd
	v_add_co_ci_u32_e64 v124, null, v95, v99, vcc_lo
	v_add_co_u32 v125, vcc_lo, v96, v98
	ds_bpermute_b32 v20, v1, v4 offset:24
	ds_bpermute_b32 v21, v1, v5 offset:24
	s_wait_alu 0xfffd
	v_add_co_ci_u32_e64 v126, null, v97, v99, vcc_lo
	global_load_b64 v[123:124], v[123:124], off
	global_load_b64 v[28:29], v[28:29], off
	;; [unrolled: 1-line block ×3, first 2 shown]
	v_add_co_u32 v30, vcc_lo, v64, v98
	s_wait_alu 0xfffd
	v_add_co_ci_u32_e64 v31, null, v65, v99, vcc_lo
	v_mul_f64_e32 v[16:17], v[6:7], v[16:17]
	v_add_f64_e32 v[6:7], v[14:15], v[6:7]
	ds_bpermute_b32 v14, v1, v4 offset:32
	ds_bpermute_b32 v15, v1, v5 offset:32
	s_wait_dscnt 0x2
	v_add_f64_e64 v[20:21], v[32:33], -v[20:21]
	v_add_co_u32 v32, vcc_lo, v66, v98
	s_wait_alu 0xfffd
	v_add_co_ci_u32_e64 v33, null, v67, v99, vcc_lo
	global_load_b64 v[30:31], v[30:31], off
	global_load_b64 v[32:33], v[32:33], off
	v_fma_f64 v[10:11], v[12:13], v[26:27], v[10:11]
	ds_bpermute_b32 v12, v1, v4 offset:28
	ds_bpermute_b32 v13, v1, v5 offset:28
	;; [unrolled: 1-line block ×4, first 2 shown]
	s_wait_dscnt 0x4
	v_add_f64_e64 v[14:15], v[100:101], -v[14:15]
	s_wait_dscnt 0x2
	v_add_f64_e64 v[12:13], v[102:103], -v[12:13]
	v_add_f64_e32 v[6:7], v[6:7], v[8:9]
	v_mul_f64_e32 v[20:21], v[8:9], v[20:21]
	s_wait_dscnt 0x0
	v_fma_f64 v[10:11], v[16:17], v[26:27], v[10:11]
	ds_bpermute_b32 v16, v1, v2 offset:24
	ds_bpermute_b32 v17, v1, v3 offset:24
	v_mul_f64_e32 v[14:15], v[115:116], v[14:15]
	v_mul_f64_e32 v[12:13], v[104:105], v[12:13]
	v_add_f64_e32 v[6:7], v[6:7], v[104:105]
	s_wait_dscnt 0x0
	v_fma_f64 v[8:9], v[20:21], v[16:17], v[10:11]
	ds_bpermute_b32 v10, v1, v4 offset:36
	ds_bpermute_b32 v11, v1, v5 offset:36
	;; [unrolled: 1-line block ×4, first 2 shown]
	s_wait_dscnt 0x2
	v_add_f64_e64 v[10:11], v[113:114], -v[10:11]
	v_add_f64_e32 v[6:7], v[6:7], v[115:116]
	s_wait_dscnt 0x0
	v_fma_f64 v[8:9], v[12:13], v[16:17], v[8:9]
	ds_bpermute_b32 v12, v1, v4 offset:40
	ds_bpermute_b32 v13, v1, v5 offset:40
	;; [unrolled: 1-line block ×4, first 2 shown]
	s_wait_dscnt 0x2
	v_add_f64_e64 v[12:13], v[117:118], -v[12:13]
	v_mul_f64_e32 v[10:11], v[121:122], v[10:11]
	v_add_f64_e32 v[6:7], v[6:7], v[121:122]
	s_wait_dscnt 0x0
	v_fma_f64 v[8:9], v[14:15], v[16:17], v[8:9]
	ds_bpermute_b32 v14, v1, v4 offset:44
	ds_bpermute_b32 v15, v1, v5 offset:44
	ds_bpermute_b32 v16, v1, v2 offset:36
	ds_bpermute_b32 v17, v1, v3 offset:36
	s_wait_loadcnt_dscnt 0xa02
	v_add_f64_e64 v[14:15], v[34:35], -v[14:15]
	s_wait_loadcnt 0x9
	v_mul_f64_e32 v[12:13], v[119:120], v[12:13]
	v_add_f64_e32 v[6:7], v[6:7], v[119:120]
	s_wait_dscnt 0x0
	v_fma_f64 v[8:9], v[10:11], v[16:17], v[8:9]
	ds_bpermute_b32 v10, v1, v4 offset:48
	ds_bpermute_b32 v11, v1, v5 offset:48
	ds_bpermute_b32 v16, v1, v2 offset:40
	ds_bpermute_b32 v17, v1, v3 offset:40
	s_wait_loadcnt_dscnt 0x802
	v_add_f64_e64 v[10:11], v[18:19], -v[10:11]
	s_wait_loadcnt 0x7
	;; [unrolled: 11-line block ×3, first 2 shown]
	v_mul_f64_e32 v[10:11], v[24:25], v[10:11]
	v_add_f64_e32 v[6:7], v[6:7], v[24:25]
	s_wait_dscnt 0x0
	v_fma_f64 v[8:9], v[14:15], v[16:17], v[8:9]
	ds_bpermute_b32 v14, v1, v4 offset:56
	ds_bpermute_b32 v15, v1, v5 offset:56
	ds_bpermute_b32 v16, v1, v2 offset:48
	ds_bpermute_b32 v17, v1, v3 offset:48
	ds_bpermute_b32 v4, v1, v4 offset:60
	ds_bpermute_b32 v5, v1, v5 offset:60
	s_wait_loadcnt_dscnt 0x404
	v_add_f64_e64 v[14:15], v[123:124], -v[14:15]
	s_wait_loadcnt 0x3
	v_mul_f64_e32 v[12:13], v[28:29], v[12:13]
	s_wait_loadcnt_dscnt 0x200
	v_add_f64_e64 v[4:5], v[125:126], -v[4:5]
	v_add_f64_e32 v[6:7], v[6:7], v[28:29]
	v_fma_f64 v[8:9], v[10:11], v[16:17], v[8:9]
	ds_bpermute_b32 v10, v1, v2 offset:52
	ds_bpermute_b32 v11, v1, v3 offset:52
	s_wait_loadcnt 0x1
	v_mul_f64_e32 v[14:15], v[30:31], v[14:15]
	s_wait_loadcnt 0x0
	v_mul_f64_e32 v[4:5], v[32:33], v[4:5]
	s_wait_dscnt 0x0
	v_fma_f64 v[8:9], v[12:13], v[10:11], v[8:9]
	ds_bpermute_b32 v10, v1, v2 offset:56
	ds_bpermute_b32 v11, v1, v3 offset:56
	;; [unrolled: 1-line block ×4, first 2 shown]
	v_add_f64_e32 v[2:3], v[6:7], v[30:31]
	s_wait_dscnt 0x0
	v_mul_f64_e32 v[100:101], v[4:5], v[12:13]
	v_fma_f64 v[104:105], v[14:15], v[10:11], v[8:9]
.LBB36_86:                              ;   in Loop: Header=BB36_87 Depth=1
	v_add_co_u32 v138, vcc_lo, v138, s18
	s_wait_alu 0xfffd
	v_add_co_ci_u32_e64 v139, null, s19, v139, vcc_lo
	v_add_co_u32 v140, vcc_lo, v140, s18
	s_wait_alu 0xfffd
	v_add_co_ci_u32_e64 v141, null, s19, v141, vcc_lo
	;; [unrolled: 3-line block ×45, first 2 shown]
	v_add_co_u32 v168, vcc_lo, v168, s18
	v_add_f64_e32 v[4:5], v[104:105], v[100:101]
	v_add_f64_e32 v[2:3], v[2:3], v[32:33]
	s_wait_alu 0xfffd
	v_add_co_ci_u32_e64 v169, null, s19, v169, vcc_lo
	v_add_co_u32 v170, vcc_lo, v170, s18
	s_wait_alu 0xfffd
	v_add_co_ci_u32_e64 v171, null, s19, v171, vcc_lo
	v_add_co_u32 v172, vcc_lo, v172, s18
	;; [unrolled: 3-line block ×14, first 2 shown]
	s_add_nc_u64 s[16:17], s[16:17], s[8:9]
	s_wait_alu 0xfffd
	v_add_co_ci_u32_e64 v108, null, s19, v108, vcc_lo
	v_add_co_u32 v109, vcc_lo, v109, s18
	s_wait_alu 0xfffe
	v_cmp_ge_i64_e64 s2, s[16:17], s[4:5]
	s_wait_alu 0xfffd
	v_add_co_ci_u32_e64 v110, null, s19, v110, vcc_lo
	v_add_co_u32 v111, vcc_lo, v111, s18
	s_wait_alu 0xfffd
	v_add_co_ci_u32_e64 v112, null, s19, v112, vcc_lo
	s_and_b32 vcc_lo, exec_lo, s2
	s_add_nc_u64 s[20:21], s[20:21], s[8:9]
	s_clause 0x1
	scratch_store_b64 off, v[4:5], off
	scratch_store_b64 off, v[2:3], off offset:8
	s_wait_alu 0xfffe
	s_cbranch_vccnz .LBB36_129
.LBB36_87:                              ; =>This Inner Loop Header: Depth=1
	scratch_load_b32 v2, off, off offset:68 ; 4-byte Folded Reload
	v_cmp_ge_i64_e64 s2, s[20:21], s[4:5]
                                        ; implicit-def: $vgpr32_vgpr33
                                        ; implicit-def: $vgpr100_vgpr101
                                        ; implicit-def: $vgpr104_vgpr105
	s_and_b32 vcc_lo, exec_lo, s2
	s_mov_b32 s2, -1
	s_wait_loadcnt 0x0
	v_add_co_u32 v113, s22, v2, s20
	s_wait_alu 0xf1ff
	v_add_co_ci_u32_e64 v114, null, 0, s21, s22
                                        ; implicit-def: $vgpr2_vgpr3
	s_wait_alu 0xfffe
	s_cbranch_vccz .LBB36_125
; %bb.88:                               ;   in Loop: Header=BB36_87 Depth=1
	s_load_b32 s2, s[10:11], 0xc
	s_clause 0x1
	scratch_load_b32 v2, off, off offset:64
	scratch_load_b32 v3, off, off offset:72
	v_mov_b32_e32 v34, 0
	v_mov_b32_e32 v100, 0
	v_dual_mov_b32 v102, 0 :: v_dual_mov_b32 v101, 0
	v_mov_b32_e32 v103, 0
	v_mov_b32_e32 v35, 0
	s_wait_kmcnt 0x0
	s_and_b32 s2, s2, 0xffff
	s_wait_loadcnt 0x0
	s_wait_alu 0xfffe
	v_mad_u32_u24 v2, v2, s2, v3
	s_mov_b32 s2, exec_lo
	s_delay_alu instid0(VALU_DEP_1) | instskip(NEXT) | instid1(VALU_DEP_1)
	v_and_b32_e32 v2, 31, v2
	v_cmpx_gt_u32_e32 16, v2
	s_cbranch_execz .LBB36_92
; %bb.89:                               ;   in Loop: Header=BB36_87 Depth=1
	v_add_co_u32 v2, vcc_lo, v113, v2
	s_wait_alu 0xfffd
	v_add_co_ci_u32_e64 v3, null, 0, v114, vcc_lo
	v_mov_b32_e32 v102, 0
	s_delay_alu instid0(VALU_DEP_3)
	v_add_co_u32 v2, vcc_lo, 0xffffff01, v2
	v_dual_mov_b32 v103, 0 :: v_dual_mov_b32 v100, 0
	s_wait_alu 0xfffd
	v_add_co_ci_u32_e64 v3, null, -1, v3, vcc_lo
	v_mov_b32_e32 v101, 0
	s_mov_b32 s22, exec_lo
	s_delay_alu instid0(VALU_DEP_2)
	v_cmpx_gt_i64_e64 s[4:5], v[2:3]
	s_cbranch_execz .LBB36_91
; %bb.90:                               ;   in Loop: Header=BB36_87 Depth=1
	v_lshlrev_b64_e32 v[2:3], 3, v[2:3]
	s_delay_alu instid0(VALU_DEP_1) | instskip(SKIP_1) | instid1(VALU_DEP_2)
	v_add_co_u32 v4, vcc_lo, s12, v2
	s_wait_alu 0xfffd
	v_add_co_ci_u32_e64 v5, null, s13, v3, vcc_lo
	v_add_co_u32 v2, vcc_lo, s14, v2
	s_wait_alu 0xfffd
	v_add_co_ci_u32_e64 v3, null, s15, v3, vcc_lo
	global_load_b64 v[102:103], v[4:5], off
	global_load_b64 v[100:101], v[2:3], off
.LBB36_91:                              ;   in Loop: Header=BB36_87 Depth=1
	s_wait_alu 0xfffe
	s_or_b32 exec_lo, exec_lo, s22
.LBB36_92:                              ;   in Loop: Header=BB36_87 Depth=1
	s_wait_alu 0xfffe
	s_or_b32 exec_lo, exec_lo, s2
	v_add_co_u32 v2, vcc_lo, 0xffffff01, v113
	s_wait_alu 0xfffd
	v_add_co_ci_u32_e64 v3, null, -1, v114, vcc_lo
	v_mov_b32_e32 v32, v1
	v_dual_mov_b32 v4, v1 :: v_dual_mov_b32 v5, v1
	s_delay_alu instid0(VALU_DEP_3)
	v_cmp_gt_i64_e32 vcc_lo, s[4:5], v[2:3]
	v_dual_mov_b32 v2, v1 :: v_dual_mov_b32 v3, v1
	v_dual_mov_b32 v6, v1 :: v_dual_mov_b32 v7, v1
	;; [unrolled: 1-line block ×14, first 2 shown]
	v_mov_b32_e32 v33, v32
	s_delay_alu instid0(VALU_DEP_2) | instskip(NEXT) | instid1(VALU_DEP_3)
	v_mov_b32_e32 v32, v31
	v_mov_b32_e32 v31, v30
	;; [unrolled: 1-line block ×31, first 2 shown]
	s_and_saveexec_b32 s2, vcc_lo
	s_cbranch_execz .LBB36_94
; %bb.93:                               ;   in Loop: Header=BB36_87 Depth=1
	v_add_co_u32 v2, vcc_lo, v138, v98
	s_wait_alu 0xfffd
	v_add_co_ci_u32_e64 v3, null, v139, v99, vcc_lo
	v_add_co_u32 v4, vcc_lo, v140, v98
	s_wait_alu 0xfffd
	v_add_co_ci_u32_e64 v5, null, v141, v99, vcc_lo
	global_load_b64 v[2:3], v[2:3], off
	global_load_b64 v[34:35], v[4:5], off
	v_dual_mov_b32 v4, v1 :: v_dual_mov_b32 v5, v1
	v_dual_mov_b32 v6, v1 :: v_dual_mov_b32 v7, v1
	;; [unrolled: 1-line block ×15, first 2 shown]
.LBB36_94:                              ;   in Loop: Header=BB36_87 Depth=1
	s_wait_alu 0xfffe
	s_or_b32 exec_lo, exec_lo, s2
	v_add_co_u32 v104, vcc_lo, 0xffffff02, v113
	s_wait_alu 0xfffd
	v_add_co_ci_u32_e64 v105, null, -1, v114, vcc_lo
	v_mov_b32_e32 v36, 0
	v_mov_b32_e32 v37, 0
	s_delay_alu instid0(VALU_DEP_3)
	v_cmp_gt_i64_e32 vcc_lo, s[4:5], v[104:105]
	v_mov_b32_e32 v104, 0
	v_mov_b32_e32 v105, 0
	scratch_store_b64 off, v[104:105], off offset:24 ; 8-byte Folded Spill
	s_and_saveexec_b32 s2, vcc_lo
	s_cbranch_execz .LBB36_96
; %bb.95:                               ;   in Loop: Header=BB36_87 Depth=1
	v_add_co_u32 v4, vcc_lo, v109, v98
	s_wait_alu 0xfffd
	v_add_co_ci_u32_e64 v5, null, v110, v99, vcc_lo
	v_add_co_u32 v104, vcc_lo, v111, v98
	s_wait_alu 0xfffd
	v_add_co_ci_u32_e64 v105, null, v112, v99, vcc_lo
	global_load_b64 v[4:5], v[4:5], off
	global_load_b64 v[104:105], v[104:105], off
	s_wait_loadcnt 0x0
	scratch_store_b64 off, v[104:105], off offset:24 ; 8-byte Folded Spill
.LBB36_96:                              ;   in Loop: Header=BB36_87 Depth=1
	s_wait_alu 0xfffe
	s_or_b32 exec_lo, exec_lo, s2
	v_add_co_u32 v104, vcc_lo, 0xffffff03, v113
	s_wait_alu 0xfffd
	v_add_co_ci_u32_e64 v105, null, -1, v114, vcc_lo
	s_mov_b32 s2, exec_lo
	v_cmpx_gt_i64_e64 s[4:5], v[104:105]
	s_cbranch_execz .LBB36_98
; %bb.97:                               ;   in Loop: Header=BB36_87 Depth=1
	v_add_co_u32 v6, vcc_lo, v136, v98
	s_wait_alu 0xfffd
	v_add_co_ci_u32_e64 v7, null, v106, v99, vcc_lo
	v_add_co_u32 v104, vcc_lo, v107, v98
	s_wait_alu 0xfffd
	v_add_co_ci_u32_e64 v105, null, v108, v99, vcc_lo
	global_load_b64 v[6:7], v[6:7], off
	global_load_b64 v[36:37], v[104:105], off
.LBB36_98:                              ;   in Loop: Header=BB36_87 Depth=1
	s_wait_alu 0xfffe
	s_or_b32 exec_lo, exec_lo, s2
	v_add_co_u32 v104, vcc_lo, 0xffffff04, v113
	s_wait_alu 0xfffd
	v_add_co_ci_u32_e64 v105, null, -1, v114, vcc_lo
	v_mov_b32_e32 v115, 0
	v_mov_b32_e32 v116, 0
	s_delay_alu instid0(VALU_DEP_3)
	v_cmp_gt_i64_e32 vcc_lo, s[4:5], v[104:105]
	v_mov_b32_e32 v104, 0
	v_mov_b32_e32 v105, 0
	s_clause 0x1
	scratch_store_b64 off, v[115:116], off offset:16
	scratch_store_b64 off, v[104:105], off offset:32
	s_and_saveexec_b32 s2, vcc_lo
	s_cbranch_execz .LBB36_100
; %bb.99:                               ;   in Loop: Header=BB36_87 Depth=1
	v_add_co_u32 v8, vcc_lo, v190, v98
	s_wait_alu 0xfffd
	v_add_co_ci_u32_e64 v9, null, v191, v99, vcc_lo
	v_add_co_u32 v104, vcc_lo, v137, v98
	s_wait_alu 0xfffd
	v_add_co_ci_u32_e64 v105, null, v0, v99, vcc_lo
	global_load_b64 v[8:9], v[8:9], off
	global_load_b64 v[104:105], v[104:105], off
	s_wait_loadcnt 0x0
	scratch_store_b64 off, v[104:105], off offset:32 ; 8-byte Folded Spill
.LBB36_100:                             ;   in Loop: Header=BB36_87 Depth=1
	s_wait_alu 0xfffe
	s_or_b32 exec_lo, exec_lo, s2
	v_add_co_u32 v115, vcc_lo, 0xffffff05, v113
	s_wait_alu 0xfffd
	v_add_co_ci_u32_e64 v116, null, -1, v114, vcc_lo
	s_mov_b32 s2, exec_lo
	v_cmpx_gt_i64_e64 s[4:5], v[115:116]
	s_cbranch_execz .LBB36_102
; %bb.101:                              ;   in Loop: Header=BB36_87 Depth=1
	v_add_co_u32 v10, vcc_lo, v186, v98
	s_wait_alu 0xfffd
	v_add_co_ci_u32_e64 v11, null, v187, v99, vcc_lo
	v_add_co_u32 v115, vcc_lo, v188, v98
	s_wait_alu 0xfffd
	v_add_co_ci_u32_e64 v116, null, v189, v99, vcc_lo
	global_load_b64 v[10:11], v[10:11], off
	global_load_b64 v[104:105], v[115:116], off
	s_wait_loadcnt 0x0
	scratch_store_b64 off, v[104:105], off offset:16 ; 8-byte Folded Spill
.LBB36_102:                             ;   in Loop: Header=BB36_87 Depth=1
	s_wait_alu 0xfffe
	s_or_b32 exec_lo, exec_lo, s2
	v_add_co_u32 v115, vcc_lo, 0xffffff06, v113
	s_wait_alu 0xfffd
	v_add_co_ci_u32_e64 v116, null, -1, v114, vcc_lo
	v_mov_b32_e32 v104, 0
	v_mov_b32_e32 v105, 0
	s_delay_alu instid0(VALU_DEP_3)
	v_cmp_gt_i64_e32 vcc_lo, s[4:5], v[115:116]
	v_mov_b32_e32 v115, 0
	v_mov_b32_e32 v116, 0
	s_and_saveexec_b32 s2, vcc_lo
	s_cbranch_execz .LBB36_104
; %bb.103:                              ;   in Loop: Header=BB36_87 Depth=1
	v_add_co_u32 v12, vcc_lo, v182, v98
	s_wait_alu 0xfffd
	v_add_co_ci_u32_e64 v13, null, v183, v99, vcc_lo
	v_add_co_u32 v115, vcc_lo, v184, v98
	s_wait_alu 0xfffd
	v_add_co_ci_u32_e64 v116, null, v185, v99, vcc_lo
	global_load_b64 v[12:13], v[12:13], off
	global_load_b64 v[115:116], v[115:116], off
.LBB36_104:                             ;   in Loop: Header=BB36_87 Depth=1
	s_wait_alu 0xfffe
	s_or_b32 exec_lo, exec_lo, s2
	v_add_co_u32 v118, vcc_lo, 0xffffff07, v113
	s_wait_alu 0xfffd
	v_add_co_ci_u32_e64 v119, null, -1, v114, vcc_lo
	s_mov_b32 s2, exec_lo
	v_cmpx_gt_i64_e64 s[4:5], v[118:119]
	s_cbranch_execz .LBB36_106
; %bb.105:                              ;   in Loop: Header=BB36_87 Depth=1
	v_add_co_u32 v14, vcc_lo, v178, v98
	s_wait_alu 0xfffd
	v_add_co_ci_u32_e64 v15, null, v179, v99, vcc_lo
	v_add_co_u32 v118, vcc_lo, v180, v98
	s_wait_alu 0xfffd
	v_add_co_ci_u32_e64 v119, null, v181, v99, vcc_lo
	global_load_b64 v[14:15], v[14:15], off
	global_load_b64 v[104:105], v[118:119], off
.LBB36_106:                             ;   in Loop: Header=BB36_87 Depth=1
	s_wait_alu 0xfffe
	s_or_b32 exec_lo, exec_lo, s2
	v_mov_b32_e32 v117, 0
	v_mov_b32_e32 v118, 0
	v_add_co_u32 v120, vcc_lo, 0xffffff08, v113
	s_wait_alu 0xfffd
	v_add_co_ci_u32_e64 v121, null, -1, v114, vcc_lo
	scratch_store_b64 off, v[117:118], off offset:40 ; 8-byte Folded Spill
	v_mov_b32_e32 v117, 0
	v_mov_b32_e32 v118, 0
	s_mov_b32 s2, exec_lo
	scratch_store_b64 off, v[117:118], off offset:48 ; 8-byte Folded Spill
	v_cmpx_gt_i64_e64 s[4:5], v[120:121]
	s_cbranch_execz .LBB36_108
; %bb.107:                              ;   in Loop: Header=BB36_87 Depth=1
	v_add_co_u32 v16, vcc_lo, v174, v98
	s_wait_alu 0xfffd
	v_add_co_ci_u32_e64 v17, null, v175, v99, vcc_lo
	v_add_co_u32 v120, vcc_lo, v176, v98
	s_wait_alu 0xfffd
	v_add_co_ci_u32_e64 v121, null, v177, v99, vcc_lo
	global_load_b64 v[16:17], v[16:17], off
	global_load_b64 v[117:118], v[120:121], off
	s_wait_loadcnt 0x0
	scratch_store_b64 off, v[117:118], off offset:48 ; 8-byte Folded Spill
.LBB36_108:                             ;   in Loop: Header=BB36_87 Depth=1
	s_wait_alu 0xfffe
	s_or_b32 exec_lo, exec_lo, s2
	v_add_co_u32 v122, vcc_lo, 0xffffff09, v113
	s_wait_alu 0xfffd
	v_add_co_ci_u32_e64 v123, null, -1, v114, vcc_lo
	s_mov_b32 s2, exec_lo
	v_cmpx_gt_i64_e64 s[4:5], v[122:123]
	s_cbranch_execz .LBB36_110
; %bb.109:                              ;   in Loop: Header=BB36_87 Depth=1
	v_add_co_u32 v18, vcc_lo, v170, v98
	s_wait_alu 0xfffd
	v_add_co_ci_u32_e64 v19, null, v171, v99, vcc_lo
	v_add_co_u32 v118, vcc_lo, v172, v98
	s_wait_alu 0xfffd
	v_add_co_ci_u32_e64 v119, null, v173, v99, vcc_lo
	global_load_b64 v[18:19], v[18:19], off
	global_load_b64 v[117:118], v[118:119], off
	s_wait_loadcnt 0x0
	scratch_store_b64 off, v[117:118], off offset:40 ; 8-byte Folded Spill
.LBB36_110:                             ;   in Loop: Header=BB36_87 Depth=1
	s_wait_alu 0xfffe
	s_or_b32 exec_lo, exec_lo, s2
	v_add_co_u32 v124, vcc_lo, 0xffffff0a, v113
	s_wait_alu 0xfffd
	v_add_co_ci_u32_e64 v125, null, -1, v114, vcc_lo
	v_mov_b32_e32 v117, 0
	v_mov_b32_e32 v118, 0
	s_delay_alu instid0(VALU_DEP_3)
	v_cmp_gt_i64_e32 vcc_lo, s[4:5], v[124:125]
	v_mov_b32_e32 v124, 0
	v_mov_b32_e32 v125, 0
	scratch_store_b64 off, v[117:118], off offset:56 ; 8-byte Folded Spill
	s_and_saveexec_b32 s2, vcc_lo
	s_cbranch_execz .LBB36_112
; %bb.111:                              ;   in Loop: Header=BB36_87 Depth=1
	v_add_co_u32 v20, vcc_lo, v166, v98
	s_wait_alu 0xfffd
	v_add_co_ci_u32_e64 v21, null, v167, v99, vcc_lo
	v_add_co_u32 v124, vcc_lo, v168, v98
	s_wait_alu 0xfffd
	v_add_co_ci_u32_e64 v125, null, v169, v99, vcc_lo
	global_load_b64 v[20:21], v[20:21], off
	global_load_b64 v[124:125], v[124:125], off
.LBB36_112:                             ;   in Loop: Header=BB36_87 Depth=1
	s_wait_alu 0xfffe
	s_or_b32 exec_lo, exec_lo, s2
	v_add_co_u32 v126, vcc_lo, 0xffffff0b, v113
	s_wait_alu 0xfffd
	v_add_co_ci_u32_e64 v127, null, -1, v114, vcc_lo
	s_mov_b32 s2, exec_lo
	v_cmpx_gt_i64_e64 s[4:5], v[126:127]
	s_cbranch_execz .LBB36_114
; %bb.113:                              ;   in Loop: Header=BB36_87 Depth=1
	v_add_co_u32 v22, vcc_lo, v162, v98
	s_wait_alu 0xfffd
	v_add_co_ci_u32_e64 v23, null, v163, v99, vcc_lo
	v_add_co_u32 v122, vcc_lo, v164, v98
	s_wait_alu 0xfffd
	v_add_co_ci_u32_e64 v123, null, v165, v99, vcc_lo
	global_load_b64 v[22:23], v[22:23], off
	global_load_b64 v[117:118], v[122:123], off
	s_wait_loadcnt 0x0
	scratch_store_b64 off, v[117:118], off offset:56 ; 8-byte Folded Spill
.LBB36_114:                             ;   in Loop: Header=BB36_87 Depth=1
	s_wait_alu 0xfffe
	s_or_b32 exec_lo, exec_lo, s2
	v_add_co_u32 v128, vcc_lo, 0xffffff0c, v113
	s_wait_alu 0xfffd
	v_add_co_ci_u32_e64 v129, null, -1, v114, vcc_lo
	v_mov_b32_e32 v126, 0
	v_mov_b32_e32 v127, 0
	s_delay_alu instid0(VALU_DEP_3)
	v_cmp_gt_i64_e32 vcc_lo, s[4:5], v[128:129]
	v_mov_b32_e32 v128, 0
	v_mov_b32_e32 v129, 0
	s_and_saveexec_b32 s2, vcc_lo
	s_cbranch_execz .LBB36_116
; %bb.115:                              ;   in Loop: Header=BB36_87 Depth=1
	v_add_co_u32 v24, vcc_lo, v158, v98
	s_wait_alu 0xfffd
	v_add_co_ci_u32_e64 v25, null, v159, v99, vcc_lo
	v_add_co_u32 v128, vcc_lo, v160, v98
	s_wait_alu 0xfffd
	v_add_co_ci_u32_e64 v129, null, v161, v99, vcc_lo
	global_load_b64 v[24:25], v[24:25], off
	global_load_b64 v[128:129], v[128:129], off
.LBB36_116:                             ;   in Loop: Header=BB36_87 Depth=1
	s_wait_alu 0xfffe
	s_or_b32 exec_lo, exec_lo, s2
	v_add_co_u32 v130, vcc_lo, 0xffffff0d, v113
	s_wait_alu 0xfffd
	v_add_co_ci_u32_e64 v131, null, -1, v114, vcc_lo
	s_mov_b32 s2, exec_lo
	v_cmpx_gt_i64_e64 s[4:5], v[130:131]
	s_cbranch_execz .LBB36_118
; %bb.117:                              ;   in Loop: Header=BB36_87 Depth=1
	v_add_co_u32 v26, vcc_lo, v154, v98
	s_wait_alu 0xfffd
	v_add_co_ci_u32_e64 v27, null, v155, v99, vcc_lo
	v_add_co_u32 v126, vcc_lo, v156, v98
	s_wait_alu 0xfffd
	v_add_co_ci_u32_e64 v127, null, v157, v99, vcc_lo
	global_load_b64 v[26:27], v[26:27], off
	global_load_b64 v[126:127], v[126:127], off
.LBB36_118:                             ;   in Loop: Header=BB36_87 Depth=1
	s_wait_alu 0xfffe
	s_or_b32 exec_lo, exec_lo, s2
	v_add_co_u32 v132, vcc_lo, 0xffffff0e, v113
	s_wait_alu 0xfffd
	v_add_co_ci_u32_e64 v133, null, -1, v114, vcc_lo
	v_mov_b32_e32 v130, 0
	v_mov_b32_e32 v131, 0
	s_delay_alu instid0(VALU_DEP_3)
	v_cmp_gt_i64_e32 vcc_lo, s[4:5], v[132:133]
	v_mov_b32_e32 v132, 0
	v_mov_b32_e32 v133, 0
	s_and_saveexec_b32 s2, vcc_lo
	s_cbranch_execz .LBB36_120
; %bb.119:                              ;   in Loop: Header=BB36_87 Depth=1
	v_add_co_u32 v28, vcc_lo, v150, v98
	s_wait_alu 0xfffd
	v_add_co_ci_u32_e64 v29, null, v151, v99, vcc_lo
	v_add_co_u32 v132, vcc_lo, v152, v98
	s_wait_alu 0xfffd
	v_add_co_ci_u32_e64 v133, null, v153, v99, vcc_lo
	global_load_b64 v[28:29], v[28:29], off
	global_load_b64 v[132:133], v[132:133], off
.LBB36_120:                             ;   in Loop: Header=BB36_87 Depth=1
	s_wait_alu 0xfffe
	s_or_b32 exec_lo, exec_lo, s2
	v_add_co_u32 v134, vcc_lo, 0xffffff0f, v113
	s_wait_alu 0xfffd
	v_add_co_ci_u32_e64 v135, null, -1, v114, vcc_lo
	s_mov_b32 s2, exec_lo
	v_cmpx_gt_i64_e64 s[4:5], v[134:135]
	s_cbranch_execz .LBB36_122
; %bb.121:                              ;   in Loop: Header=BB36_87 Depth=1
	v_add_co_u32 v30, vcc_lo, v146, v98
	s_wait_alu 0xfffd
	v_add_co_ci_u32_e64 v31, null, v147, v99, vcc_lo
	v_add_co_u32 v130, vcc_lo, v148, v98
	s_wait_alu 0xfffd
	v_add_co_ci_u32_e64 v131, null, v149, v99, vcc_lo
	global_load_b64 v[30:31], v[30:31], off
	global_load_b64 v[130:131], v[130:131], off
.LBB36_122:                             ;   in Loop: Header=BB36_87 Depth=1
	s_wait_alu 0xfffe
	s_or_b32 exec_lo, exec_lo, s2
	v_add_co_u32 v134, vcc_lo, 0xffffff10, v113
	s_wait_alu 0xfffd
	v_add_co_ci_u32_e64 v135, null, -1, v114, vcc_lo
	s_wait_loadcnt 0x0
	v_dual_mov_b32 v122, v116 :: v_dual_mov_b32 v121, v115
	v_dual_mov_b32 v120, v105 :: v_dual_mov_b32 v119, v104
	s_delay_alu instid0(VALU_DEP_3)
	v_cmp_gt_i64_e32 vcc_lo, s[4:5], v[134:135]
	v_mov_b32_e32 v134, 0
	v_dual_mov_b32 v118, v37 :: v_dual_mov_b32 v117, v36
	v_mov_b32_e32 v135, 0
	s_and_saveexec_b32 s2, vcc_lo
	s_cbranch_execz .LBB36_124
; %bb.123:                              ;   in Loop: Header=BB36_87 Depth=1
	v_add_co_u32 v32, vcc_lo, v142, v98
	s_wait_alu 0xfffd
	v_add_co_ci_u32_e64 v33, null, v143, v99, vcc_lo
	v_add_co_u32 v134, vcc_lo, v144, v98
	s_wait_alu 0xfffd
	v_add_co_ci_u32_e64 v135, null, v145, v99, vcc_lo
	global_load_b64 v[32:33], v[32:33], off
	global_load_b64 v[134:135], v[134:135], off
.LBB36_124:                             ;   in Loop: Header=BB36_87 Depth=1
	s_wait_alu 0xfffe
	s_or_b32 exec_lo, exec_lo, s2
	s_clause 0x1
	scratch_load_b64 v[36:37], off, off offset:24 th:TH_LOAD_LU
	scratch_load_b64 v[115:116], off, off
	ds_bpermute_b32 v104, v1, v102
	ds_bpermute_b32 v105, v1, v103
	s_mov_b32 s2, 0
	s_wait_dscnt 0x0
	v_add_f64_e64 v[104:105], v[34:35], -v[104:105]
	ds_bpermute_b32 v34, v1, v102 offset:4
	ds_bpermute_b32 v35, v1, v103 offset:4
	v_mul_f64_e32 v[104:105], v[2:3], v[104:105]
	s_wait_loadcnt_dscnt 0x100
	v_add_f64_e64 v[34:35], v[36:37], -v[34:35]
	ds_bpermute_b32 v36, v1, v100
	ds_bpermute_b32 v37, v1, v101
	s_wait_loadcnt_dscnt 0x0
	v_fma_f64 v[36:37], v[104:105], v[36:37], v[115:116]
	ds_bpermute_b32 v104, v1, v100 offset:4
	ds_bpermute_b32 v105, v1, v101 offset:4
	v_mul_f64_e32 v[34:35], v[4:5], v[34:35]
	s_wait_dscnt 0x0
	s_delay_alu instid0(VALU_DEP_1)
	v_fma_f64 v[34:35], v[34:35], v[104:105], v[36:37]
	ds_bpermute_b32 v36, v1, v102 offset:8
	ds_bpermute_b32 v37, v1, v103 offset:8
	;; [unrolled: 1-line block ×4, first 2 shown]
	s_wait_dscnt 0x2
	v_add_f64_e64 v[36:37], v[117:118], -v[36:37]
	s_delay_alu instid0(VALU_DEP_1) | instskip(SKIP_1) | instid1(VALU_DEP_1)
	v_mul_f64_e32 v[36:37], v[6:7], v[36:37]
	s_wait_dscnt 0x0
	v_fma_f64 v[34:35], v[36:37], v[104:105], v[34:35]
	scratch_load_b64 v[104:105], off, off offset:32 th:TH_LOAD_LU ; 8-byte Folded Reload
	ds_bpermute_b32 v36, v1, v102 offset:12
	ds_bpermute_b32 v37, v1, v103 offset:12
	s_wait_loadcnt_dscnt 0x0
	v_add_f64_e64 v[36:37], v[104:105], -v[36:37]
	ds_bpermute_b32 v104, v1, v100 offset:12
	ds_bpermute_b32 v105, v1, v101 offset:12
	v_mul_f64_e32 v[36:37], v[8:9], v[36:37]
	s_wait_dscnt 0x0
	s_delay_alu instid0(VALU_DEP_1)
	v_fma_f64 v[34:35], v[36:37], v[104:105], v[34:35]
	scratch_load_b64 v[104:105], off, off offset:16 th:TH_LOAD_LU ; 8-byte Folded Reload
	ds_bpermute_b32 v36, v1, v102 offset:16
	ds_bpermute_b32 v37, v1, v103 offset:16
	s_wait_loadcnt_dscnt 0x0
	v_add_f64_e64 v[36:37], v[104:105], -v[36:37]
	ds_bpermute_b32 v104, v1, v100 offset:16
	ds_bpermute_b32 v105, v1, v101 offset:16
	v_mul_f64_e32 v[36:37], v[10:11], v[36:37]
	s_wait_dscnt 0x0
	s_delay_alu instid0(VALU_DEP_1)
	v_fma_f64 v[34:35], v[36:37], v[104:105], v[34:35]
	ds_bpermute_b32 v36, v1, v102 offset:20
	ds_bpermute_b32 v37, v1, v103 offset:20
	ds_bpermute_b32 v104, v1, v100 offset:20
	ds_bpermute_b32 v105, v1, v101 offset:20
	s_wait_dscnt 0x2
	v_add_f64_e64 v[36:37], v[121:122], -v[36:37]
	s_delay_alu instid0(VALU_DEP_1) | instskip(SKIP_1) | instid1(VALU_DEP_1)
	v_mul_f64_e32 v[36:37], v[12:13], v[36:37]
	s_wait_dscnt 0x0
	v_fma_f64 v[34:35], v[36:37], v[104:105], v[34:35]
	ds_bpermute_b32 v36, v1, v102 offset:24
	ds_bpermute_b32 v37, v1, v103 offset:24
	;; [unrolled: 1-line block ×4, first 2 shown]
	s_wait_dscnt 0x2
	v_add_f64_e64 v[36:37], v[119:120], -v[36:37]
	s_delay_alu instid0(VALU_DEP_1) | instskip(SKIP_1) | instid1(VALU_DEP_1)
	v_mul_f64_e32 v[36:37], v[14:15], v[36:37]
	s_wait_dscnt 0x0
	v_fma_f64 v[34:35], v[36:37], v[104:105], v[34:35]
	scratch_load_b64 v[104:105], off, off offset:48 th:TH_LOAD_LU ; 8-byte Folded Reload
	ds_bpermute_b32 v36, v1, v102 offset:28
	ds_bpermute_b32 v37, v1, v103 offset:28
	s_wait_loadcnt_dscnt 0x0
	v_add_f64_e64 v[36:37], v[104:105], -v[36:37]
	ds_bpermute_b32 v104, v1, v100 offset:28
	ds_bpermute_b32 v105, v1, v101 offset:28
	v_mul_f64_e32 v[36:37], v[16:17], v[36:37]
	s_wait_dscnt 0x0
	s_delay_alu instid0(VALU_DEP_1)
	v_fma_f64 v[34:35], v[36:37], v[104:105], v[34:35]
	scratch_load_b64 v[104:105], off, off offset:40 th:TH_LOAD_LU ; 8-byte Folded Reload
	ds_bpermute_b32 v36, v1, v102 offset:32
	ds_bpermute_b32 v37, v1, v103 offset:32
	s_wait_loadcnt_dscnt 0x0
	v_add_f64_e64 v[36:37], v[104:105], -v[36:37]
	ds_bpermute_b32 v104, v1, v100 offset:32
	ds_bpermute_b32 v105, v1, v101 offset:32
	v_mul_f64_e32 v[36:37], v[18:19], v[36:37]
	s_wait_dscnt 0x0
	s_delay_alu instid0(VALU_DEP_1)
	v_fma_f64 v[34:35], v[36:37], v[104:105], v[34:35]
	ds_bpermute_b32 v36, v1, v102 offset:36
	ds_bpermute_b32 v37, v1, v103 offset:36
	;; [unrolled: 1-line block ×4, first 2 shown]
	s_wait_dscnt 0x2
	v_add_f64_e64 v[36:37], v[124:125], -v[36:37]
	s_delay_alu instid0(VALU_DEP_1) | instskip(SKIP_1) | instid1(VALU_DEP_1)
	v_mul_f64_e32 v[36:37], v[20:21], v[36:37]
	s_wait_dscnt 0x0
	v_fma_f64 v[34:35], v[36:37], v[104:105], v[34:35]
	scratch_load_b64 v[104:105], off, off offset:56 th:TH_LOAD_LU ; 8-byte Folded Reload
	ds_bpermute_b32 v36, v1, v102 offset:40
	ds_bpermute_b32 v37, v1, v103 offset:40
	s_wait_loadcnt_dscnt 0x0
	v_add_f64_e64 v[36:37], v[104:105], -v[36:37]
	ds_bpermute_b32 v104, v1, v100 offset:40
	ds_bpermute_b32 v105, v1, v101 offset:40
	v_mul_f64_e32 v[36:37], v[22:23], v[36:37]
	s_wait_dscnt 0x0
	s_delay_alu instid0(VALU_DEP_1)
	v_fma_f64 v[34:35], v[36:37], v[104:105], v[34:35]
	ds_bpermute_b32 v36, v1, v102 offset:44
	ds_bpermute_b32 v37, v1, v103 offset:44
	ds_bpermute_b32 v104, v1, v100 offset:44
	ds_bpermute_b32 v105, v1, v101 offset:44
	s_wait_dscnt 0x2
	v_add_f64_e64 v[36:37], v[128:129], -v[36:37]
	s_delay_alu instid0(VALU_DEP_1) | instskip(SKIP_1) | instid1(VALU_DEP_1)
	v_mul_f64_e32 v[36:37], v[24:25], v[36:37]
	s_wait_dscnt 0x0
	v_fma_f64 v[34:35], v[36:37], v[104:105], v[34:35]
	ds_bpermute_b32 v36, v1, v102 offset:48
	ds_bpermute_b32 v37, v1, v103 offset:48
	ds_bpermute_b32 v104, v1, v100 offset:48
	ds_bpermute_b32 v105, v1, v101 offset:48
	s_wait_dscnt 0x2
	v_add_f64_e64 v[36:37], v[126:127], -v[36:37]
	s_delay_alu instid0(VALU_DEP_1) | instskip(SKIP_1) | instid1(VALU_DEP_1)
	v_mul_f64_e32 v[36:37], v[26:27], v[36:37]
	s_wait_dscnt 0x0
	;; [unrolled: 10-line block ×5, first 2 shown]
	v_mul_f64_e32 v[100:101], v[34:35], v[36:37]
	scratch_load_b64 v[34:35], off, off offset:8 ; 8-byte Folded Reload
	s_wait_loadcnt 0x0
	v_add_f64_e32 v[2:3], v[34:35], v[2:3]
	s_delay_alu instid0(VALU_DEP_1) | instskip(NEXT) | instid1(VALU_DEP_1)
	v_add_f64_e32 v[2:3], v[4:5], v[2:3]
	v_add_f64_e32 v[2:3], v[6:7], v[2:3]
	s_delay_alu instid0(VALU_DEP_1) | instskip(NEXT) | instid1(VALU_DEP_1)
	v_add_f64_e32 v[2:3], v[8:9], v[2:3]
	v_add_f64_e32 v[2:3], v[10:11], v[2:3]
	s_delay_alu instid0(VALU_DEP_1) | instskip(NEXT) | instid1(VALU_DEP_1)
	v_add_f64_e32 v[2:3], v[12:13], v[2:3]
	v_add_f64_e32 v[2:3], v[14:15], v[2:3]
	s_delay_alu instid0(VALU_DEP_1) | instskip(NEXT) | instid1(VALU_DEP_1)
	v_add_f64_e32 v[2:3], v[16:17], v[2:3]
	v_add_f64_e32 v[2:3], v[18:19], v[2:3]
	s_delay_alu instid0(VALU_DEP_1) | instskip(NEXT) | instid1(VALU_DEP_1)
	v_add_f64_e32 v[2:3], v[20:21], v[2:3]
	v_add_f64_e32 v[2:3], v[22:23], v[2:3]
	s_delay_alu instid0(VALU_DEP_1) | instskip(NEXT) | instid1(VALU_DEP_1)
	v_add_f64_e32 v[2:3], v[24:25], v[2:3]
	v_add_f64_e32 v[2:3], v[26:27], v[2:3]
	s_delay_alu instid0(VALU_DEP_1) | instskip(NEXT) | instid1(VALU_DEP_1)
	v_add_f64_e32 v[2:3], v[28:29], v[2:3]
	v_add_f64_e32 v[2:3], v[30:31], v[2:3]
.LBB36_125:                             ;   in Loop: Header=BB36_87 Depth=1
	s_wait_alu 0xfffe
	s_and_b32 vcc_lo, exec_lo, s2
	s_wait_alu 0xfffe
	s_cbranch_vccz .LBB36_86
; %bb.126:                              ;   in Loop: Header=BB36_87 Depth=1
	s_load_b32 s2, s[10:11], 0x0
	v_mov_b32_e32 v4, 0
	v_mov_b32_e32 v5, 0
	s_wait_kmcnt 0x0
	s_cmp_lt_u32 ttmp9, s2
	s_cselect_b32 s2, 12, 18
	s_wait_alu 0xfffe
	s_add_nc_u64 s[22:23], s[10:11], s[2:3]
	s_load_u16 s2, s[22:23], 0x0
	s_clause 0x1
	scratch_load_b32 v2, off, off offset:64
	scratch_load_b32 v3, off, off offset:72
	s_wait_loadcnt 0x0
	s_wait_kmcnt 0x0
	v_mad_u32_u24 v2, v2, s2, v3
	s_mov_b32 s2, exec_lo
	s_delay_alu instid0(VALU_DEP_1) | instskip(SKIP_2) | instid1(VALU_DEP_3)
	v_and_b32_e32 v6, 31, v2
	v_mov_b32_e32 v2, 0
	v_mov_b32_e32 v3, 0
	v_cmpx_gt_u32_e32 16, v6
	s_cbranch_execz .LBB36_85
; %bb.127:                              ;   in Loop: Header=BB36_87 Depth=1
	v_add_co_u32 v2, vcc_lo, v113, v6
	s_wait_alu 0xfffd
	v_add_co_ci_u32_e64 v3, null, 0, v114, vcc_lo
	v_mov_b32_e32 v4, 0
	s_delay_alu instid0(VALU_DEP_3) | instskip(SKIP_1) | instid1(VALU_DEP_3)
	v_add_co_u32 v6, vcc_lo, 0xffffff01, v2
	s_wait_alu 0xfffd
	v_add_co_ci_u32_e64 v7, null, -1, v3, vcc_lo
	v_dual_mov_b32 v5, 0 :: v_dual_mov_b32 v2, 0
	v_mov_b32_e32 v3, 0
	s_mov_b32 s22, exec_lo
	s_delay_alu instid0(VALU_DEP_3)
	v_cmpx_gt_i64_e64 s[4:5], v[6:7]
	s_cbranch_execz .LBB36_84
; %bb.128:                              ;   in Loop: Header=BB36_87 Depth=1
	v_lshlrev_b64_e32 v[2:3], 3, v[6:7]
	s_delay_alu instid0(VALU_DEP_1) | instskip(SKIP_1) | instid1(VALU_DEP_2)
	v_add_co_u32 v4, vcc_lo, s12, v2
	s_wait_alu 0xfffd
	v_add_co_ci_u32_e64 v5, null, s13, v3, vcc_lo
	v_add_co_u32 v2, vcc_lo, s14, v2
	s_wait_alu 0xfffd
	v_add_co_ci_u32_e64 v3, null, s15, v3, vcc_lo
	global_load_b64 v[4:5], v[4:5], off
	global_load_b64 v[2:3], v[2:3], off
	s_branch .LBB36_84
.LBB36_129:
	s_clause 0x2
	scratch_load_b32 v144, off, off offset:76
	scratch_load_b64 v[145:146], off, off
	scratch_load_b64 v[147:148], off, off offset:8
.LBB36_130:
	s_wait_loadcnt 0x2
	v_and_b32_e32 v11, 0x3ff, v144
	v_bfe_u32 v0, v144, 10, 10
	s_mov_b32 s2, exec_lo
	s_delay_alu instid0(VALU_DEP_1) | instskip(NEXT) | instid1(VALU_DEP_1)
	v_mad_u32_u24 v1, 0x41, v0, v11
	v_lshl_add_u32 v2, v1, 3, 0
	v_sub_nc_u32_e32 v6, v1, v0
	s_wait_loadcnt 0x1
	ds_store_b64 v2, v[145:146]
	s_wait_loadcnt 0x0
	ds_store_b64 v2, v[147:148] offset:8320
	s_wait_storecnt_dscnt 0x0
	s_barrier_signal -1
	s_barrier_wait -1
	global_inv scope:SCOPE_SE
	v_cmpx_gt_u32_e32 0x800, v6
	s_cbranch_execz .LBB36_146
; %bb.131:
	s_load_b128 s[8:11], s[0:1], 0x30
	v_and_b32_e32 v0, 31, v11
	v_lshrrev_b32_e32 v8, 5, v6
                                        ; implicit-def: $vgpr2_vgpr3
	s_delay_alu instid0(VALU_DEP_2)
	v_cmp_gt_u32_e64 s0, 16, v0
	v_mul_u32_u24_e32 v7, 0x41, v0
                                        ; implicit-def: $vgpr0_vgpr1
	s_and_saveexec_b32 s1, s0
	s_cbranch_execz .LBB36_133
; %bb.132:
	s_delay_alu instid0(VALU_DEP_1) | instskip(NEXT) | instid1(VALU_DEP_1)
	v_add_nc_u32_e32 v0, v8, v7
	v_lshl_add_u32 v0, v0, 3, 0
	ds_load_b64 v[2:3], v0
	ds_load_b64 v[0:1], v0 offset:8320
.LBB36_133:
	s_or_b32 exec_lo, exec_lo, s1
	v_mbcnt_lo_u32_b32 v15, -1, 0
	s_mov_b32 s2, ttmp9
	s_mov_b32 s3, 0
	v_cmp_eq_u32_e64 s1, 0, v11
	s_wait_alu 0xfffe
	s_lshl_b64 s[2:3], s[2:3], 6
	v_xor_b32_e32 v4, 8, v15
	s_wait_kmcnt 0x0
	s_cmp_lg_u64 s[8:9], 0
	s_cselect_b32 s5, -1, 0
	s_cmp_lg_u64 s[10:11], 0
	v_cmp_gt_i32_e32 vcc_lo, 32, v4
	s_cselect_b32 s4, -1, 0
	s_wait_alu 0xfffd
	v_cndmask_b32_e32 v4, v15, v4, vcc_lo
	s_delay_alu instid0(VALU_DEP_1)
	v_lshlrev_b32_e32 v9, 2, v4
	s_wait_dscnt 0x1
	ds_bpermute_b32 v4, v9, v2
	ds_bpermute_b32 v5, v9, v3
	s_wait_dscnt 0x2
	ds_bpermute_b32 v12, v9, v0
	ds_bpermute_b32 v13, v9, v1
	s_wait_dscnt 0x2
	v_add_f64_e32 v[2:3], v[2:3], v[4:5]
	v_xor_b32_e32 v4, 4, v15
	s_wait_dscnt 0x0
	v_add_f64_e32 v[0:1], v[0:1], v[12:13]
	s_delay_alu instid0(VALU_DEP_2) | instskip(SKIP_2) | instid1(VALU_DEP_1)
	v_cmp_gt_i32_e32 vcc_lo, 32, v4
	s_wait_alu 0xfffd
	v_cndmask_b32_e32 v4, v15, v4, vcc_lo
	v_lshlrev_b32_e32 v10, 2, v4
	ds_bpermute_b32 v4, v10, v2
	ds_bpermute_b32 v5, v10, v3
	;; [unrolled: 1-line block ×4, first 2 shown]
	s_wait_dscnt 0x2
	v_add_f64_e32 v[2:3], v[2:3], v[4:5]
	v_xor_b32_e32 v4, 2, v15
	s_wait_dscnt 0x0
	v_add_f64_e32 v[0:1], v[0:1], v[12:13]
	s_delay_alu instid0(VALU_DEP_2) | instskip(SKIP_2) | instid1(VALU_DEP_1)
	v_cmp_gt_i32_e32 vcc_lo, 32, v4
	s_wait_alu 0xfffd
	v_cndmask_b32_e32 v4, v15, v4, vcc_lo
	v_lshlrev_b32_e32 v12, 2, v4
	ds_bpermute_b32 v4, v12, v2
	ds_bpermute_b32 v5, v12, v3
	;; [unrolled: 1-line block ×4, first 2 shown]
	s_wait_dscnt 0x2
	v_add_f64_e32 v[2:3], v[2:3], v[4:5]
	s_wait_dscnt 0x0
	v_add_f64_e32 v[4:5], v[0:1], v[13:14]
	v_xor_b32_e32 v0, 1, v15
	s_delay_alu instid0(VALU_DEP_1) | instskip(SKIP_2) | instid1(VALU_DEP_1)
	v_cmp_gt_i32_e32 vcc_lo, 32, v0
	s_wait_alu 0xfffd
	v_cndmask_b32_e32 v0, v15, v0, vcc_lo
	v_lshlrev_b32_e32 v13, 2, v0
	ds_bpermute_b32 v0, v13, v2
	ds_bpermute_b32 v1, v13, v3
	;; [unrolled: 1-line block ×4, first 2 shown]
	s_wait_dscnt 0x2
	v_add_f64_e32 v[0:1], v[2:3], v[0:1]
	s_wait_dscnt 0x0
	v_add_f64_e32 v[2:3], v[4:5], v[14:15]
	s_wait_alu 0xfffe
	v_or_b32_e32 v4, s2, v8
	v_mov_b32_e32 v5, s3
	s_delay_alu instid0(VALU_DEP_1)
	v_cmp_gt_i64_e32 vcc_lo, s[6:7], v[4:5]
	s_and_b32 s13, s1, vcc_lo
	s_wait_alu 0xfffe
	s_and_saveexec_b32 s12, s13
	s_cbranch_execz .LBB36_138
; %bb.134:
	v_lshlrev_b64_e32 v[4:5], 3, v[4:5]
	s_and_not1_b32 vcc_lo, exec_lo, s5
	s_wait_alu 0xfffe
	s_cbranch_vccnz .LBB36_136
; %bb.135:
	s_delay_alu instid0(VALU_DEP_1)
	v_add_co_u32 v14, vcc_lo, s8, v4
	s_wait_alu 0xfffd
	v_add_co_ci_u32_e64 v15, null, s9, v5, vcc_lo
	global_store_b64 v[14:15], v[0:1], off
.LBB36_136:
	s_and_not1_b32 vcc_lo, exec_lo, s4
	s_wait_alu 0xfffe
	s_cbranch_vccnz .LBB36_138
; %bb.137:
	v_add_co_u32 v4, vcc_lo, s10, v4
	s_wait_alu 0xfffd
	v_add_co_ci_u32_e64 v5, null, s11, v5, vcc_lo
	global_store_b64 v[4:5], v[2:3], off
.LBB36_138:
	s_wait_alu 0xfffe
	s_or_b32 exec_lo, exec_lo, s12
	v_cmp_gt_u32_e32 vcc_lo, 0x400, v6
	s_and_b32 exec_lo, exec_lo, vcc_lo
	s_cbranch_execz .LBB36_146
; %bb.139:
	s_and_saveexec_b32 s12, s0
	s_cbranch_execz .LBB36_141
; %bb.140:
	v_add_nc_u32_e32 v0, v8, v7
	s_delay_alu instid0(VALU_DEP_1)
	v_lshl_add_u32 v2, v0, 3, 0
	ds_load_b64 v[0:1], v2 offset:256
	ds_load_b64 v[2:3], v2 offset:8576
.LBB36_141:
	s_wait_alu 0xfffe
	s_or_b32 exec_lo, exec_lo, s12
	s_wait_dscnt 0x1
	ds_bpermute_b32 v4, v9, v0
	ds_bpermute_b32 v5, v9, v1
	s_wait_dscnt 0x2
	ds_bpermute_b32 v6, v9, v2
	ds_bpermute_b32 v7, v9, v3
	v_add_nc_u32_e32 v9, 32, v8
	s_wait_dscnt 0x2
	v_add_f64_e32 v[0:1], v[0:1], v[4:5]
	s_wait_dscnt 0x0
	v_add_f64_e32 v[2:3], v[2:3], v[6:7]
	ds_bpermute_b32 v4, v10, v0
	ds_bpermute_b32 v5, v10, v1
	;; [unrolled: 1-line block ×4, first 2 shown]
	v_mov_b32_e32 v10, s3
	v_or_b32_e32 v9, s2, v9
	s_delay_alu instid0(VALU_DEP_1)
	v_cmp_gt_i64_e32 vcc_lo, s[6:7], v[9:10]
	s_and_b32 s0, s1, vcc_lo
	s_wait_dscnt 0x2
	v_add_f64_e32 v[0:1], v[0:1], v[4:5]
	s_wait_dscnt 0x0
	v_add_f64_e32 v[2:3], v[2:3], v[6:7]
	ds_bpermute_b32 v4, v12, v0
	ds_bpermute_b32 v5, v12, v1
	;; [unrolled: 1-line block ×4, first 2 shown]
	s_wait_dscnt 0x2
	v_add_f64_e32 v[4:5], v[0:1], v[4:5]
	s_wait_dscnt 0x0
	v_add_f64_e32 v[0:1], v[2:3], v[6:7]
	ds_bpermute_b32 v6, v13, v4
	ds_bpermute_b32 v7, v13, v5
	;; [unrolled: 1-line block ×4, first 2 shown]
	s_and_b32 exec_lo, exec_lo, s0
	s_cbranch_execz .LBB36_146
; %bb.142:
	s_and_not1_b32 vcc_lo, exec_lo, s5
	s_wait_alu 0xfffe
	s_cbranch_vccnz .LBB36_144
; %bb.143:
	s_wait_dscnt 0x2
	v_add_f64_e32 v[4:5], v[4:5], v[6:7]
	v_add_co_u32 v6, s0, s2, v8
	s_delay_alu instid0(VALU_DEP_1) | instskip(NEXT) | instid1(VALU_DEP_1)
	v_add_co_ci_u32_e64 v7, null, s3, 0, s0
	v_lshlrev_b64_e32 v[6:7], 3, v[6:7]
	s_delay_alu instid0(VALU_DEP_1) | instskip(SKIP_1) | instid1(VALU_DEP_2)
	v_add_co_u32 v6, vcc_lo, s8, v6
	s_wait_alu 0xfffd
	v_add_co_ci_u32_e64 v7, null, s9, v7, vcc_lo
	global_store_b64 v[6:7], v[4:5], off offset:256
.LBB36_144:
	s_and_not1_b32 vcc_lo, exec_lo, s4
	s_wait_alu 0xfffe
	s_cbranch_vccnz .LBB36_146
; %bb.145:
	s_wait_dscnt 0x0
	v_add_f64_e32 v[0:1], v[0:1], v[2:3]
	v_add_co_u32 v2, s0, s2, v8
	s_wait_alu 0xf1ff
	v_add_co_ci_u32_e64 v3, null, s3, 0, s0
	s_delay_alu instid0(VALU_DEP_1) | instskip(NEXT) | instid1(VALU_DEP_1)
	v_lshlrev_b64_e32 v[2:3], 3, v[2:3]
	v_add_co_u32 v2, vcc_lo, s10, v2
	s_wait_alu 0xfffd
	s_delay_alu instid0(VALU_DEP_2)
	v_add_co_ci_u32_e64 v3, null, s11, v3, vcc_lo
	global_store_b64 v[2:3], v[0:1], off offset:256
.LBB36_146:
	s_nop 0
	s_sendmsg sendmsg(MSG_DEALLOC_VGPRS)
	s_endpgm
	.section	.rodata,"a",@progbits
	.p2align	6, 0x0
	.amdhsa_kernel _ZN2at6native12_GLOBAL__N_135GammaBetaBackwardCUDAKernelTemplateIddLj64ELj16ELj256ELb0ELb0ELb0EEEvllPKT_S5_PKT0_S8_PS3_S9_
		.amdhsa_group_segment_fixed_size 0
		.amdhsa_private_segment_fixed_size 84
		.amdhsa_kernarg_size 320
		.amdhsa_user_sgpr_count 2
		.amdhsa_user_sgpr_dispatch_ptr 0
		.amdhsa_user_sgpr_queue_ptr 0
		.amdhsa_user_sgpr_kernarg_segment_ptr 1
		.amdhsa_user_sgpr_dispatch_id 0
		.amdhsa_user_sgpr_private_segment_size 0
		.amdhsa_wavefront_size32 1
		.amdhsa_uses_dynamic_stack 0
		.amdhsa_enable_private_segment 1
		.amdhsa_system_sgpr_workgroup_id_x 1
		.amdhsa_system_sgpr_workgroup_id_y 1
		.amdhsa_system_sgpr_workgroup_id_z 0
		.amdhsa_system_sgpr_workgroup_info 0
		.amdhsa_system_vgpr_workitem_id 1
		.amdhsa_next_free_vgpr 192
		.amdhsa_next_free_sgpr 36
		.amdhsa_reserve_vcc 1
		.amdhsa_float_round_mode_32 0
		.amdhsa_float_round_mode_16_64 0
		.amdhsa_float_denorm_mode_32 3
		.amdhsa_float_denorm_mode_16_64 3
		.amdhsa_fp16_overflow 0
		.amdhsa_workgroup_processor_mode 1
		.amdhsa_memory_ordered 1
		.amdhsa_forward_progress 1
		.amdhsa_inst_pref_size 164
		.amdhsa_round_robin_scheduling 0
		.amdhsa_exception_fp_ieee_invalid_op 0
		.amdhsa_exception_fp_denorm_src 0
		.amdhsa_exception_fp_ieee_div_zero 0
		.amdhsa_exception_fp_ieee_overflow 0
		.amdhsa_exception_fp_ieee_underflow 0
		.amdhsa_exception_fp_ieee_inexact 0
		.amdhsa_exception_int_div_zero 0
	.end_amdhsa_kernel
	.section	.text._ZN2at6native12_GLOBAL__N_135GammaBetaBackwardCUDAKernelTemplateIddLj64ELj16ELj256ELb0ELb0ELb0EEEvllPKT_S5_PKT0_S8_PS3_S9_,"axG",@progbits,_ZN2at6native12_GLOBAL__N_135GammaBetaBackwardCUDAKernelTemplateIddLj64ELj16ELj256ELb0ELb0ELb0EEEvllPKT_S5_PKT0_S8_PS3_S9_,comdat
.Lfunc_end36:
	.size	_ZN2at6native12_GLOBAL__N_135GammaBetaBackwardCUDAKernelTemplateIddLj64ELj16ELj256ELb0ELb0ELb0EEEvllPKT_S5_PKT0_S8_PS3_S9_, .Lfunc_end36-_ZN2at6native12_GLOBAL__N_135GammaBetaBackwardCUDAKernelTemplateIddLj64ELj16ELj256ELb0ELb0ELb0EEEvllPKT_S5_PKT0_S8_PS3_S9_
                                        ; -- End function
	.set _ZN2at6native12_GLOBAL__N_135GammaBetaBackwardCUDAKernelTemplateIddLj64ELj16ELj256ELb0ELb0ELb0EEEvllPKT_S5_PKT0_S8_PS3_S9_.num_vgpr, 192
	.set _ZN2at6native12_GLOBAL__N_135GammaBetaBackwardCUDAKernelTemplateIddLj64ELj16ELj256ELb0ELb0ELb0EEEvllPKT_S5_PKT0_S8_PS3_S9_.num_agpr, 0
	.set _ZN2at6native12_GLOBAL__N_135GammaBetaBackwardCUDAKernelTemplateIddLj64ELj16ELj256ELb0ELb0ELb0EEEvllPKT_S5_PKT0_S8_PS3_S9_.numbered_sgpr, 36
	.set _ZN2at6native12_GLOBAL__N_135GammaBetaBackwardCUDAKernelTemplateIddLj64ELj16ELj256ELb0ELb0ELb0EEEvllPKT_S5_PKT0_S8_PS3_S9_.num_named_barrier, 0
	.set _ZN2at6native12_GLOBAL__N_135GammaBetaBackwardCUDAKernelTemplateIddLj64ELj16ELj256ELb0ELb0ELb0EEEvllPKT_S5_PKT0_S8_PS3_S9_.private_seg_size, 84
	.set _ZN2at6native12_GLOBAL__N_135GammaBetaBackwardCUDAKernelTemplateIddLj64ELj16ELj256ELb0ELb0ELb0EEEvllPKT_S5_PKT0_S8_PS3_S9_.uses_vcc, 1
	.set _ZN2at6native12_GLOBAL__N_135GammaBetaBackwardCUDAKernelTemplateIddLj64ELj16ELj256ELb0ELb0ELb0EEEvllPKT_S5_PKT0_S8_PS3_S9_.uses_flat_scratch, 1
	.set _ZN2at6native12_GLOBAL__N_135GammaBetaBackwardCUDAKernelTemplateIddLj64ELj16ELj256ELb0ELb0ELb0EEEvllPKT_S5_PKT0_S8_PS3_S9_.has_dyn_sized_stack, 0
	.set _ZN2at6native12_GLOBAL__N_135GammaBetaBackwardCUDAKernelTemplateIddLj64ELj16ELj256ELb0ELb0ELb0EEEvllPKT_S5_PKT0_S8_PS3_S9_.has_recursion, 0
	.set _ZN2at6native12_GLOBAL__N_135GammaBetaBackwardCUDAKernelTemplateIddLj64ELj16ELj256ELb0ELb0ELb0EEEvllPKT_S5_PKT0_S8_PS3_S9_.has_indirect_call, 0
	.section	.AMDGPU.csdata,"",@progbits
; Kernel info:
; codeLenInByte = 20944
; TotalNumSgprs: 38
; NumVgprs: 192
; ScratchSize: 84
; MemoryBound: 0
; FloatMode: 240
; IeeeMode: 1
; LDSByteSize: 0 bytes/workgroup (compile time only)
; SGPRBlocks: 0
; VGPRBlocks: 23
; NumSGPRsForWavesPerEU: 38
; NumVGPRsForWavesPerEU: 192
; Occupancy: 8
; WaveLimiterHint : 0
; COMPUTE_PGM_RSRC2:SCRATCH_EN: 1
; COMPUTE_PGM_RSRC2:USER_SGPR: 2
; COMPUTE_PGM_RSRC2:TRAP_HANDLER: 0
; COMPUTE_PGM_RSRC2:TGID_X_EN: 1
; COMPUTE_PGM_RSRC2:TGID_Y_EN: 1
; COMPUTE_PGM_RSRC2:TGID_Z_EN: 0
; COMPUTE_PGM_RSRC2:TIDIG_COMP_CNT: 1
	.section	.text._ZN2at6native12_GLOBAL__N_135GammaBetaBackwardCUDAKernelTemplateIddLj32ELj1ELj32ELb1ELb1ELb0EEEvllPKT_S5_PKT0_S8_PS3_S9_,"axG",@progbits,_ZN2at6native12_GLOBAL__N_135GammaBetaBackwardCUDAKernelTemplateIddLj32ELj1ELj32ELb1ELb1ELb0EEEvllPKT_S5_PKT0_S8_PS3_S9_,comdat
	.globl	_ZN2at6native12_GLOBAL__N_135GammaBetaBackwardCUDAKernelTemplateIddLj32ELj1ELj32ELb1ELb1ELb0EEEvllPKT_S5_PKT0_S8_PS3_S9_ ; -- Begin function _ZN2at6native12_GLOBAL__N_135GammaBetaBackwardCUDAKernelTemplateIddLj32ELj1ELj32ELb1ELb1ELb0EEEvllPKT_S5_PKT0_S8_PS3_S9_
	.p2align	8
	.type	_ZN2at6native12_GLOBAL__N_135GammaBetaBackwardCUDAKernelTemplateIddLj32ELj1ELj32ELb1ELb1ELb0EEEvllPKT_S5_PKT0_S8_PS3_S9_,@function
_ZN2at6native12_GLOBAL__N_135GammaBetaBackwardCUDAKernelTemplateIddLj32ELj1ELj32ELb1ELb1ELb0EEEvllPKT_S5_PKT0_S8_PS3_S9_: ; @_ZN2at6native12_GLOBAL__N_135GammaBetaBackwardCUDAKernelTemplateIddLj32ELj1ELj32ELb1ELb1ELb0EEEvllPKT_S5_PKT0_S8_PS3_S9_
; %bb.0:
	s_load_b128 s[8:11], s[0:1], 0x0
	s_lshl_b32 s16, ttmp7, 5
	s_mov_b32 s17, 0
	v_bfe_u32 v14, v0, 10, 10
	s_add_nc_u64 s[18:19], s[0:1], 64
	s_wait_kmcnt 0x0
	v_cmp_gt_i64_e64 s2, s[8:9], s[16:17]
	s_and_b32 vcc_lo, exec_lo, s2
	s_cbranch_vccnz .LBB37_2
; %bb.1:
	v_bfe_u32 v1, v0, 10, 10
	s_add_nc_u64 s[2:3], s[0:1], 64
	s_mov_b32 s4, s17
	s_branch .LBB37_3
.LBB37_2:
	s_mov_b32 s4, -1
                                        ; implicit-def: $sgpr2_sgpr3
                                        ; implicit-def: $vgpr1
.LBB37_3:
	s_load_b128 s[12:15], s[0:1], 0x30
	v_mov_b32_e32 v10, 0
	v_dual_mov_b32 v11, 0 :: v_dual_mov_b32 v12, 0
	v_mov_b32_e32 v13, 0
	v_and_b32_e32 v15, 0x3ff, v0
	s_and_not1_b32 vcc_lo, exec_lo, s4
	s_cbranch_vccnz .LBB37_9
; %bb.4:
	s_clause 0x2
	s_load_b32 s20, s[0:1], 0x4c
	s_load_b32 s22, s[0:1], 0x44
	s_load_b256 s[0:7], s[0:1], 0x10
	v_dual_mov_b32 v1, 0 :: v_dual_lshlrev_b32 v2, 5, v14
	v_lshl_add_u32 v0, ttmp9, 5, v15
	s_mov_b32 s21, 0
	v_dual_mov_b32 v33, 0x48 :: v_dual_mov_b32 v12, 0
	v_dual_mov_b32 v35, 0x50 :: v_dual_mov_b32 v10, 0
	;; [unrolled: 1-line block ×7, first 2 shown]
	s_wait_kmcnt 0x0
	s_and_b32 s20, s20, 0xffff
	v_dual_mov_b32 v26, 44 :: v_dual_mov_b32 v27, 48
	v_mad_u32_u24 v3, v14, s20, v15
	v_add_co_u32 v2, s20, v2, s16
	s_wait_alu 0xf1ff
	v_add_co_ci_u32_e64 v6, null, 0, 0, s20
	s_delay_alu instid0(VALU_DEP_3) | instskip(NEXT) | instid1(VALU_DEP_3)
	v_dual_mov_b32 v32, 0x44 :: v_dual_and_b32 v3, 31, v3
	v_mul_lo_u32 v7, s11, v2
	s_delay_alu instid0(VALU_DEP_3) | instskip(SKIP_1) | instid1(VALU_DEP_4)
	v_mul_lo_u32 v8, s10, v6
	v_mad_co_u64_u32 v[4:5], null, s10, v2, 0
	v_add_co_u32 v2, vcc_lo, v2, v3
	s_delay_alu instid0(VALU_DEP_1)
	v_add_co_ci_u32_e64 v3, null, 0, v6, vcc_lo
	s_lshl_b32 s20, s22, 5
	v_dual_mov_b32 v28, 52 :: v_dual_mov_b32 v29, 56
	v_add3_u32 v5, v5, v8, v7
	v_lshlrev_b64_e32 v[8:9], 3, v[0:1]
	v_dual_mov_b32 v30, 60 :: v_dual_mov_b32 v31, 64
	v_dual_mov_b32 v34, 0x4c :: v_dual_mov_b32 v13, 0
	s_delay_alu instid0(VALU_DEP_4)
	v_lshlrev_b64_e32 v[6:7], 3, v[4:5]
	v_lshlrev_b64_e32 v[4:5], 3, v[2:3]
	v_dual_mov_b32 v36, 0x54 :: v_dual_mov_b32 v11, 0
	v_mov_b32_e32 v37, 0x58
	v_mov_b32_e32 v38, 0x5c
	v_add_co_u32 v0, vcc_lo, v6, v8
	v_mov_b32_e32 v39, 0x60
	v_mov_b32_e32 v40, 0x64
	;; [unrolled: 1-line block ×8, first 2 shown]
	s_wait_alu 0xfffd
	v_add_co_ci_u32_e64 v47, null, v7, v9, vcc_lo
	s_wait_alu 0xfffe
	s_mul_u64 s[22:23], s[10:11], s[20:21]
	s_lshl_b64 s[24:25], s[20:21], 3
	s_lshl_b64 s[22:23], s[22:23], 3
	;; [unrolled: 1-line block ×3, first 2 shown]
	s_branch .LBB37_6
.LBB37_5:                               ;   in Loop: Header=BB37_6 Depth=1
	s_or_b32 exec_lo, exec_lo, s28
	v_add_co_u32 v48, vcc_lo, s2, v0
	s_wait_alu 0xfffd
	v_add_co_ci_u32_e64 v49, null, s3, v47, vcc_lo
	s_wait_loadcnt 0x1
	ds_bpermute_b32 v80, v1, v8
	ds_bpermute_b32 v81, v1, v9
	s_wait_loadcnt 0x0
	ds_bpermute_b32 v88, v1, v6
	global_load_b64 v[50:51], v[48:49], off
	v_add_co_u32 v48, vcc_lo, v48, s26
	s_wait_alu 0xfffd
	v_add_co_ci_u32_e64 v49, null, s27, v49, vcc_lo
	v_add_co_u32 v52, vcc_lo, s0, v0
	s_wait_alu 0xfffd
	v_add_co_ci_u32_e64 v53, null, s1, v47, vcc_lo
	global_load_b64 v[54:55], v[48:49], off
	global_load_b64 v[56:57], v[52:53], off
	v_add_co_u32 v48, vcc_lo, v48, s26
	s_wait_alu 0xfffd
	v_add_co_ci_u32_e64 v49, null, s27, v49, vcc_lo
	v_add_co_u32 v52, vcc_lo, v52, s26
	s_wait_alu 0xfffd
	v_add_co_ci_u32_e64 v53, null, s27, v53, vcc_lo
	global_load_b64 v[58:59], v[48:49], off
	;; [unrolled: 8-line block ×3, first 2 shown]
	v_add_co_u32 v52, vcc_lo, v52, s26
	global_load_b64 v[64:65], v[48:49], off
	s_wait_alu 0xfffd
	v_add_co_ci_u32_e64 v53, null, s27, v53, vcc_lo
	v_add_co_u32 v48, vcc_lo, v48, s26
	s_wait_alu 0xfffd
	v_add_co_ci_u32_e64 v49, null, s27, v49, vcc_lo
	global_load_b64 v[66:67], v[52:53], off
	v_add_co_u32 v52, vcc_lo, v52, s26
	global_load_b64 v[68:69], v[48:49], off
	s_wait_alu 0xfffd
	v_add_co_ci_u32_e64 v53, null, s27, v53, vcc_lo
	v_add_co_u32 v48, vcc_lo, v48, s26
	s_wait_alu 0xfffd
	v_add_co_ci_u32_e64 v49, null, s27, v49, vcc_lo
	global_load_b64 v[70:71], v[52:53], off
	ds_bpermute_b32 v89, v1, v7
	ds_bpermute_b32 v86, v17, v8
	global_load_b64 v[72:73], v[48:49], off
	v_add_co_u32 v48, vcc_lo, v48, s26
	s_wait_alu 0xfffd
	v_add_co_ci_u32_e64 v49, null, s27, v49, vcc_lo
	v_add_co_u32 v52, vcc_lo, v52, s26
	s_wait_alu 0xfffd
	v_add_co_ci_u32_e64 v53, null, s27, v53, vcc_lo
	global_load_b64 v[74:75], v[48:49], off
	global_load_b64 v[76:77], v[52:53], off
	v_add_co_u32 v48, vcc_lo, v48, s26
	s_wait_alu 0xfffd
	v_add_co_ci_u32_e64 v49, null, s27, v49, vcc_lo
	v_add_co_u32 v52, vcc_lo, v52, s26
	s_wait_alu 0xfffd
	v_add_co_ci_u32_e64 v53, null, s27, v53, vcc_lo
	global_load_b64 v[78:79], v[48:49], off
	ds_bpermute_b32 v87, v17, v9
	ds_bpermute_b32 v90, v18, v8
	global_load_b64 v[82:83], v[52:53], off
	v_add_co_u32 v52, vcc_lo, v52, s26
	s_wait_alu 0xfffd
	v_add_co_ci_u32_e64 v53, null, s27, v53, vcc_lo
	v_add_co_u32 v48, vcc_lo, v48, s26
	s_wait_alu 0xfffd
	v_add_co_ci_u32_e64 v49, null, s27, v49, vcc_lo
	global_load_b64 v[84:85], v[52:53], off
	ds_bpermute_b32 v91, v18, v9
	s_add_nc_u64 s[16:17], s[16:17], s[20:21]
	s_wait_alu 0xfffe
	v_cmp_lt_i64_e64 s28, s[16:17], s[8:9]
	s_wait_loadcnt_dscnt 0xf06
	v_add_f64_e64 v[50:51], v[50:51], -v[80:81]
	ds_bpermute_b32 v80, v16, v8
	ds_bpermute_b32 v81, v16, v9
	s_wait_loadcnt 0xd
	v_add_f64_e32 v[10:11], v[10:11], v[56:57]
	s_wait_loadcnt_dscnt 0xc04
	v_add_f64_e64 v[58:59], v[58:59], -v[86:87]
	s_wait_dscnt 0x0
	v_add_f64_e64 v[54:55], v[54:55], -v[80:81]
	global_load_b64 v[80:81], v[48:49], off
	ds_bpermute_b32 v86, v16, v6
	ds_bpermute_b32 v87, v16, v7
	v_mul_f64_e32 v[50:51], v[56:57], v[50:51]
	ds_bpermute_b32 v56, v19, v6
	ds_bpermute_b32 v57, v19, v7
	s_wait_loadcnt 0xc
	v_add_f64_e32 v[10:11], v[10:11], v[60:61]
	s_wait_loadcnt 0xb
	v_mul_f64_e32 v[58:59], v[62:63], v[58:59]
	v_mul_f64_e32 v[54:55], v[60:61], v[54:55]
	ds_bpermute_b32 v60, v22, v8
	ds_bpermute_b32 v61, v22, v9
	v_fma_f64 v[12:13], v[50:51], v[88:89], v[12:13]
	v_add_co_u32 v50, vcc_lo, v52, s26
	s_wait_alu 0xfffd
	v_add_co_ci_u32_e64 v51, null, s27, v53, vcc_lo
	v_add_co_u32 v48, vcc_lo, v48, s26
	s_wait_alu 0xfffd
	v_add_co_ci_u32_e64 v49, null, s27, v49, vcc_lo
	global_load_b64 v[52:53], v[50:51], off
	v_add_co_u32 v50, vcc_lo, v50, s26
	global_load_b64 v[88:89], v[48:49], off
	s_wait_alu 0xfffd
	v_add_co_ci_u32_e64 v51, null, s27, v51, vcc_lo
	v_add_co_u32 v48, vcc_lo, v48, s26
	s_wait_alu 0xfffd
	v_add_co_ci_u32_e64 v49, null, s27, v49, vcc_lo
	s_wait_loadcnt_dscnt 0x500
	v_add_f64_e64 v[60:61], v[78:79], -v[60:61]
	ds_bpermute_b32 v78, v20, v6
	ds_bpermute_b32 v79, v20, v7
	v_add_f64_e32 v[10:11], v[10:11], v[62:63]
	v_fma_f64 v[12:13], v[54:55], v[86:87], v[12:13]
	v_add_f64_e64 v[54:55], v[64:65], -v[90:91]
	ds_bpermute_b32 v64, v17, v6
	ds_bpermute_b32 v65, v17, v7
	global_load_b64 v[86:87], v[50:51], off
	global_load_b64 v[90:91], v[48:49], off
	v_add_co_u32 v50, vcc_lo, v50, s26
	s_wait_alu 0xfffd
	v_add_co_ci_u32_e64 v51, null, s27, v51, vcc_lo
	v_add_co_u32 v48, vcc_lo, v48, s26
	s_wait_alu 0xfffd
	v_add_co_ci_u32_e64 v49, null, s27, v49, vcc_lo
	s_wait_loadcnt 0x5
	v_mul_f64_e32 v[60:61], v[84:85], v[60:61]
	v_add_f64_e32 v[10:11], v[10:11], v[66:67]
	s_wait_dscnt 0x0
	v_fma_f64 v[12:13], v[58:59], v[64:65], v[12:13]
	ds_bpermute_b32 v58, v19, v8
	ds_bpermute_b32 v59, v19, v9
	v_mul_f64_e32 v[54:55], v[66:67], v[54:55]
	ds_bpermute_b32 v64, v18, v6
	ds_bpermute_b32 v65, v18, v7
	;; [unrolled: 1-line block ×4, first 2 shown]
	v_add_f64_e32 v[10:11], v[10:11], v[70:71]
	s_wait_dscnt 0x4
	v_add_f64_e64 v[58:59], v[68:69], -v[58:59]
	global_load_b64 v[68:69], v[50:51], off
	v_add_co_u32 v50, vcc_lo, v50, s26
	s_wait_alu 0xfffd
	v_add_co_ci_u32_e64 v51, null, s27, v51, vcc_lo
	s_wait_dscnt 0x2
	v_fma_f64 v[12:13], v[54:55], v[64:65], v[12:13]
	global_load_b64 v[54:55], v[48:49], off
	ds_bpermute_b32 v64, v20, v8
	ds_bpermute_b32 v65, v20, v9
	v_add_co_u32 v48, vcc_lo, v48, s26
	s_wait_alu 0xfffd
	v_add_co_ci_u32_e64 v49, null, s27, v49, vcc_lo
	v_add_f64_e32 v[10:11], v[10:11], v[76:77]
	v_mul_f64_e32 v[58:59], v[70:71], v[58:59]
	ds_bpermute_b32 v70, v24, v8
	ds_bpermute_b32 v71, v24, v9
	s_wait_dscnt 0x2
	v_add_f64_e64 v[64:65], v[72:73], -v[64:65]
	global_load_b64 v[72:73], v[50:51], off
	v_add_co_u32 v50, vcc_lo, v50, s26
	s_wait_alu 0xfffd
	v_add_co_ci_u32_e64 v51, null, s27, v51, vcc_lo
	v_add_f64_e32 v[10:11], v[10:11], v[82:83]
	v_fma_f64 v[12:13], v[58:59], v[56:57], v[12:13]
	global_load_b64 v[56:57], v[48:49], off
	ds_bpermute_b32 v58, v21, v8
	ds_bpermute_b32 v59, v21, v9
	v_mul_f64_e32 v[64:65], v[76:77], v[64:65]
	v_add_co_u32 v48, vcc_lo, v48, s26
	s_wait_alu 0xfffd
	v_add_co_ci_u32_e64 v49, null, s27, v49, vcc_lo
	global_load_b64 v[62:63], v[48:49], off
	s_wait_dscnt 0x0
	v_add_f64_e64 v[58:59], v[74:75], -v[58:59]
	global_load_b64 v[74:75], v[50:51], off
	v_add_co_u32 v50, vcc_lo, v50, s26
	s_wait_alu 0xfffd
	v_add_co_ci_u32_e64 v51, null, s27, v51, vcc_lo
	v_add_co_u32 v48, vcc_lo, v48, s26
	s_wait_alu 0xfffd
	v_add_co_ci_u32_e64 v49, null, s27, v49, vcc_lo
	v_add_f64_e32 v[10:11], v[10:11], v[84:85]
	v_fma_f64 v[12:13], v[64:65], v[78:79], v[12:13]
	ds_bpermute_b32 v64, v21, v6
	ds_bpermute_b32 v65, v21, v7
	;; [unrolled: 1-line block ×4, first 2 shown]
	v_mul_f64_e32 v[58:59], v[82:83], v[58:59]
	s_wait_loadcnt_dscnt 0xa00
	v_add_f64_e64 v[78:79], v[80:81], -v[78:79]
	s_delay_alu instid0(VALU_DEP_2)
	v_fma_f64 v[12:13], v[58:59], v[64:65], v[12:13]
	global_load_b64 v[58:59], v[48:49], off
	global_load_b64 v[64:65], v[50:51], off
	v_add_co_u32 v48, vcc_lo, v48, s26
	s_wait_alu 0xfffd
	v_add_co_ci_u32_e64 v49, null, s27, v49, vcc_lo
	v_add_co_u32 v50, vcc_lo, v50, s26
	s_wait_alu 0xfffd
	v_add_co_ci_u32_e64 v51, null, s27, v51, vcc_lo
	global_load_b64 v[80:81], v[48:49], off
	v_add_co_u32 v48, vcc_lo, v48, s26
	s_wait_alu 0xfffd
	v_add_co_ci_u32_e64 v49, null, s27, v49, vcc_lo
	v_fma_f64 v[12:13], v[60:61], v[66:67], v[12:13]
	global_load_b64 v[60:61], v[50:51], off
	v_add_co_u32 v50, vcc_lo, v50, s26
	s_wait_alu 0xfffd
	v_add_co_ci_u32_e64 v51, null, s27, v51, vcc_lo
	s_wait_loadcnt 0xd
	v_mul_f64_e32 v[66:67], v[52:53], v[78:79]
	ds_bpermute_b32 v78, v23, v6
	ds_bpermute_b32 v79, v23, v7
	s_wait_loadcnt 0xc
	v_add_f64_e64 v[70:71], v[88:89], -v[70:71]
	global_load_b64 v[76:77], v[48:49], off
	global_load_b64 v[88:89], v[50:51], off
	v_add_co_u32 v48, vcc_lo, v48, s26
	s_wait_alu 0xfffd
	v_add_co_ci_u32_e64 v49, null, s27, v49, vcc_lo
	v_add_co_u32 v50, vcc_lo, v50, s26
	s_wait_alu 0xfffd
	v_add_co_ci_u32_e64 v51, null, s27, v51, vcc_lo
	global_load_b64 v[82:83], v[48:49], off
	v_add_f64_e32 v[10:11], v[10:11], v[52:53]
	s_wait_dscnt 0x0
	v_fma_f64 v[12:13], v[66:67], v[78:79], v[12:13]
	ds_bpermute_b32 v66, v25, v8
	ds_bpermute_b32 v67, v25, v9
	s_wait_loadcnt 0xe
	v_mul_f64_e32 v[70:71], v[86:87], v[70:71]
	ds_bpermute_b32 v78, v24, v6
	ds_bpermute_b32 v79, v24, v7
	v_add_f64_e32 v[10:11], v[10:11], v[86:87]
	s_wait_loadcnt_dscnt 0xd02
	v_add_f64_e64 v[66:67], v[90:91], -v[66:67]
	global_load_b64 v[90:91], v[50:51], off
	v_add_co_u32 v50, vcc_lo, v50, s26
	s_wait_alu 0xfffd
	v_add_co_ci_u32_e64 v51, null, s27, v51, vcc_lo
	v_add_co_u32 v48, vcc_lo, v48, s26
	s_wait_alu 0xfffd
	v_add_co_ci_u32_e64 v49, null, s27, v49, vcc_lo
	s_wait_dscnt 0x0
	v_fma_f64 v[12:13], v[70:71], v[78:79], v[12:13]
	ds_bpermute_b32 v70, v26, v8
	ds_bpermute_b32 v71, v26, v9
	v_add_co_u32 v78, vcc_lo, v50, s26
	s_wait_alu 0xfffd
	v_add_co_ci_u32_e64 v79, null, s27, v51, vcc_lo
	global_load_b64 v[84:85], v[48:49], off
	global_load_b64 v[50:51], v[50:51], off
	v_add_co_u32 v48, vcc_lo, v48, s26
	global_load_b64 v[52:53], v[78:79], off
	s_wait_alu 0xfffd
	v_add_co_ci_u32_e64 v49, null, s27, v49, vcc_lo
	s_wait_loadcnt 0x10
	v_add_f64_e32 v[10:11], v[10:11], v[68:69]
	v_mul_f64_e32 v[66:67], v[68:69], v[66:67]
	ds_bpermute_b32 v68, v27, v6
	ds_bpermute_b32 v69, v27, v7
	s_wait_loadcnt_dscnt 0xf02
	v_add_f64_e64 v[54:55], v[54:55], -v[70:71]
	ds_bpermute_b32 v70, v25, v6
	ds_bpermute_b32 v71, v25, v7
	s_wait_loadcnt 0xe
	v_add_f64_e32 v[10:11], v[10:11], v[72:73]
	s_wait_dscnt 0x0
	v_fma_f64 v[12:13], v[66:67], v[70:71], v[12:13]
	ds_bpermute_b32 v66, v27, v8
	global_load_b64 v[70:71], v[48:49], off
	ds_bpermute_b32 v67, v27, v9
	v_mul_f64_e32 v[54:55], v[72:73], v[54:55]
	ds_bpermute_b32 v72, v30, v8
	ds_bpermute_b32 v73, v30, v9
	s_wait_loadcnt_dscnt 0xe02
	v_add_f64_e64 v[56:57], v[56:57], -v[66:67]
	v_add_co_u32 v66, vcc_lo, v78, s26
	s_wait_alu 0xfffd
	v_add_co_ci_u32_e64 v67, null, s27, v79, vcc_lo
	ds_bpermute_b32 v78, v26, v6
	ds_bpermute_b32 v79, v26, v7
	v_add_co_u32 v48, vcc_lo, v48, s26
	s_wait_alu 0xfffd
	v_add_co_ci_u32_e64 v49, null, s27, v49, vcc_lo
	global_load_b64 v[86:87], v[66:67], off
	v_add_co_u32 v66, vcc_lo, v66, s26
	s_wait_alu 0xfffd
	v_add_co_ci_u32_e64 v67, null, s27, v67, vcc_lo
	s_wait_loadcnt 0xd
	v_add_f64_e32 v[10:11], v[10:11], v[74:75]
	s_wait_dscnt 0x0
	v_fma_f64 v[12:13], v[54:55], v[78:79], v[12:13]
	global_load_b64 v[54:55], v[48:49], off
	ds_bpermute_b32 v78, v28, v8
	ds_bpermute_b32 v79, v28, v9
	v_add_co_u32 v48, vcc_lo, v48, s26
	s_wait_alu 0xfffd
	v_add_co_ci_u32_e64 v49, null, s27, v49, vcc_lo
	v_mul_f64_e32 v[56:57], v[74:75], v[56:57]
	s_wait_dscnt 0x0
	v_add_f64_e64 v[62:63], v[62:63], -v[78:79]
	global_load_b64 v[78:79], v[66:67], off
	v_add_co_u32 v66, vcc_lo, v66, s26
	s_wait_alu 0xfffd
	v_add_co_ci_u32_e64 v67, null, s27, v67, vcc_lo
	v_fma_f64 v[12:13], v[56:57], v[68:69], v[12:13]
	global_load_b64 v[56:57], v[48:49], off
	ds_bpermute_b32 v68, v29, v8
	ds_bpermute_b32 v69, v29, v9
	v_add_co_u32 v48, vcc_lo, v48, s26
	s_wait_alu 0xfffd
	v_add_co_ci_u32_e64 v49, null, s27, v49, vcc_lo
	global_load_b64 v[74:75], v[48:49], off
	v_add_co_u32 v48, vcc_lo, v48, s26
	s_wait_alu 0xfffd
	v_add_co_ci_u32_e64 v49, null, s27, v49, vcc_lo
	s_wait_loadcnt_dscnt 0x1000
	v_add_f64_e64 v[58:59], v[58:59], -v[68:69]
	s_wait_loadcnt 0xf
	v_mul_f64_e32 v[62:63], v[64:65], v[62:63]
	global_load_b64 v[68:69], v[66:67], off
	v_add_f64_e32 v[10:11], v[10:11], v[64:65]
	v_add_co_u32 v64, vcc_lo, v66, s26
	s_wait_alu 0xfffd
	v_add_co_ci_u32_e64 v65, null, s27, v67, vcc_lo
	s_wait_loadcnt 0xf
	v_add_f64_e64 v[72:73], v[80:81], -v[72:73]
	ds_bpermute_b32 v80, v28, v6
	ds_bpermute_b32 v81, v28, v7
	s_wait_loadcnt 0xe
	v_mul_f64_e32 v[58:59], v[60:61], v[58:59]
	s_wait_dscnt 0x0
	v_fma_f64 v[12:13], v[62:63], v[80:81], v[12:13]
	ds_bpermute_b32 v62, v31, v8
	ds_bpermute_b32 v63, v31, v9
	;; [unrolled: 1-line block ×4, first 2 shown]
	v_add_f64_e32 v[10:11], v[10:11], v[60:61]
	s_wait_loadcnt 0xc
	v_mul_f64_e32 v[66:67], v[88:89], v[72:73]
	s_wait_dscnt 0x2
	v_add_f64_e64 v[62:63], v[76:77], -v[62:63]
	ds_bpermute_b32 v76, v32, v8
	ds_bpermute_b32 v77, v32, v9
	s_wait_dscnt 0x2
	v_fma_f64 v[12:13], v[58:59], v[80:81], v[12:13]
	global_load_b64 v[58:59], v[48:49], off
	global_load_b64 v[72:73], v[64:65], off
	ds_bpermute_b32 v80, v30, v6
	ds_bpermute_b32 v81, v30, v7
	v_add_co_u32 v64, vcc_lo, v64, s26
	s_wait_alu 0xfffd
	v_add_co_ci_u32_e64 v65, null, s27, v65, vcc_lo
	v_add_co_u32 v48, vcc_lo, v48, s26
	s_wait_alu 0xfffd
	v_add_co_ci_u32_e64 v49, null, s27, v49, vcc_lo
	s_wait_loadcnt_dscnt 0xd02
	v_add_f64_e64 v[76:77], v[82:83], -v[76:77]
	ds_bpermute_b32 v82, v31, v6
	ds_bpermute_b32 v83, v31, v7
	global_load_b64 v[60:61], v[48:49], off
	v_add_f64_e32 v[10:11], v[10:11], v[88:89]
	s_wait_dscnt 0x2
	v_fma_f64 v[12:13], v[66:67], v[80:81], v[12:13]
	s_wait_loadcnt 0xd
	v_mul_f64_e32 v[62:63], v[90:91], v[62:63]
	global_load_b64 v[66:67], v[64:65], off
	ds_bpermute_b32 v80, v33, v8
	ds_bpermute_b32 v81, v33, v9
	v_add_co_u32 v64, vcc_lo, v64, s26
	s_wait_alu 0xfffd
	v_add_co_ci_u32_e64 v65, null, s27, v65, vcc_lo
	v_add_co_u32 v48, vcc_lo, v48, s26
	s_wait_alu 0xfffd
	v_add_co_ci_u32_e64 v49, null, s27, v49, vcc_lo
	global_load_b64 v[88:89], v[48:49], off
	v_add_f64_e32 v[10:11], v[10:11], v[90:91]
	s_wait_loadcnt_dscnt 0xe00
	v_add_f64_e64 v[80:81], v[84:85], -v[80:81]
	s_wait_loadcnt 0xd
	v_mul_f64_e32 v[76:77], v[50:51], v[76:77]
	ds_bpermute_b32 v84, v34, v8
	ds_bpermute_b32 v85, v34, v9
	v_fma_f64 v[12:13], v[62:63], v[82:83], v[12:13]
	global_load_b64 v[62:63], v[64:65], off
	ds_bpermute_b32 v82, v32, v6
	ds_bpermute_b32 v83, v32, v7
	v_add_co_u32 v64, vcc_lo, v64, s26
	s_wait_alu 0xfffd
	v_add_co_ci_u32_e64 v65, null, s27, v65, vcc_lo
	v_add_co_u32 v48, vcc_lo, v48, s26
	s_wait_alu 0xfffd
	v_add_co_ci_u32_e64 v49, null, s27, v49, vcc_lo
	global_load_b64 v[90:91], v[48:49], off
	v_add_f64_e32 v[10:11], v[10:11], v[50:51]
	s_wait_loadcnt 0xe
	v_mul_f64_e32 v[80:81], v[52:53], v[80:81]
	s_wait_dscnt 0x0
	v_fma_f64 v[12:13], v[76:77], v[82:83], v[12:13]
	global_load_b64 v[76:77], v[64:65], off
	s_wait_loadcnt 0xe
	v_add_f64_e64 v[70:71], v[70:71], -v[84:85]
	ds_bpermute_b32 v82, v33, v6
	ds_bpermute_b32 v83, v33, v7
	v_add_co_u32 v64, vcc_lo, v64, s26
	s_wait_alu 0xfffd
	v_add_co_ci_u32_e64 v65, null, s27, v65, vcc_lo
	v_add_co_u32 v48, vcc_lo, v48, s26
	s_wait_alu 0xfffd
	v_add_co_ci_u32_e64 v49, null, s27, v49, vcc_lo
	ds_bpermute_b32 v84, v35, v8
	ds_bpermute_b32 v85, v35, v9
	global_load_b64 v[50:51], v[48:49], off
	v_add_co_u32 v48, vcc_lo, v48, s26
	s_wait_alu 0xfffd
	v_add_co_ci_u32_e64 v49, null, s27, v49, vcc_lo
	v_add_f64_e32 v[10:11], v[10:11], v[52:53]
	s_wait_dscnt 0x2
	v_fma_f64 v[12:13], v[80:81], v[82:83], v[12:13]
	global_load_b64 v[80:81], v[64:65], off
	s_wait_loadcnt 0xf
	v_mul_f64_e32 v[70:71], v[86:87], v[70:71]
	v_add_co_u32 v64, vcc_lo, v64, s26
	ds_bpermute_b32 v82, v34, v6
	ds_bpermute_b32 v83, v34, v7
	s_wait_alu 0xfffd
	v_add_co_ci_u32_e64 v65, null, s27, v65, vcc_lo
	global_load_b64 v[52:53], v[64:65], off
	s_wait_loadcnt_dscnt 0xf02
	v_add_f64_e64 v[54:55], v[54:55], -v[84:85]
	global_load_b64 v[84:85], v[48:49], off
	v_add_co_u32 v48, vcc_lo, v48, s26
	s_wait_alu 0xfffd
	v_add_co_ci_u32_e64 v49, null, s27, v49, vcc_lo
	v_add_co_u32 v64, vcc_lo, v64, s26
	s_wait_alu 0xfffd
	v_add_co_ci_u32_e64 v65, null, s27, v65, vcc_lo
	v_add_f64_e32 v[10:11], v[10:11], v[86:87]
	global_load_b64 v[86:87], v[64:65], off
	s_wait_dscnt 0x0
	v_fma_f64 v[12:13], v[70:71], v[82:83], v[12:13]
	ds_bpermute_b32 v70, v36, v8
	ds_bpermute_b32 v71, v36, v9
	;; [unrolled: 1-line block ×4, first 2 shown]
	s_wait_loadcnt 0x10
	v_mul_f64_e32 v[54:55], v[78:79], v[54:55]
	v_add_f64_e32 v[10:11], v[10:11], v[78:79]
	ds_bpermute_b32 v78, v36, v6
	s_wait_loadcnt_dscnt 0xf03
	v_add_f64_e64 v[56:57], v[56:57], -v[70:71]
	global_load_b64 v[70:71], v[48:49], off
	v_add_co_u32 v48, vcc_lo, v48, s26
	s_wait_alu 0xfffd
	v_add_co_ci_u32_e64 v49, null, s27, v49, vcc_lo
	v_add_co_u32 v64, vcc_lo, v64, s26
	s_wait_alu 0xfffd
	v_add_co_ci_u32_e64 v65, null, s27, v65, vcc_lo
	ds_bpermute_b32 v79, v36, v7
	s_wait_dscnt 0x2
	v_fma_f64 v[12:13], v[54:55], v[82:83], v[12:13]
	ds_bpermute_b32 v54, v37, v8
	ds_bpermute_b32 v55, v37, v9
	global_load_b64 v[82:83], v[48:49], off
	v_add_co_u32 v48, vcc_lo, v48, s26
	s_wait_alu 0xfffd
	v_add_co_ci_u32_e64 v49, null, s27, v49, vcc_lo
	s_wait_loadcnt 0xf
	v_add_f64_e32 v[10:11], v[10:11], v[68:69]
	v_mul_f64_e32 v[56:57], v[68:69], v[56:57]
	ds_bpermute_b32 v68, v37, v6
	ds_bpermute_b32 v69, v37, v7
	s_wait_dscnt 0x2
	v_add_f64_e64 v[54:55], v[74:75], -v[54:55]
	global_load_b64 v[74:75], v[64:65], off
	v_add_co_u32 v64, vcc_lo, v64, s26
	s_wait_alu 0xfffd
	v_add_co_ci_u32_e64 v65, null, s27, v65, vcc_lo
	v_fma_f64 v[12:13], v[56:57], v[78:79], v[12:13]
	ds_bpermute_b32 v56, v38, v8
	ds_bpermute_b32 v57, v38, v9
	global_load_b64 v[48:49], v[48:49], off
	global_load_b64 v[78:79], v[64:65], off
	v_add_co_u32 v64, vcc_lo, v64, s26
	s_wait_alu 0xfffd
	v_add_co_ci_u32_e64 v65, null, s27, v65, vcc_lo
	v_add_co_u32 v0, vcc_lo, v0, s22
	s_wait_alu 0xfffd
	v_add_co_ci_u32_e64 v47, null, s23, v47, vcc_lo
	global_load_b64 v[64:65], v[64:65], off
	v_add_co_u32 v4, vcc_lo, v4, s24
	s_wait_alu 0xfffd
	v_add_co_ci_u32_e64 v5, null, s25, v5, vcc_lo
	v_add_co_u32 v2, vcc_lo, v2, s20
	s_wait_alu 0xfffd
	v_add_co_ci_u32_e64 v3, null, 0, v3, vcc_lo
	s_and_b32 vcc_lo, exec_lo, s28
	s_wait_loadcnt_dscnt 0x1200
	v_add_f64_e64 v[56:57], v[58:59], -v[56:57]
	s_wait_loadcnt 0x11
	v_mul_f64_e32 v[54:55], v[72:73], v[54:55]
	ds_bpermute_b32 v58, v39, v8
	ds_bpermute_b32 v59, v39, v9
	v_add_f64_e32 v[10:11], v[10:11], v[72:73]
	s_wait_loadcnt_dscnt 0x1000
	v_add_f64_e64 v[58:59], v[60:61], -v[58:59]
	ds_bpermute_b32 v60, v38, v6
	ds_bpermute_b32 v61, v38, v7
	v_fma_f64 v[12:13], v[54:55], v[68:69], v[12:13]
	s_wait_loadcnt 0xf
	v_mul_f64_e32 v[56:57], v[66:67], v[56:57]
	ds_bpermute_b32 v54, v40, v8
	ds_bpermute_b32 v55, v40, v9
	v_add_f64_e32 v[10:11], v[10:11], v[66:67]
	s_wait_loadcnt_dscnt 0xe00
	v_add_f64_e64 v[54:55], v[88:89], -v[54:55]
	v_fma_f64 v[12:13], v[56:57], v[60:61], v[12:13]
	s_wait_loadcnt 0xd
	v_mul_f64_e32 v[58:59], v[62:63], v[58:59]
	ds_bpermute_b32 v56, v41, v8
	ds_bpermute_b32 v57, v41, v9
	;; [unrolled: 1-line block ×4, first 2 shown]
	v_add_f64_e32 v[10:11], v[10:11], v[62:63]
	s_wait_loadcnt_dscnt 0xc02
	v_add_f64_e64 v[56:57], v[90:91], -v[56:57]
	s_wait_loadcnt 0xb
	v_mul_f64_e32 v[54:55], v[76:77], v[54:55]
	s_wait_dscnt 0x0
	v_fma_f64 v[12:13], v[58:59], v[60:61], v[12:13]
	ds_bpermute_b32 v58, v42, v8
	ds_bpermute_b32 v59, v42, v9
	;; [unrolled: 1-line block ×4, first 2 shown]
	v_add_f64_e32 v[10:11], v[10:11], v[76:77]
	s_wait_loadcnt_dscnt 0xa02
	v_add_f64_e64 v[50:51], v[50:51], -v[58:59]
	ds_bpermute_b32 v58, v41, v6
	ds_bpermute_b32 v59, v41, v7
	s_wait_loadcnt 0x9
	v_mul_f64_e32 v[56:57], v[80:81], v[56:57]
	s_wait_dscnt 0x2
	v_fma_f64 v[12:13], v[54:55], v[60:61], v[12:13]
	ds_bpermute_b32 v54, v43, v8
	ds_bpermute_b32 v55, v43, v9
	v_add_f64_e32 v[10:11], v[10:11], v[80:81]
	s_wait_loadcnt_dscnt 0x700
	v_add_f64_e64 v[54:55], v[84:85], -v[54:55]
	v_mul_f64_e32 v[50:51], v[52:53], v[50:51]
	v_fma_f64 v[12:13], v[56:57], v[58:59], v[12:13]
	ds_bpermute_b32 v56, v44, v8
	ds_bpermute_b32 v57, v44, v9
	ds_bpermute_b32 v58, v42, v6
	ds_bpermute_b32 v59, v42, v7
	v_add_f64_e32 v[10:11], v[10:11], v[52:53]
	ds_bpermute_b32 v52, v43, v6
	ds_bpermute_b32 v53, v43, v7
	s_wait_loadcnt 0x6
	v_mul_f64_e32 v[54:55], v[86:87], v[54:55]
	s_wait_loadcnt_dscnt 0x504
	v_add_f64_e64 v[56:57], v[70:71], -v[56:57]
	s_wait_dscnt 0x2
	v_fma_f64 v[12:13], v[50:51], v[58:59], v[12:13]
	ds_bpermute_b32 v50, v45, v8
	ds_bpermute_b32 v51, v45, v9
	;; [unrolled: 1-line block ×4, first 2 shown]
	v_add_f64_e32 v[10:11], v[10:11], v[86:87]
	s_wait_loadcnt_dscnt 0x402
	v_add_f64_e64 v[50:51], v[82:83], -v[50:51]
	v_fma_f64 v[12:13], v[54:55], v[52:53], v[12:13]
	s_wait_loadcnt 0x3
	v_mul_f64_e32 v[56:57], v[74:75], v[56:57]
	ds_bpermute_b32 v52, v44, v6
	ds_bpermute_b32 v53, v44, v7
	v_add_f64_e32 v[10:11], v[10:11], v[74:75]
	s_wait_loadcnt_dscnt 0x202
	v_add_f64_e64 v[8:9], v[48:49], -v[8:9]
	s_wait_loadcnt 0x1
	v_mul_f64_e32 v[48:49], v[78:79], v[50:51]
	ds_bpermute_b32 v50, v45, v6
	ds_bpermute_b32 v51, v45, v7
	;; [unrolled: 1-line block ×4, first 2 shown]
	s_wait_dscnt 0x4
	v_fma_f64 v[12:13], v[56:57], v[52:53], v[12:13]
	v_add_f64_e32 v[10:11], v[10:11], v[78:79]
	s_wait_loadcnt 0x0
	v_mul_f64_e32 v[8:9], v[64:65], v[8:9]
	s_wait_dscnt 0x2
	s_delay_alu instid0(VALU_DEP_3) | instskip(NEXT) | instid1(VALU_DEP_3)
	v_fma_f64 v[12:13], v[48:49], v[50:51], v[12:13]
	v_add_f64_e32 v[10:11], v[10:11], v[64:65]
	s_wait_dscnt 0x0
	s_delay_alu instid0(VALU_DEP_2)
	v_fma_f64 v[12:13], v[8:9], v[6:7], v[12:13]
	s_wait_alu 0xfffe
	s_cbranch_vccz .LBB37_8
.LBB37_6:                               ; =>This Inner Loop Header: Depth=1
	v_mov_b32_e32 v6, 0
	v_dual_mov_b32 v7, 0 :: v_dual_mov_b32 v8, 0
	v_mov_b32_e32 v9, 0
	s_mov_b32 s28, exec_lo
	v_cmpx_gt_i64_e64 s[8:9], v[2:3]
	s_cbranch_execz .LBB37_5
; %bb.7:                                ;   in Loop: Header=BB37_6 Depth=1
	v_add_co_u32 v6, vcc_lo, s4, v4
	s_wait_alu 0xfffd
	v_add_co_ci_u32_e64 v7, null, s5, v5, vcc_lo
	v_add_co_u32 v48, vcc_lo, s6, v4
	s_wait_alu 0xfffd
	v_add_co_ci_u32_e64 v49, null, s7, v5, vcc_lo
	global_load_b64 v[8:9], v[6:7], off
	global_load_b64 v[6:7], v[48:49], off
	s_branch .LBB37_5
.LBB37_8:
	v_mov_b32_e32 v1, v14
	s_mov_b64 s[2:3], s[18:19]
.LBB37_9:
	s_load_u16 s2, s[2:3], 0xe
	v_mov_b32_e32 v2, 0
	s_mov_b32 s0, ttmp9
	s_mov_b32 s1, 0
	s_wait_alu 0xfffe
	s_lshl_b64 s[0:1], s[0:1], 5
	s_wait_kmcnt 0x0
	s_cmp_eq_u64 s[12:13], 0
	s_wait_alu 0xfffe
	v_add_co_u32 v0, s0, s0, v15
	s_wait_alu 0xf1ff
	v_mad_co_u64_u32 v[2:3], null, s2, ttmp7, v[1:2]
	v_add_co_ci_u32_e64 v1, null, s1, 0, s0
	s_delay_alu instid0(VALU_DEP_1) | instskip(NEXT) | instid1(VALU_DEP_3)
	v_lshlrev_b64_e32 v[0:1], 3, v[0:1]
	v_mul_lo_u32 v3, v3, s10
	s_delay_alu instid0(VALU_DEP_4)
	v_mul_lo_u32 v4, v2, s11
	s_cbranch_scc1 .LBB37_11
; %bb.10:
	v_mad_co_u64_u32 v[5:6], null, v2, s10, 0
	s_delay_alu instid0(VALU_DEP_1) | instskip(NEXT) | instid1(VALU_DEP_1)
	v_add3_u32 v6, v6, v4, v3
	v_lshlrev_b64_e32 v[5:6], 3, v[5:6]
	s_delay_alu instid0(VALU_DEP_1) | instskip(SKIP_1) | instid1(VALU_DEP_2)
	v_add_co_u32 v5, vcc_lo, s12, v5
	s_wait_alu 0xfffd
	v_add_co_ci_u32_e64 v6, null, s13, v6, vcc_lo
	s_delay_alu instid0(VALU_DEP_2) | instskip(SKIP_1) | instid1(VALU_DEP_2)
	v_add_co_u32 v5, vcc_lo, v5, v0
	s_wait_alu 0xfffd
	v_add_co_ci_u32_e64 v6, null, v6, v1, vcc_lo
	global_store_b64 v[5:6], v[12:13], off
.LBB37_11:
	s_cmp_eq_u64 s[14:15], 0
	s_cbranch_scc1 .LBB37_13
; %bb.12:
	v_mad_co_u64_u32 v[5:6], null, v2, s10, 0
	s_delay_alu instid0(VALU_DEP_1) | instskip(NEXT) | instid1(VALU_DEP_1)
	v_add3_u32 v6, v6, v4, v3
	v_lshlrev_b64_e32 v[2:3], 3, v[5:6]
	s_delay_alu instid0(VALU_DEP_1) | instskip(SKIP_1) | instid1(VALU_DEP_2)
	v_add_co_u32 v2, vcc_lo, s14, v2
	s_wait_alu 0xfffd
	v_add_co_ci_u32_e64 v3, null, s15, v3, vcc_lo
	s_delay_alu instid0(VALU_DEP_2) | instskip(SKIP_1) | instid1(VALU_DEP_2)
	v_add_co_u32 v0, vcc_lo, v2, v0
	s_wait_alu 0xfffd
	v_add_co_ci_u32_e64 v1, null, v3, v1, vcc_lo
	global_store_b64 v[0:1], v[10:11], off
.LBB37_13:
	s_endpgm
	.section	.rodata,"a",@progbits
	.p2align	6, 0x0
	.amdhsa_kernel _ZN2at6native12_GLOBAL__N_135GammaBetaBackwardCUDAKernelTemplateIddLj32ELj1ELj32ELb1ELb1ELb0EEEvllPKT_S5_PKT0_S8_PS3_S9_
		.amdhsa_group_segment_fixed_size 0
		.amdhsa_private_segment_fixed_size 0
		.amdhsa_kernarg_size 320
		.amdhsa_user_sgpr_count 2
		.amdhsa_user_sgpr_dispatch_ptr 0
		.amdhsa_user_sgpr_queue_ptr 0
		.amdhsa_user_sgpr_kernarg_segment_ptr 1
		.amdhsa_user_sgpr_dispatch_id 0
		.amdhsa_user_sgpr_private_segment_size 0
		.amdhsa_wavefront_size32 1
		.amdhsa_uses_dynamic_stack 0
		.amdhsa_enable_private_segment 0
		.amdhsa_system_sgpr_workgroup_id_x 1
		.amdhsa_system_sgpr_workgroup_id_y 1
		.amdhsa_system_sgpr_workgroup_id_z 0
		.amdhsa_system_sgpr_workgroup_info 0
		.amdhsa_system_vgpr_workitem_id 1
		.amdhsa_next_free_vgpr 92
		.amdhsa_next_free_sgpr 29
		.amdhsa_reserve_vcc 1
		.amdhsa_float_round_mode_32 0
		.amdhsa_float_round_mode_16_64 0
		.amdhsa_float_denorm_mode_32 3
		.amdhsa_float_denorm_mode_16_64 3
		.amdhsa_fp16_overflow 0
		.amdhsa_workgroup_processor_mode 1
		.amdhsa_memory_ordered 1
		.amdhsa_forward_progress 1
		.amdhsa_inst_pref_size 41
		.amdhsa_round_robin_scheduling 0
		.amdhsa_exception_fp_ieee_invalid_op 0
		.amdhsa_exception_fp_denorm_src 0
		.amdhsa_exception_fp_ieee_div_zero 0
		.amdhsa_exception_fp_ieee_overflow 0
		.amdhsa_exception_fp_ieee_underflow 0
		.amdhsa_exception_fp_ieee_inexact 0
		.amdhsa_exception_int_div_zero 0
	.end_amdhsa_kernel
	.section	.text._ZN2at6native12_GLOBAL__N_135GammaBetaBackwardCUDAKernelTemplateIddLj32ELj1ELj32ELb1ELb1ELb0EEEvllPKT_S5_PKT0_S8_PS3_S9_,"axG",@progbits,_ZN2at6native12_GLOBAL__N_135GammaBetaBackwardCUDAKernelTemplateIddLj32ELj1ELj32ELb1ELb1ELb0EEEvllPKT_S5_PKT0_S8_PS3_S9_,comdat
.Lfunc_end37:
	.size	_ZN2at6native12_GLOBAL__N_135GammaBetaBackwardCUDAKernelTemplateIddLj32ELj1ELj32ELb1ELb1ELb0EEEvllPKT_S5_PKT0_S8_PS3_S9_, .Lfunc_end37-_ZN2at6native12_GLOBAL__N_135GammaBetaBackwardCUDAKernelTemplateIddLj32ELj1ELj32ELb1ELb1ELb0EEEvllPKT_S5_PKT0_S8_PS3_S9_
                                        ; -- End function
	.set _ZN2at6native12_GLOBAL__N_135GammaBetaBackwardCUDAKernelTemplateIddLj32ELj1ELj32ELb1ELb1ELb0EEEvllPKT_S5_PKT0_S8_PS3_S9_.num_vgpr, 92
	.set _ZN2at6native12_GLOBAL__N_135GammaBetaBackwardCUDAKernelTemplateIddLj32ELj1ELj32ELb1ELb1ELb0EEEvllPKT_S5_PKT0_S8_PS3_S9_.num_agpr, 0
	.set _ZN2at6native12_GLOBAL__N_135GammaBetaBackwardCUDAKernelTemplateIddLj32ELj1ELj32ELb1ELb1ELb0EEEvllPKT_S5_PKT0_S8_PS3_S9_.numbered_sgpr, 29
	.set _ZN2at6native12_GLOBAL__N_135GammaBetaBackwardCUDAKernelTemplateIddLj32ELj1ELj32ELb1ELb1ELb0EEEvllPKT_S5_PKT0_S8_PS3_S9_.num_named_barrier, 0
	.set _ZN2at6native12_GLOBAL__N_135GammaBetaBackwardCUDAKernelTemplateIddLj32ELj1ELj32ELb1ELb1ELb0EEEvllPKT_S5_PKT0_S8_PS3_S9_.private_seg_size, 0
	.set _ZN2at6native12_GLOBAL__N_135GammaBetaBackwardCUDAKernelTemplateIddLj32ELj1ELj32ELb1ELb1ELb0EEEvllPKT_S5_PKT0_S8_PS3_S9_.uses_vcc, 1
	.set _ZN2at6native12_GLOBAL__N_135GammaBetaBackwardCUDAKernelTemplateIddLj32ELj1ELj32ELb1ELb1ELb0EEEvllPKT_S5_PKT0_S8_PS3_S9_.uses_flat_scratch, 0
	.set _ZN2at6native12_GLOBAL__N_135GammaBetaBackwardCUDAKernelTemplateIddLj32ELj1ELj32ELb1ELb1ELb0EEEvllPKT_S5_PKT0_S8_PS3_S9_.has_dyn_sized_stack, 0
	.set _ZN2at6native12_GLOBAL__N_135GammaBetaBackwardCUDAKernelTemplateIddLj32ELj1ELj32ELb1ELb1ELb0EEEvllPKT_S5_PKT0_S8_PS3_S9_.has_recursion, 0
	.set _ZN2at6native12_GLOBAL__N_135GammaBetaBackwardCUDAKernelTemplateIddLj32ELj1ELj32ELb1ELb1ELb0EEEvllPKT_S5_PKT0_S8_PS3_S9_.has_indirect_call, 0
	.section	.AMDGPU.csdata,"",@progbits
; Kernel info:
; codeLenInByte = 5176
; TotalNumSgprs: 31
; NumVgprs: 92
; ScratchSize: 0
; MemoryBound: 0
; FloatMode: 240
; IeeeMode: 1
; LDSByteSize: 0 bytes/workgroup (compile time only)
; SGPRBlocks: 0
; VGPRBlocks: 11
; NumSGPRsForWavesPerEU: 31
; NumVGPRsForWavesPerEU: 92
; Occupancy: 16
; WaveLimiterHint : 0
; COMPUTE_PGM_RSRC2:SCRATCH_EN: 0
; COMPUTE_PGM_RSRC2:USER_SGPR: 2
; COMPUTE_PGM_RSRC2:TRAP_HANDLER: 0
; COMPUTE_PGM_RSRC2:TGID_X_EN: 1
; COMPUTE_PGM_RSRC2:TGID_Y_EN: 1
; COMPUTE_PGM_RSRC2:TGID_Z_EN: 0
; COMPUTE_PGM_RSRC2:TIDIG_COMP_CNT: 1
	.section	.text._ZN2at6native12_GLOBAL__N_135GammaBetaBackwardCUDAKernelTemplateIddLj32ELj1ELj32ELb1ELb0ELb0EEEvllPKT_S5_PKT0_S8_PS3_S9_,"axG",@progbits,_ZN2at6native12_GLOBAL__N_135GammaBetaBackwardCUDAKernelTemplateIddLj32ELj1ELj32ELb1ELb0ELb0EEEvllPKT_S5_PKT0_S8_PS3_S9_,comdat
	.globl	_ZN2at6native12_GLOBAL__N_135GammaBetaBackwardCUDAKernelTemplateIddLj32ELj1ELj32ELb1ELb0ELb0EEEvllPKT_S5_PKT0_S8_PS3_S9_ ; -- Begin function _ZN2at6native12_GLOBAL__N_135GammaBetaBackwardCUDAKernelTemplateIddLj32ELj1ELj32ELb1ELb0ELb0EEEvllPKT_S5_PKT0_S8_PS3_S9_
	.p2align	8
	.type	_ZN2at6native12_GLOBAL__N_135GammaBetaBackwardCUDAKernelTemplateIddLj32ELj1ELj32ELb1ELb0ELb0EEEvllPKT_S5_PKT0_S8_PS3_S9_,@function
_ZN2at6native12_GLOBAL__N_135GammaBetaBackwardCUDAKernelTemplateIddLj32ELj1ELj32ELb1ELb0ELb0EEEvllPKT_S5_PKT0_S8_PS3_S9_: ; @_ZN2at6native12_GLOBAL__N_135GammaBetaBackwardCUDAKernelTemplateIddLj32ELj1ELj32ELb1ELb0ELb0EEEvllPKT_S5_PKT0_S8_PS3_S9_
; %bb.0:
	s_clause 0x1
	s_load_b256 s[4:11], s[0:1], 0x0
	s_load_b128 s[12:15], s[0:1], 0x20
	s_lshl_b32 s30, ttmp9, 5
	s_mov_b32 s17, 0
	s_or_b32 s16, s30, 31
	s_wait_kmcnt 0x0
	v_cmp_le_i64_e64 s2, s[6:7], s[16:17]
	s_lshl_b32 s16, ttmp7, 5
	s_wait_alu 0xfffe
	v_cmp_gt_i64_e64 s31, s[4:5], s[16:17]
	s_and_b32 vcc_lo, exec_lo, s2
	v_cndmask_b32_e64 v1, 0, 1, s31
	s_delay_alu instid0(VALU_DEP_1)
	v_cmp_ne_u32_e64 s2, 1, v1
	s_cbranch_vccz .LBB38_140
; %bb.1:
	v_mov_b32_e32 v1, 0
	v_mov_b32_e32 v2, 0
	s_and_b32 vcc_lo, exec_lo, s2
	scratch_store_b64 off, v[1:2], off      ; 8-byte Folded Spill
	v_mov_b32_e32 v1, 0
	v_mov_b32_e32 v2, 0
	scratch_store_b64 off, v[1:2], off offset:8 ; 8-byte Folded Spill
	s_cbranch_vccnz .LBB38_142
; %bb.2:
	v_bfe_u32 v1, v0, 10, 10
	s_load_b32 s3, s[0:1], 0x44
	s_mov_b32 s19, 0
	s_add_nc_u64 s[20:21], s[0:1], 64
	s_mov_b32 s23, s19
	v_dual_mov_b32 v5, 0 :: v_dual_lshlrev_b32 v140, 5, v1
	s_clause 0x1
	scratch_store_b32 off, v1, off offset:76
	scratch_store_b32 off, v0, off offset:604
	v_and_b32_e32 v1, 0x3ff, v0
	v_add_co_u32 v0, s2, v140, s16
	s_delay_alu instid0(VALU_DEP_1)
	v_add_co_ci_u32_e64 v8, null, 0, 0, s2
	v_mov_b32_e32 v142, v5
	scratch_store_b32 off, v1, off offset:80 ; 4-byte Folded Spill
	v_add_nc_u32_e32 v4, s30, v1
	v_mul_lo_u32 v3, s7, v0
	v_mul_lo_u32 v6, s6, v8
	v_mad_co_u64_u32 v[1:2], null, s6, v0, 0
	s_delay_alu instid0(VALU_DEP_4) | instskip(SKIP_1) | instid1(VALU_DEP_1)
	v_cmp_gt_i64_e64 s2, s[6:7], v[4:5]
	v_add_co_u32 v9, vcc_lo, v0, 31
	v_add_co_ci_u32_e64 v10, null, 0, v8, vcc_lo
	v_add_co_u32 v11, vcc_lo, v0, 30
	v_add3_u32 v2, v2, v6, v3
	v_lshlrev_b64_e32 v[6:7], 3, v[4:5]
	s_wait_alu 0xfffd
	v_add_co_ci_u32_e64 v12, null, 0, v8, vcc_lo
	v_mul_lo_u32 v13, s7, v9
	v_lshlrev_b64_e32 v[3:4], 3, v[1:2]
	v_mul_lo_u32 v14, s6, v10
	v_mad_co_u64_u32 v[9:10], null, s6, v9, 0
	v_mul_lo_u32 v16, s6, v12
	s_wait_kmcnt 0x0
	s_lshl_b32 s22, s3, 5
	v_add_co_u32 v15, vcc_lo, s8, v3
	s_mul_u64 s[24:25], s[6:7], s[22:23]
	s_mov_b64 s[26:27], 31
	v_add3_u32 v10, v10, v14, v13
	scratch_store_b32 off, v15, off offset:16 ; 4-byte Folded Spill
	s_wait_alu 0xfffd
	v_add_co_ci_u32_e64 v15, null, s9, v4, vcc_lo
	v_add_co_u32 v3, vcc_lo, s10, v3
	s_lshl_b64 s[24:25], s[24:25], 3
	scratch_store_b32 off, v15, off offset:20 ; 4-byte Folded Spill
	v_mul_lo_u32 v15, s7, v11
	scratch_store_b32 off, v3, off offset:24 ; 4-byte Folded Spill
	s_wait_alu 0xfffd
	v_add_co_ci_u32_e64 v3, null, s11, v4, vcc_lo
	v_mad_co_u64_u32 v[11:12], null, s6, v11, 0
	v_add_co_u32 v13, vcc_lo, v0, 29
	scratch_store_b32 off, v3, off offset:28 ; 4-byte Folded Spill
	v_lshlrev_b64_e32 v[3:4], 3, v[9:10]
	s_wait_alu 0xfffd
	v_add_co_ci_u32_e64 v14, null, 0, v8, vcc_lo
	v_add3_u32 v12, v12, v16, v15
	v_mul_lo_u32 v15, s7, v13
	s_mov_b64 s[28:29], s[16:17]
	v_add_co_u32 v9, vcc_lo, s8, v3
	v_mul_lo_u32 v14, s6, v14
	scratch_store_b32 off, v9, off offset:32 ; 4-byte Folded Spill
	s_wait_alu 0xfffd
	v_add_co_ci_u32_e64 v9, null, s9, v4, vcc_lo
	v_add_co_u32 v3, vcc_lo, s10, v3
	scratch_store_b32 off, v9, off offset:36 ; 4-byte Folded Spill
	v_lshlrev_b64_e32 v[9:10], 3, v[11:12]
	scratch_store_b32 off, v3, off offset:40 ; 4-byte Folded Spill
	s_wait_alu 0xfffd
	v_add_co_ci_u32_e64 v3, null, s11, v4, vcc_lo
	v_mad_co_u64_u32 v[11:12], null, s6, v13, 0
	scratch_store_b32 off, v3, off offset:44 ; 4-byte Folded Spill
	v_add_co_u32 v3, vcc_lo, s8, v9
	v_add3_u32 v12, v12, v14, v15
	scratch_store_b32 off, v3, off offset:48 ; 4-byte Folded Spill
	s_wait_alu 0xfffd
	v_add_co_ci_u32_e64 v3, null, s9, v10, vcc_lo
	v_add_co_u32 v13, vcc_lo, v0, 28
	scratch_store_b32 off, v3, off offset:52 ; 4-byte Folded Spill
	v_add_co_u32 v3, s3, s10, v9
	s_wait_alu 0xfffd
	v_add_co_ci_u32_e64 v9, null, 0, v8, vcc_lo
	v_mul_lo_u32 v14, s7, v13
	scratch_store_b32 off, v3, off offset:56 ; 4-byte Folded Spill
	s_wait_alu 0xf1ff
	v_add_co_ci_u32_e64 v3, null, s11, v10, s3
	v_mul_lo_u32 v15, s6, v9
	v_mad_co_u64_u32 v[9:10], null, s6, v13, 0
	scratch_store_b32 off, v3, off offset:60 ; 4-byte Folded Spill
	v_lshlrev_b64_e32 v[3:4], 3, v[11:12]
	v_add_co_u32 v11, vcc_lo, v0, 27
	s_wait_alu 0xfffd
	v_add_co_ci_u32_e64 v12, null, 0, v8, vcc_lo
	v_add3_u32 v10, v10, v15, v14
	s_delay_alu instid0(VALU_DEP_3) | instskip(SKIP_1) | instid1(VALU_DEP_4)
	v_mul_lo_u32 v13, s7, v11
	v_add_co_u32 v17, vcc_lo, s8, v3
	v_mul_lo_u32 v16, s6, v12
	v_mad_co_u64_u32 v[11:12], null, s6, v11, 0
	s_wait_alu 0xfffd
	v_add_co_ci_u32_e64 v156, null, s9, v4, vcc_lo
	v_add_co_u32 v157, vcc_lo, s10, v3
	s_wait_alu 0xfffd
	v_add_co_ci_u32_e64 v158, null, s11, v4, vcc_lo
	s_delay_alu instid0(VALU_DEP_4)
	v_add3_u32 v12, v12, v16, v13
	v_add_co_u32 v13, vcc_lo, v0, 26
	s_wait_alu 0xfffd
	v_add_co_ci_u32_e64 v14, null, 0, v8, vcc_lo
	v_lshlrev_b64_e32 v[3:4], 3, v[9:10]
	v_lshlrev_b64_e32 v[9:10], 3, v[11:12]
	v_mul_lo_u32 v15, s7, v13
	s_delay_alu instid0(VALU_DEP_4)
	v_mul_lo_u32 v14, s6, v14
	v_mad_co_u64_u32 v[11:12], null, s6, v13, 0
	v_add_co_u32 v159, vcc_lo, s8, v3
	s_wait_alu 0xfffd
	v_add_co_ci_u32_e64 v160, null, s9, v4, vcc_lo
	v_add_co_u32 v161, vcc_lo, s10, v3
	s_delay_alu instid0(VALU_DEP_4)
	v_add3_u32 v12, v12, v14, v15
	s_wait_alu 0xfffd
	v_add_co_ci_u32_e64 v162, null, s11, v4, vcc_lo
	v_add_co_u32 v163, vcc_lo, s8, v9
	s_wait_alu 0xfffd
	v_add_co_ci_u32_e64 v164, null, s9, v10, vcc_lo
	v_add_co_u32 v13, vcc_lo, v0, 25
	v_add_co_u32 v165, s3, s10, v9
	v_lshlrev_b64_e32 v[3:4], 3, v[11:12]
	s_wait_alu 0xfffd
	v_add_co_ci_u32_e64 v9, null, 0, v8, vcc_lo
	v_add_co_u32 v11, vcc_lo, v0, 24
	s_wait_alu 0xfffd
	v_add_co_ci_u32_e64 v12, null, 0, v8, vcc_lo
	s_wait_alu 0xf1ff
	v_add_co_ci_u32_e64 v166, null, s11, v10, s3
	v_mul_lo_u32 v14, s7, v13
	v_mul_lo_u32 v15, s6, v9
	v_mad_co_u64_u32 v[9:10], null, s6, v13, 0
	v_mul_lo_u32 v13, s7, v11
	v_mul_lo_u32 v16, s6, v12
	v_mad_co_u64_u32 v[11:12], null, s6, v11, 0
	v_add_co_u32 v167, vcc_lo, s8, v3
	s_wait_alu 0xfffd
	v_add_co_ci_u32_e64 v168, null, s9, v4, vcc_lo
	v_add3_u32 v10, v10, v15, v14
	v_add_co_u32 v169, vcc_lo, s10, v3
	s_wait_alu 0xfffd
	v_add_co_ci_u32_e64 v170, null, s11, v4, vcc_lo
	v_add3_u32 v12, v12, v16, v13
	v_add_co_u32 v13, vcc_lo, v0, 23
	s_wait_alu 0xfffd
	v_add_co_ci_u32_e64 v14, null, 0, v8, vcc_lo
	v_lshlrev_b64_e32 v[3:4], 3, v[9:10]
	v_lshlrev_b64_e32 v[9:10], 3, v[11:12]
	v_mul_lo_u32 v15, s7, v13
	s_delay_alu instid0(VALU_DEP_4)
	v_mul_lo_u32 v14, s6, v14
	v_mad_co_u64_u32 v[11:12], null, s6, v13, 0
	v_add_co_u32 v171, vcc_lo, s8, v3
	s_wait_alu 0xfffd
	v_add_co_ci_u32_e64 v172, null, s9, v4, vcc_lo
	v_add_co_u32 v173, vcc_lo, s10, v3
	s_wait_alu 0xfffd
	v_add_co_ci_u32_e64 v174, null, s11, v4, vcc_lo
	;; [unrolled: 3-line block ×3, first 2 shown]
	v_add3_u32 v12, v12, v14, v15
	v_add_co_u32 v3, vcc_lo, v0, 22
	s_wait_alu 0xfffd
	v_add_co_ci_u32_e64 v4, null, 0, v8, vcc_lo
	v_add_co_u32 v13, vcc_lo, v0, 21
	v_add_co_u32 v177, s3, s10, v9
	s_wait_alu 0xfffd
	v_add_co_ci_u32_e64 v14, null, 0, v8, vcc_lo
	s_wait_alu 0xf1ff
	v_add_co_ci_u32_e64 v178, null, s11, v10, s3
	v_lshlrev_b64_e32 v[9:10], 3, v[11:12]
	v_mul_lo_u32 v15, s7, v3
	v_mul_lo_u32 v16, s6, v4
	v_mad_co_u64_u32 v[11:12], null, s6, v3, 0
	scratch_store_b32 off, v17, off offset:64 ; 4-byte Folded Spill
	v_mul_lo_u32 v17, s7, v13
	v_mul_lo_u32 v18, s6, v14
	v_mad_co_u64_u32 v[13:14], null, s6, v13, 0
	v_add_co_u32 v3, vcc_lo, s8, v9
	s_wait_alu 0xfffd
	v_add_co_ci_u32_e64 v4, null, s9, v10, vcc_lo
	v_add_co_u32 v179, vcc_lo, s10, v9
	v_add3_u32 v12, v12, v16, v15
	s_wait_alu 0xfffd
	v_add_co_ci_u32_e64 v180, null, s11, v10, vcc_lo
	v_add_co_u32 v15, vcc_lo, v0, 20
	v_add3_u32 v14, v14, v18, v17
	s_wait_alu 0xfffd
	v_add_co_ci_u32_e64 v16, null, 0, v8, vcc_lo
	v_lshlrev_b64_e32 v[9:10], 3, v[11:12]
	v_mul_lo_u32 v17, s7, v15
	v_lshlrev_b64_e32 v[11:12], 3, v[13:14]
	s_delay_alu instid0(VALU_DEP_4)
	v_mul_lo_u32 v16, s6, v16
	v_mad_co_u64_u32 v[13:14], null, s6, v15, 0
	v_add_co_u32 v181, vcc_lo, s8, v9
	s_wait_alu 0xfffd
	v_add_co_ci_u32_e64 v182, null, s9, v10, vcc_lo
	v_add_co_u32 v183, vcc_lo, s10, v9
	s_delay_alu instid0(VALU_DEP_4)
	v_add3_u32 v14, v14, v16, v17
	s_wait_alu 0xfffd
	v_add_co_ci_u32_e64 v184, null, s11, v10, vcc_lo
	v_add_co_u32 v185, vcc_lo, s8, v11
	s_wait_alu 0xfffd
	v_add_co_ci_u32_e64 v186, null, s9, v12, vcc_lo
	v_add_co_u32 v15, vcc_lo, v0, 19
	v_add_co_u32 v187, s3, s10, v11
	v_lshlrev_b64_e32 v[9:10], 3, v[13:14]
	s_wait_alu 0xfffd
	v_add_co_ci_u32_e64 v11, null, 0, v8, vcc_lo
	v_add_co_u32 v13, vcc_lo, v0, 18
	s_wait_alu 0xfffd
	v_add_co_ci_u32_e64 v14, null, 0, v8, vcc_lo
	s_wait_alu 0xf1ff
	v_add_co_ci_u32_e64 v188, null, s11, v12, s3
	v_mul_lo_u32 v16, s7, v15
	v_mul_lo_u32 v17, s6, v11
	v_mad_co_u64_u32 v[11:12], null, s6, v15, 0
	v_mul_lo_u32 v15, s7, v13
	v_mul_lo_u32 v18, s6, v14
	v_mad_co_u64_u32 v[13:14], null, s6, v13, 0
	v_add_co_u32 v189, vcc_lo, s8, v9
	s_wait_alu 0xfffd
	v_add_co_ci_u32_e64 v190, null, s9, v10, vcc_lo
	v_add_co_u32 v191, vcc_lo, s10, v9
	s_wait_alu 0xfffd
	v_add_co_ci_u32_e64 v192, null, s11, v10, vcc_lo
	v_add3_u32 v14, v14, v18, v15
	v_add_co_u32 v15, vcc_lo, v0, 17
	v_add3_u32 v12, v12, v17, v16
	s_wait_alu 0xfffd
	v_add_co_ci_u32_e64 v16, null, 0, v8, vcc_lo
	s_delay_alu instid0(VALU_DEP_3) | instskip(NEXT) | instid1(VALU_DEP_3)
	v_mul_lo_u32 v17, s7, v15
	v_lshlrev_b64_e32 v[9:10], 3, v[11:12]
	v_lshlrev_b64_e32 v[11:12], 3, v[13:14]
	s_delay_alu instid0(VALU_DEP_4) | instskip(SKIP_1) | instid1(VALU_DEP_4)
	v_mul_lo_u32 v16, s6, v16
	v_mad_co_u64_u32 v[13:14], null, s6, v15, 0
	v_add_co_u32 v193, vcc_lo, s8, v9
	s_wait_alu 0xfffd
	v_add_co_ci_u32_e64 v194, null, s9, v10, vcc_lo
	v_add_co_u32 v195, vcc_lo, s10, v9
	s_delay_alu instid0(VALU_DEP_4)
	v_add3_u32 v14, v14, v16, v17
	s_wait_alu 0xfffd
	v_add_co_ci_u32_e64 v196, null, s11, v10, vcc_lo
	v_add_co_u32 v197, vcc_lo, s8, v11
	s_wait_alu 0xfffd
	v_add_co_ci_u32_e64 v198, null, s9, v12, vcc_lo
	v_add_co_u32 v15, vcc_lo, v0, 16
	v_add_co_u32 v199, s3, s10, v11
	v_lshlrev_b64_e32 v[9:10], 3, v[13:14]
	s_wait_alu 0xfffd
	v_add_co_ci_u32_e64 v11, null, 0, v8, vcc_lo
	v_add_co_u32 v13, vcc_lo, v0, 15
	s_wait_alu 0xfffd
	v_add_co_ci_u32_e64 v14, null, 0, v8, vcc_lo
	s_wait_alu 0xf1ff
	v_add_co_ci_u32_e64 v200, null, s11, v12, s3
	v_mul_lo_u32 v16, s7, v15
	v_mul_lo_u32 v17, s6, v11
	v_mad_co_u64_u32 v[11:12], null, s6, v15, 0
	v_mul_lo_u32 v15, s7, v13
	v_mul_lo_u32 v18, s6, v14
	v_mad_co_u64_u32 v[13:14], null, s6, v13, 0
	v_add_co_u32 v201, vcc_lo, s8, v9
	s_wait_alu 0xfffd
	v_add_co_ci_u32_e64 v202, null, s9, v10, vcc_lo
	v_add_co_u32 v203, vcc_lo, s10, v9
	s_wait_alu 0xfffd
	v_add_co_ci_u32_e64 v204, null, s11, v10, vcc_lo
	v_add3_u32 v14, v14, v18, v15
	v_add_co_u32 v15, vcc_lo, v0, 14
	v_add3_u32 v12, v12, v17, v16
	s_wait_alu 0xfffd
	v_add_co_ci_u32_e64 v16, null, 0, v8, vcc_lo
	s_delay_alu instid0(VALU_DEP_3) | instskip(NEXT) | instid1(VALU_DEP_3)
	v_mul_lo_u32 v17, s7, v15
	v_lshlrev_b64_e32 v[9:10], 3, v[11:12]
	v_lshlrev_b64_e32 v[11:12], 3, v[13:14]
	s_delay_alu instid0(VALU_DEP_4) | instskip(SKIP_1) | instid1(VALU_DEP_4)
	;; [unrolled: 45-line block ×5, first 2 shown]
	v_mul_lo_u32 v16, s6, v16
	v_mad_co_u64_u32 v[13:14], null, s6, v15, 0
	v_add_co_u32 v241, vcc_lo, s8, v9
	s_wait_alu 0xfffd
	v_add_co_ci_u32_e64 v242, null, s9, v10, vcc_lo
	v_add_co_u32 v243, vcc_lo, s10, v9
	s_delay_alu instid0(VALU_DEP_4)
	v_add3_u32 v14, v14, v16, v17
	s_wait_alu 0xfffd
	v_add_co_ci_u32_e64 v244, null, s11, v10, vcc_lo
	v_add_co_u32 v245, vcc_lo, s8, v11
	s_wait_alu 0xfffd
	v_add_co_ci_u32_e64 v246, null, s9, v12, vcc_lo
	v_add_co_u32 v15, vcc_lo, v0, 4
	v_add_co_u32 v247, s3, s10, v11
	v_lshlrev_b64_e32 v[9:10], 3, v[13:14]
	s_wait_alu 0xfffd
	v_add_co_ci_u32_e64 v11, null, 0, v8, vcc_lo
	v_add_co_u32 v13, vcc_lo, v0, 3
	s_wait_alu 0xfffd
	v_add_co_ci_u32_e64 v14, null, 0, v8, vcc_lo
	s_wait_alu 0xf1ff
	v_add_co_ci_u32_e64 v248, null, s11, v12, s3
	v_mul_lo_u32 v16, s7, v15
	v_mul_lo_u32 v17, s6, v11
	v_mad_co_u64_u32 v[11:12], null, s6, v15, 0
	v_mul_lo_u32 v15, s7, v13
	v_mul_lo_u32 v18, s6, v14
	v_mad_co_u64_u32 v[13:14], null, s6, v13, 0
	v_add_co_u32 v249, vcc_lo, s8, v9
	s_wait_alu 0xfffd
	v_add_co_ci_u32_e64 v250, null, s9, v10, vcc_lo
	v_add_co_u32 v251, vcc_lo, s10, v9
	s_wait_alu 0xfffd
	v_add_co_ci_u32_e64 v252, null, s11, v10, vcc_lo
	v_add_co_u32 v0, vcc_lo, v0, 2
	v_add3_u32 v12, v12, v17, v16
	v_add3_u32 v14, v14, v18, v15
	s_wait_alu 0xfffd
	v_add_co_ci_u32_e64 v8, null, 0, v8, vcc_lo
	v_mul_lo_u32 v15, s7, v0
	v_lshlrev_b64_e32 v[9:10], 3, v[11:12]
	v_lshlrev_b64_e32 v[11:12], 3, v[13:14]
	s_delay_alu instid0(VALU_DEP_4) | instskip(SKIP_1) | instid1(VALU_DEP_4)
	v_mul_lo_u32 v8, s6, v8
	v_mad_co_u64_u32 v[13:14], null, s6, v0, 0
	v_add_co_u32 v253, vcc_lo, s8, v9
	s_wait_alu 0xfffd
	v_add_co_ci_u32_e64 v254, null, s9, v10, vcc_lo
	v_add_co_u32 v255, vcc_lo, s10, v9
	s_delay_alu instid0(VALU_DEP_4)
	v_add3_u32 v14, v14, v8, v15
	s_wait_alu 0xfffd
	v_add_co_ci_u32_e64 v0, null, s11, v10, vcc_lo
	v_add_co_u32 v141, vcc_lo, s8, v11
	s_wait_alu 0xfffd
	v_add_co_ci_u32_e64 v143, null, s9, v12, vcc_lo
	v_add_co_u32 v144, vcc_lo, s10, v11
	s_wait_alu 0xfffd
	v_add_co_ci_u32_e64 v145, null, s11, v12, vcc_lo
	v_lshlrev_b64_e32 v[8:9], 3, v[13:14]
	v_add_co_u32 v1, vcc_lo, v1, s6
	s_wait_alu 0xfffd
	v_add_co_ci_u32_e64 v2, null, s7, v2, vcc_lo
	s_delay_alu instid0(VALU_DEP_3) | instskip(NEXT) | instid1(VALU_DEP_2)
	v_add_co_u32 v146, vcc_lo, s8, v8
	v_lshlrev_b64_e32 v[1:2], 3, v[1:2]
	s_wait_alu 0xfffd
	v_add_co_ci_u32_e64 v147, null, s9, v9, vcc_lo
	v_add_co_u32 v148, vcc_lo, s10, v8
	s_wait_alu 0xfffd
	v_add_co_ci_u32_e64 v149, null, s11, v9, vcc_lo
	v_mov_b32_e32 v8, 0
	v_mov_b32_e32 v9, 0
	v_add_co_u32 v150, vcc_lo, s8, v1
	s_wait_alu 0xfffd
	v_add_co_ci_u32_e64 v151, null, s9, v2, vcc_lo
	v_add_co_u32 v152, vcc_lo, s10, v1
	scratch_store_b64 off, v[8:9], off offset:8 ; 8-byte Folded Spill
	v_mov_b32_e32 v8, 0
	v_mov_b32_e32 v9, 0
	s_wait_alu 0xfffd
	v_add_co_ci_u32_e64 v153, null, s11, v2, vcc_lo
	scratch_store_b64 off, v[8:9], off      ; 8-byte Folded Spill
	s_branch .LBB38_5
.LBB38_3:                               ;   in Loop: Header=BB38_5 Depth=1
	s_wait_alu 0xfffe
	s_or_b32 exec_lo, exec_lo, s3
	v_mov_b32_e32 v15, v14
	v_mov_b32_e32 v14, v13
	scratch_load_b64 v[12:13], off, off offset:8 th:TH_LOAD_LU ; 8-byte Folded Reload
	ds_bpermute_b32 v138, v5, v8
	ds_bpermute_b32 v139, v5, v9
	s_wait_loadcnt_dscnt 0x100
	v_add_f64_e64 v[60:61], v[60:61], -v[138:139]
	ds_bpermute_b32 v138, v5, v10
	ds_bpermute_b32 v139, v5, v11
	v_mul_f64_e32 v[60:61], v[14:15], v[60:61]
	s_wait_loadcnt_dscnt 0x0
	s_delay_alu instid0(VALU_DEP_1)
	v_fma_f64 v[60:61], v[60:61], v[138:139], v[12:13]
	ds_bpermute_b32 v138, v5, v8 offset:4
	ds_bpermute_b32 v139, v5, v9 offset:4
	s_wait_dscnt 0x0
	v_add_f64_e64 v[56:57], v[56:57], -v[138:139]
	ds_bpermute_b32 v138, v5, v10 offset:4
	ds_bpermute_b32 v139, v5, v11 offset:4
	v_mul_f64_e32 v[56:57], v[154:155], v[56:57]
	s_wait_dscnt 0x0
	s_delay_alu instid0(VALU_DEP_1)
	v_fma_f64 v[56:57], v[56:57], v[138:139], v[60:61]
	ds_bpermute_b32 v60, v5, v8 offset:8
	ds_bpermute_b32 v61, v5, v9 offset:8
	s_wait_dscnt 0x0
	v_add_f64_e64 v[58:59], v[58:59], -v[60:61]
	ds_bpermute_b32 v60, v5, v10 offset:8
	ds_bpermute_b32 v61, v5, v11 offset:8
	v_mul_f64_e32 v[58:59], v[18:19], v[58:59]
	s_wait_dscnt 0x0
	s_delay_alu instid0(VALU_DEP_1)
	v_fma_f64 v[56:57], v[58:59], v[60:61], v[56:57]
	ds_bpermute_b32 v58, v5, v8 offset:12
	ds_bpermute_b32 v59, v5, v9 offset:12
	ds_bpermute_b32 v60, v5, v10 offset:12
	ds_bpermute_b32 v61, v5, v11 offset:12
	s_wait_dscnt 0x2
	v_add_f64_e64 v[58:59], v[62:63], -v[58:59]
	s_delay_alu instid0(VALU_DEP_1) | instskip(SKIP_1) | instid1(VALU_DEP_1)
	v_mul_f64_e32 v[58:59], v[24:25], v[58:59]
	s_wait_dscnt 0x0
	v_fma_f64 v[56:57], v[58:59], v[60:61], v[56:57]
	ds_bpermute_b32 v58, v5, v8 offset:16
	ds_bpermute_b32 v59, v5, v9 offset:16
	ds_bpermute_b32 v60, v5, v10 offset:16
	ds_bpermute_b32 v61, v5, v11 offset:16
	s_wait_dscnt 0x2
	v_add_f64_e64 v[58:59], v[64:65], -v[58:59]
	s_delay_alu instid0(VALU_DEP_1) | instskip(SKIP_1) | instid1(VALU_DEP_1)
	v_mul_f64_e32 v[58:59], v[20:21], v[58:59]
	s_wait_dscnt 0x0
	;; [unrolled: 10-line block ×14, first 2 shown]
	v_fma_f64 v[56:57], v[58:59], v[60:61], v[56:57]
	scratch_load_b64 v[58:59], off, off th:TH_LOAD_LU ; 8-byte Folded Reload
	s_wait_loadcnt 0x0
	v_add_f64_e32 v[12:13], v[58:59], v[14:15]
	ds_bpermute_b32 v14, v5, v8 offset:68
	ds_bpermute_b32 v15, v5, v9 offset:68
	s_wait_dscnt 0x0
	v_add_f64_e64 v[14:15], v[66:67], -v[14:15]
	v_add_f64_e32 v[12:13], v[12:13], v[154:155]
	s_delay_alu instid0(VALU_DEP_2) | instskip(NEXT) | instid1(VALU_DEP_2)
	v_mul_f64_e32 v[14:15], v[52:53], v[14:15]
	v_add_f64_e32 v[12:13], v[12:13], v[18:19]
	ds_bpermute_b32 v18, v5, v8 offset:72
	ds_bpermute_b32 v19, v5, v9 offset:72
	s_wait_dscnt 0x0
	v_add_f64_e64 v[18:19], v[86:87], -v[18:19]
	v_add_f64_e32 v[12:13], v[12:13], v[24:25]
	ds_bpermute_b32 v24, v5, v10 offset:68
	ds_bpermute_b32 v25, v5, v11 offset:68
	v_mul_f64_e32 v[18:19], v[50:51], v[18:19]
	s_wait_dscnt 0x0
	v_fma_f64 v[14:15], v[14:15], v[24:25], v[56:57]
	ds_bpermute_b32 v24, v5, v8 offset:80
	ds_bpermute_b32 v25, v5, v9 offset:80
	v_add_f64_e32 v[12:13], v[12:13], v[20:21]
	ds_bpermute_b32 v20, v5, v8 offset:76
	ds_bpermute_b32 v21, v5, v9 offset:76
	s_wait_dscnt 0x2
	v_add_f64_e64 v[24:25], v[112:113], -v[24:25]
	s_wait_dscnt 0x0
	v_add_f64_e64 v[20:21], v[100:101], -v[20:21]
	v_add_f64_e32 v[12:13], v[12:13], v[28:29]
	s_delay_alu instid0(VALU_DEP_3) | instskip(NEXT) | instid1(VALU_DEP_3)
	v_mul_f64_e32 v[24:25], v[54:55], v[24:25]
	v_mul_f64_e32 v[20:21], v[70:71], v[20:21]
	s_delay_alu instid0(VALU_DEP_3)
	v_add_f64_e32 v[12:13], v[12:13], v[26:27]
	ds_bpermute_b32 v26, v5, v10 offset:72
	ds_bpermute_b32 v27, v5, v11 offset:72
	s_wait_dscnt 0x0
	v_fma_f64 v[14:15], v[18:19], v[26:27], v[14:15]
	ds_bpermute_b32 v18, v5, v8 offset:84
	ds_bpermute_b32 v19, v5, v9 offset:84
	;; [unrolled: 1-line block ×4, first 2 shown]
	v_add_f64_e32 v[12:13], v[12:13], v[32:33]
	s_wait_dscnt 0x2
	v_add_f64_e64 v[18:19], v[114:115], -v[18:19]
	s_wait_dscnt 0x0
	v_fma_f64 v[14:15], v[20:21], v[26:27], v[14:15]
	ds_bpermute_b32 v20, v5, v8 offset:88
	ds_bpermute_b32 v21, v5, v9 offset:88
	ds_bpermute_b32 v26, v5, v10 offset:80
	ds_bpermute_b32 v27, v5, v11 offset:80
	v_add_f64_e32 v[12:13], v[12:13], v[30:31]
	s_wait_dscnt 0x2
	v_add_f64_e64 v[20:21], v[116:117], -v[20:21]
	v_mul_f64_e32 v[18:19], v[82:83], v[18:19]
	s_wait_dscnt 0x0
	v_fma_f64 v[14:15], v[24:25], v[26:27], v[14:15]
	ds_bpermute_b32 v24, v5, v8 offset:92
	ds_bpermute_b32 v25, v5, v9 offset:92
	ds_bpermute_b32 v26, v5, v10 offset:84
	ds_bpermute_b32 v27, v5, v11 offset:84
	v_add_f64_e32 v[12:13], v[12:13], v[36:37]
	s_wait_dscnt 0x2
	v_add_f64_e64 v[24:25], v[120:121], -v[24:25]
	v_mul_f64_e32 v[20:21], v[68:69], v[20:21]
	;; [unrolled: 10-line block ×3, first 2 shown]
	ds_bpermute_b32 v24, v5, v10 offset:92
	ds_bpermute_b32 v25, v5, v11 offset:92
	s_wait_dscnt 0x2
	v_fma_f64 v[14:15], v[20:21], v[26:27], v[14:15]
	ds_bpermute_b32 v20, v5, v8 offset:100
	ds_bpermute_b32 v21, v5, v9 offset:100
	v_add_f64_e32 v[12:13], v[12:13], v[40:41]
	s_wait_dscnt 0x0
	v_add_f64_e64 v[20:21], v[122:123], -v[20:21]
	v_mul_f64_e32 v[1:2], v[80:81], v[1:2]
	v_fma_f64 v[14:15], v[18:19], v[24:25], v[14:15]
	ds_bpermute_b32 v18, v5, v8 offset:104
	ds_bpermute_b32 v19, v5, v9 offset:104
	ds_bpermute_b32 v24, v5, v10 offset:96
	ds_bpermute_b32 v25, v5, v11 offset:96
	v_add_f64_e32 v[12:13], v[12:13], v[38:39]
	s_wait_dscnt 0x2
	v_add_f64_e64 v[18:19], v[128:129], -v[18:19]
	v_mul_f64_e32 v[20:21], v[110:111], v[20:21]
	s_wait_dscnt 0x0
	v_fma_f64 v[1:2], v[1:2], v[24:25], v[14:15]
	ds_bpermute_b32 v14, v5, v8 offset:108
	ds_bpermute_b32 v15, v5, v9 offset:108
	ds_bpermute_b32 v24, v5, v10 offset:100
	ds_bpermute_b32 v25, v5, v11 offset:100
	v_add_f64_e32 v[12:13], v[12:13], v[44:45]
	s_wait_dscnt 0x2
	v_add_f64_e64 v[14:15], v[130:131], -v[14:15]
	v_mul_f64_e32 v[18:19], v[94:95], v[18:19]
	s_wait_dscnt 0x0
	;; [unrolled: 10-line block ×5, first 2 shown]
	v_fma_f64 v[1:2], v[20:21], v[24:25], v[1:2]
	ds_bpermute_b32 v20, v5, v10 offset:116
	ds_bpermute_b32 v21, v5, v11 offset:116
	v_add_f64_e32 v[12:13], v[12:13], v[52:53]
	v_mul_f64_e32 v[14:15], v[124:125], v[14:15]
	s_wait_dscnt 0x0
	v_fma_f64 v[1:2], v[18:19], v[20:21], v[1:2]
	ds_bpermute_b32 v18, v5, v10 offset:120
	ds_bpermute_b32 v19, v5, v11 offset:120
	v_add_f64_e32 v[12:13], v[12:13], v[50:51]
	s_wait_dscnt 0x0
	v_fma_f64 v[14:15], v[14:15], v[18:19], v[1:2]
	ds_bpermute_b32 v1, v5, v10 offset:124
	ds_bpermute_b32 v2, v5, v11 offset:124
	;; [unrolled: 1-line block ×4, first 2 shown]
	v_add_f64_e32 v[12:13], v[12:13], v[70:71]
	s_delay_alu instid0(VALU_DEP_1) | instskip(NEXT) | instid1(VALU_DEP_1)
	v_add_f64_e32 v[12:13], v[12:13], v[54:55]
	v_add_f64_e32 v[12:13], v[12:13], v[82:83]
	s_delay_alu instid0(VALU_DEP_1) | instskip(NEXT) | instid1(VALU_DEP_1)
	v_add_f64_e32 v[12:13], v[12:13], v[68:69]
	;; [unrolled: 3-line block ×5, first 2 shown]
	v_add_f64_e32 v[12:13], v[12:13], v[126:127]
	s_delay_alu instid0(VALU_DEP_1)
	v_add_f64_e32 v[18:19], v[12:13], v[124:125]
.LBB38_4:                               ;   in Loop: Header=BB38_5 Depth=1
	s_wait_dscnt 0x0
	v_add_f64_e64 v[8:9], v[22:23], -v[10:11]
	s_delay_alu instid0(VALU_DEP_2) | instskip(SKIP_4) | instid1(VALU_DEP_3)
	v_add_f64_e32 v[10:11], v[18:19], v[16:17]
	s_add_nc_u64 s[28:29], s[28:29], s[22:23]
	s_add_nc_u64 s[26:27], s[26:27], s[22:23]
	s_wait_alu 0xfffe
	v_cmp_lt_i64_e64 s3, s[28:29], s[4:5]
	v_mul_f64_e32 v[8:9], v[16:17], v[8:9]
	s_delay_alu instid0(VALU_DEP_1)
	v_fma_f64 v[1:2], v[8:9], v[1:2], v[14:15]
	scratch_store_b64 off, v[10:11], off    ; 8-byte Folded Spill
	scratch_load_b32 v10, off, off offset:16 ; 4-byte Folded Reload
	scratch_store_b64 off, v[1:2], off offset:8 ; 8-byte Folded Spill
	s_wait_loadcnt 0x0
	v_add_co_u32 v10, vcc_lo, v10, s24
	scratch_store_b32 off, v10, off offset:16 ; 4-byte Folded Spill
	scratch_load_b32 v10, off, off offset:20 ; 4-byte Folded Reload
	s_wait_loadcnt 0x0
	s_wait_alu 0xfffd
	v_add_co_ci_u32_e64 v10, null, s25, v10, vcc_lo
	scratch_store_b32 off, v10, off offset:20 ; 4-byte Folded Spill
	scratch_load_b32 v10, off, off offset:24 ; 4-byte Folded Reload
	s_wait_loadcnt 0x0
	v_add_co_u32 v10, vcc_lo, v10, s24
	scratch_store_b32 off, v10, off offset:24 ; 4-byte Folded Spill
	scratch_load_b32 v10, off, off offset:28 ; 4-byte Folded Reload
	s_wait_loadcnt 0x0
	s_wait_alu 0xfffd
	v_add_co_ci_u32_e64 v10, null, s25, v10, vcc_lo
	scratch_store_b32 off, v10, off offset:28 ; 4-byte Folded Spill
	scratch_load_b32 v10, off, off offset:32 ; 4-byte Folded Reload
	;; [unrolled: 9-line block ×6, first 2 shown]
	s_wait_loadcnt 0x0
	v_add_co_u32 v10, vcc_lo, v10, s24
	s_wait_alu 0xfffd
	v_add_co_ci_u32_e64 v156, null, s25, v156, vcc_lo
	v_add_co_u32 v157, vcc_lo, v157, s24
	s_wait_alu 0xfffd
	v_add_co_ci_u32_e64 v158, null, s25, v158, vcc_lo
	;; [unrolled: 3-line block ×59, first 2 shown]
	s_and_b32 vcc_lo, exec_lo, s3
	scratch_store_b32 off, v10, off offset:64 ; 4-byte Folded Spill
	s_wait_alu 0xfffe
	s_cbranch_vccz .LBB38_141
.LBB38_5:                               ; =>This Inner Loop Header: Depth=1
	s_add_nc_u64 s[34:35], s[16:17], s[26:27]
	v_add_co_u32 v8, vcc_lo, s16, v140
	s_wait_alu 0xfffe
	v_cmp_ge_i64_e64 s3, s[34:35], s[4:5]
	s_wait_alu 0xfffd
	v_add_co_ci_u32_e64 v9, null, 0, v142, vcc_lo
                                        ; implicit-def: $vgpr1_vgpr2
                                        ; implicit-def: $vgpr16_vgpr17
                                        ; implicit-def: $vgpr22_vgpr23
                                        ; implicit-def: $vgpr10
                                        ; implicit-def: $vgpr18_vgpr19
                                        ; implicit-def: $vgpr14_vgpr15
	s_and_b32 vcc_lo, exec_lo, s3
	s_mov_b32 s3, -1
	s_wait_alu 0xfffe
	s_cbranch_vccz .LBB38_73
; %bb.6:                                ;   in Loop: Header=BB38_5 Depth=1
	s_load_b32 s3, s[20:21], 0xc
	s_clause 0x1
	scratch_load_b32 v1, off, off offset:76
	scratch_load_b32 v2, off, off offset:80
	v_mov_b32_e32 v50, 0
	v_dual_mov_b32 v51, 0 :: v_dual_mov_b32 v12, 0
	v_dual_mov_b32 v13, 0 :: v_dual_mov_b32 v10, 0
	v_mov_b32_e32 v11, 0
	s_wait_kmcnt 0x0
	s_and_b32 s3, s3, 0xffff
	s_wait_loadcnt 0x0
	s_wait_alu 0xfffe
	v_mad_u32_u24 v1, v1, s3, v2
	s_mov_b32 s3, exec_lo
	s_delay_alu instid0(VALU_DEP_1) | instskip(NEXT) | instid1(VALU_DEP_1)
	v_and_b32_e32 v1, 31, v1
	v_add_co_u32 v1, vcc_lo, v8, v1
	s_wait_alu 0xfffd
	v_add_co_ci_u32_e64 v2, null, 0, v9, vcc_lo
	s_delay_alu instid0(VALU_DEP_1)
	v_cmpx_gt_i64_e64 s[4:5], v[1:2]
	s_cbranch_execz .LBB38_8
; %bb.7:                                ;   in Loop: Header=BB38_5 Depth=1
	v_lshlrev_b64_e32 v[1:2], 3, v[1:2]
	s_delay_alu instid0(VALU_DEP_1) | instskip(SKIP_1) | instid1(VALU_DEP_2)
	v_add_co_u32 v10, vcc_lo, s12, v1
	s_wait_alu 0xfffd
	v_add_co_ci_u32_e64 v11, null, s13, v2, vcc_lo
	v_add_co_u32 v1, vcc_lo, s14, v1
	s_wait_alu 0xfffd
	v_add_co_ci_u32_e64 v2, null, s15, v2, vcc_lo
	global_load_b64 v[10:11], v[10:11], off
	global_load_b64 v[12:13], v[1:2], off
.LBB38_8:                               ;   in Loop: Header=BB38_5 Depth=1
	s_wait_alu 0xfffe
	s_or_b32 exec_lo, exec_lo, s3
	v_cmp_gt_i64_e32 vcc_lo, s[4:5], v[8:9]
	v_mov_b32_e32 v48, 0
	v_mov_b32_e32 v49, 0
	s_and_b32 s18, s2, vcc_lo
	s_delay_alu instid0(SALU_CYCLE_1)
	s_and_saveexec_b32 s3, s18
	s_cbranch_execz .LBB38_10
; %bb.9:                                ;   in Loop: Header=BB38_5 Depth=1
	s_clause 0x2
	scratch_load_b32 v1, off, off offset:16
	scratch_load_b32 v2, off, off offset:20
	;; [unrolled: 1-line block ×3, first 2 shown]
	s_wait_loadcnt 0x2
	v_add_co_u32 v1, vcc_lo, v1, v6
	s_wait_loadcnt 0x1
	s_wait_alu 0xfffd
	v_add_co_ci_u32_e64 v2, null, v2, v7, vcc_lo
	s_wait_loadcnt 0x0
	v_add_co_u32 v16, vcc_lo, v14, v6
	scratch_load_b32 v14, off, off offset:28 ; 4-byte Folded Reload
	s_wait_loadcnt 0x0
	s_wait_alu 0xfffd
	v_add_co_ci_u32_e64 v17, null, v14, v7, vcc_lo
	global_load_b64 v[50:51], v[1:2], off
	global_load_b64 v[48:49], v[16:17], off
.LBB38_10:                              ;   in Loop: Header=BB38_5 Depth=1
	s_wait_alu 0xfffe
	s_or_b32 exec_lo, exec_lo, s3
	v_add_co_u32 v1, vcc_lo, v8, 1
	s_wait_alu 0xfffd
	v_add_co_ci_u32_e64 v2, null, 0, v9, vcc_lo
	v_mov_b32_e32 v20, 0
	v_dual_mov_b32 v21, 0 :: v_dual_mov_b32 v18, 0
	s_delay_alu instid0(VALU_DEP_3) | instskip(SKIP_3) | instid1(SALU_CYCLE_1)
	v_cmp_gt_i64_e32 vcc_lo, s[4:5], v[1:2]
	v_dual_mov_b32 v52, 0 :: v_dual_mov_b32 v19, 0
	v_mov_b32_e32 v53, 0
	s_and_b32 s18, s2, vcc_lo
	s_and_saveexec_b32 s3, s18
	s_cbranch_execz .LBB38_12
; %bb.11:                               ;   in Loop: Header=BB38_5 Depth=1
	v_add_co_u32 v1, vcc_lo, v150, v6
	s_wait_alu 0xfffd
	v_add_co_ci_u32_e64 v2, null, v151, v7, vcc_lo
	v_add_co_u32 v16, vcc_lo, v152, v6
	s_wait_alu 0xfffd
	v_add_co_ci_u32_e64 v17, null, v153, v7, vcc_lo
	global_load_b64 v[18:19], v[1:2], off
	global_load_b64 v[52:53], v[16:17], off
.LBB38_12:                              ;   in Loop: Header=BB38_5 Depth=1
	s_wait_alu 0xfffe
	s_or_b32 exec_lo, exec_lo, s3
	v_add_co_u32 v1, vcc_lo, v8, 2
	s_wait_alu 0xfffd
	v_add_co_ci_u32_e64 v2, null, 0, v9, vcc_lo
	v_mov_b32_e32 v154, 0
	v_mov_b32_e32 v155, 0
	s_delay_alu instid0(VALU_DEP_3) | instskip(SKIP_1) | instid1(SALU_CYCLE_1)
	v_cmp_gt_i64_e32 vcc_lo, s[4:5], v[1:2]
	s_and_b32 s18, s2, vcc_lo
	s_and_saveexec_b32 s3, s18
	s_cbranch_execz .LBB38_14
; %bb.13:                               ;   in Loop: Header=BB38_5 Depth=1
	v_add_co_u32 v1, vcc_lo, v146, v6
	s_wait_alu 0xfffd
	v_add_co_ci_u32_e64 v2, null, v147, v7, vcc_lo
	v_add_co_u32 v16, vcc_lo, v148, v6
	s_wait_alu 0xfffd
	v_add_co_ci_u32_e64 v17, null, v149, v7, vcc_lo
	global_load_b64 v[20:21], v[1:2], off
	global_load_b64 v[154:155], v[16:17], off
.LBB38_14:                              ;   in Loop: Header=BB38_5 Depth=1
	s_wait_alu 0xfffe
	s_or_b32 exec_lo, exec_lo, s3
	v_add_co_u32 v1, vcc_lo, v8, 3
	s_wait_alu 0xfffd
	v_add_co_ci_u32_e64 v2, null, 0, v9, vcc_lo
	v_mov_b32_e32 v24, 0
	v_dual_mov_b32 v25, 0 :: v_dual_mov_b32 v26, 0
	s_delay_alu instid0(VALU_DEP_3) | instskip(SKIP_3) | instid1(SALU_CYCLE_1)
	v_cmp_gt_i64_e32 vcc_lo, s[4:5], v[1:2]
	v_dual_mov_b32 v54, 0 :: v_dual_mov_b32 v27, 0
	v_mov_b32_e32 v55, 0
	s_and_b32 s18, s2, vcc_lo
	s_and_saveexec_b32 s3, s18
	s_cbranch_execz .LBB38_16
; %bb.15:                               ;   in Loop: Header=BB38_5 Depth=1
	v_add_co_u32 v1, vcc_lo, v141, v6
	s_wait_alu 0xfffd
	v_add_co_ci_u32_e64 v2, null, v143, v7, vcc_lo
	v_add_co_u32 v16, vcc_lo, v144, v6
	s_wait_alu 0xfffd
	v_add_co_ci_u32_e64 v17, null, v145, v7, vcc_lo
	global_load_b64 v[26:27], v[1:2], off
	global_load_b64 v[54:55], v[16:17], off
.LBB38_16:                              ;   in Loop: Header=BB38_5 Depth=1
	s_wait_alu 0xfffe
	s_or_b32 exec_lo, exec_lo, s3
	v_add_co_u32 v1, vcc_lo, v8, 4
	s_wait_alu 0xfffd
	v_add_co_ci_u32_e64 v2, null, 0, v9, vcc_lo
	v_mov_b32_e32 v56, 0
	v_mov_b32_e32 v57, 0
	s_delay_alu instid0(VALU_DEP_3) | instskip(SKIP_1) | instid1(SALU_CYCLE_1)
	v_cmp_gt_i64_e32 vcc_lo, s[4:5], v[1:2]
	s_and_b32 s18, s2, vcc_lo
	s_and_saveexec_b32 s3, s18
	s_cbranch_execz .LBB38_18
; %bb.17:                               ;   in Loop: Header=BB38_5 Depth=1
	v_add_co_u32 v1, vcc_lo, v253, v6
	s_wait_alu 0xfffd
	v_add_co_ci_u32_e64 v2, null, v254, v7, vcc_lo
	v_add_co_u32 v16, vcc_lo, v255, v6
	s_wait_alu 0xfffd
	v_add_co_ci_u32_e64 v17, null, v0, v7, vcc_lo
	global_load_b64 v[24:25], v[1:2], off
	global_load_b64 v[56:57], v[16:17], off
.LBB38_18:                              ;   in Loop: Header=BB38_5 Depth=1
	;; [unrolled: 46-line block ×4, first 2 shown]
	s_wait_alu 0xfffe
	s_or_b32 exec_lo, exec_lo, s3
	v_add_co_u32 v1, vcc_lo, v8, 9
	s_wait_alu 0xfffd
	v_add_co_ci_u32_e64 v2, null, 0, v9, vcc_lo
	v_mov_b32_e32 v72, 0
	v_dual_mov_b32 v73, 0 :: v_dual_mov_b32 v38, 0
	s_delay_alu instid0(VALU_DEP_3)
	v_cmp_gt_i64_e32 vcc_lo, s[4:5], v[1:2]
	v_mov_b32_e32 v1, 0
	v_dual_mov_b32 v2, 0 :: v_dual_mov_b32 v39, 0
	s_and_b32 s18, s2, vcc_lo
	scratch_store_b64 off, v[1:2], off offset:68 ; 8-byte Folded Spill
	s_and_saveexec_b32 s3, s18
	s_cbranch_execz .LBB38_28
; %bb.27:                               ;   in Loop: Header=BB38_5 Depth=1
	v_add_co_u32 v1, vcc_lo, v233, v6
	s_wait_alu 0xfffd
	v_add_co_ci_u32_e64 v2, null, v234, v7, vcc_lo
	v_add_co_u32 v16, vcc_lo, v235, v6
	s_wait_alu 0xfffd
	v_add_co_ci_u32_e64 v17, null, v236, v7, vcc_lo
	global_load_b64 v[38:39], v[1:2], off
	global_load_b64 v[72:73], v[16:17], off
.LBB38_28:                              ;   in Loop: Header=BB38_5 Depth=1
	s_wait_alu 0xfffe
	s_or_b32 exec_lo, exec_lo, s3
	v_add_co_u32 v1, vcc_lo, v8, 10
	s_wait_alu 0xfffd
	v_add_co_ci_u32_e64 v2, null, 0, v9, vcc_lo
	v_mov_b32_e32 v76, 0
	v_mov_b32_e32 v77, 0
	s_delay_alu instid0(VALU_DEP_3) | instskip(SKIP_1) | instid1(SALU_CYCLE_1)
	v_cmp_gt_i64_e32 vcc_lo, s[4:5], v[1:2]
	s_and_b32 s18, s2, vcc_lo
	s_and_saveexec_b32 s3, s18
	s_cbranch_execz .LBB38_30
; %bb.29:                               ;   in Loop: Header=BB38_5 Depth=1
	v_add_co_u32 v1, vcc_lo, v229, v6
	s_wait_alu 0xfffd
	v_add_co_ci_u32_e64 v2, null, v230, v7, vcc_lo
	v_add_co_u32 v16, vcc_lo, v231, v6
	s_wait_alu 0xfffd
	v_add_co_ci_u32_e64 v17, null, v232, v7, vcc_lo
	global_load_b64 v[1:2], v[1:2], off
	global_load_b64 v[76:77], v[16:17], off
	s_wait_loadcnt 0x1
	scratch_store_b64 off, v[1:2], off offset:68 ; 8-byte Folded Spill
.LBB38_30:                              ;   in Loop: Header=BB38_5 Depth=1
	s_wait_alu 0xfffe
	s_or_b32 exec_lo, exec_lo, s3
	v_add_co_u32 v1, vcc_lo, v8, 11
	s_wait_alu 0xfffd
	v_add_co_ci_u32_e64 v2, null, 0, v9, vcc_lo
	v_mov_b32_e32 v40, 0
	v_dual_mov_b32 v41, 0 :: v_dual_mov_b32 v42, 0
	s_delay_alu instid0(VALU_DEP_3) | instskip(SKIP_3) | instid1(SALU_CYCLE_1)
	v_cmp_gt_i64_e32 vcc_lo, s[4:5], v[1:2]
	v_dual_mov_b32 v78, 0 :: v_dual_mov_b32 v43, 0
	v_mov_b32_e32 v79, 0
	s_and_b32 s18, s2, vcc_lo
	s_and_saveexec_b32 s3, s18
	s_cbranch_execz .LBB38_32
; %bb.31:                               ;   in Loop: Header=BB38_5 Depth=1
	v_add_co_u32 v1, vcc_lo, v225, v6
	s_wait_alu 0xfffd
	v_add_co_ci_u32_e64 v2, null, v226, v7, vcc_lo
	v_add_co_u32 v16, vcc_lo, v227, v6
	s_wait_alu 0xfffd
	v_add_co_ci_u32_e64 v17, null, v228, v7, vcc_lo
	global_load_b64 v[42:43], v[1:2], off
	global_load_b64 v[78:79], v[16:17], off
.LBB38_32:                              ;   in Loop: Header=BB38_5 Depth=1
	s_wait_alu 0xfffe
	s_or_b32 exec_lo, exec_lo, s3
	v_add_co_u32 v1, vcc_lo, v8, 12
	s_wait_alu 0xfffd
	v_add_co_ci_u32_e64 v2, null, 0, v9, vcc_lo
	v_mov_b32_e32 v82, 0
	v_mov_b32_e32 v83, 0
	s_delay_alu instid0(VALU_DEP_3) | instskip(SKIP_1) | instid1(SALU_CYCLE_1)
	v_cmp_gt_i64_e32 vcc_lo, s[4:5], v[1:2]
	s_and_b32 s18, s2, vcc_lo
	s_and_saveexec_b32 s3, s18
	s_cbranch_execz .LBB38_34
; %bb.33:                               ;   in Loop: Header=BB38_5 Depth=1
	v_add_co_u32 v1, vcc_lo, v221, v6
	s_wait_alu 0xfffd
	v_add_co_ci_u32_e64 v2, null, v222, v7, vcc_lo
	v_add_co_u32 v16, vcc_lo, v223, v6
	s_wait_alu 0xfffd
	v_add_co_ci_u32_e64 v17, null, v224, v7, vcc_lo
	global_load_b64 v[40:41], v[1:2], off
	global_load_b64 v[82:83], v[16:17], off
.LBB38_34:                              ;   in Loop: Header=BB38_5 Depth=1
	s_wait_alu 0xfffe
	s_or_b32 exec_lo, exec_lo, s3
	v_add_co_u32 v1, vcc_lo, v8, 13
	s_wait_alu 0xfffd
	v_add_co_ci_u32_e64 v2, null, 0, v9, vcc_lo
	v_mov_b32_e32 v44, 0
	v_dual_mov_b32 v45, 0 :: v_dual_mov_b32 v46, 0
	s_delay_alu instid0(VALU_DEP_3) | instskip(SKIP_3) | instid1(SALU_CYCLE_1)
	v_cmp_gt_i64_e32 vcc_lo, s[4:5], v[1:2]
	v_dual_mov_b32 v86, 0 :: v_dual_mov_b32 v47, 0
	v_mov_b32_e32 v87, 0
	s_and_b32 s18, s2, vcc_lo
	s_and_saveexec_b32 s3, s18
	s_cbranch_execz .LBB38_36
; %bb.35:                               ;   in Loop: Header=BB38_5 Depth=1
	v_add_co_u32 v1, vcc_lo, v217, v6
	s_wait_alu 0xfffd
	v_add_co_ci_u32_e64 v2, null, v218, v7, vcc_lo
	v_add_co_u32 v16, vcc_lo, v219, v6
	s_wait_alu 0xfffd
	v_add_co_ci_u32_e64 v17, null, v220, v7, vcc_lo
	global_load_b64 v[46:47], v[1:2], off
	global_load_b64 v[86:87], v[16:17], off
.LBB38_36:                              ;   in Loop: Header=BB38_5 Depth=1
	s_wait_alu 0xfffe
	s_or_b32 exec_lo, exec_lo, s3
	v_add_co_u32 v1, vcc_lo, v8, 14
	s_wait_alu 0xfffd
	v_add_co_ci_u32_e64 v2, null, 0, v9, vcc_lo
	v_mov_b32_e32 v90, 0
	v_mov_b32_e32 v91, 0
	s_delay_alu instid0(VALU_DEP_3) | instskip(SKIP_1) | instid1(SALU_CYCLE_1)
	v_cmp_gt_i64_e32 vcc_lo, s[4:5], v[1:2]
	s_and_b32 s18, s2, vcc_lo
	s_and_saveexec_b32 s3, s18
	s_cbranch_execz .LBB38_38
; %bb.37:                               ;   in Loop: Header=BB38_5 Depth=1
	v_add_co_u32 v1, vcc_lo, v213, v6
	s_wait_alu 0xfffd
	v_add_co_ci_u32_e64 v2, null, v214, v7, vcc_lo
	v_add_co_u32 v16, vcc_lo, v215, v6
	s_wait_alu 0xfffd
	v_add_co_ci_u32_e64 v17, null, v216, v7, vcc_lo
	global_load_b64 v[44:45], v[1:2], off
	global_load_b64 v[90:91], v[16:17], off
.LBB38_38:                              ;   in Loop: Header=BB38_5 Depth=1
	;; [unrolled: 46-line block ×9, first 2 shown]
	s_wait_alu 0xfffe
	s_or_b32 exec_lo, exec_lo, s3
	v_add_co_u32 v1, vcc_lo, v8, 29
	s_wait_alu 0xfffd
	v_add_co_ci_u32_e64 v2, null, 0, v9, vcc_lo
	v_mov_b32_e32 v130, 0
	v_dual_mov_b32 v136, 0 :: v_dual_mov_b32 v131, 0
	s_delay_alu instid0(VALU_DEP_3) | instskip(SKIP_3) | instid1(SALU_CYCLE_1)
	v_cmp_gt_i64_e32 vcc_lo, s[4:5], v[1:2]
	v_mov_b32_e32 v1, 0
	v_dual_mov_b32 v2, 0 :: v_dual_mov_b32 v137, 0
	s_and_b32 s18, s2, vcc_lo
	s_and_saveexec_b32 s3, s18
	s_cbranch_execz .LBB38_68
; %bb.67:                               ;   in Loop: Header=BB38_5 Depth=1
	scratch_load_b32 v1, off, off offset:64 ; 4-byte Folded Reload
	s_wait_loadcnt 0x0
	v_add_co_u32 v1, vcc_lo, v1, v6
	s_wait_alu 0xfffd
	v_add_co_ci_u32_e64 v2, null, v156, v7, vcc_lo
	v_add_co_u32 v16, vcc_lo, v157, v6
	s_wait_alu 0xfffd
	v_add_co_ci_u32_e64 v17, null, v158, v7, vcc_lo
	global_load_b64 v[1:2], v[1:2], off
	global_load_b64 v[136:137], v[16:17], off
.LBB38_68:                              ;   in Loop: Header=BB38_5 Depth=1
	s_wait_alu 0xfffe
	s_or_b32 exec_lo, exec_lo, s3
	v_add_co_u32 v16, vcc_lo, v8, 30
	s_wait_alu 0xfffd
	v_add_co_ci_u32_e64 v17, null, 0, v9, vcc_lo
	v_mov_b32_e32 v138, 0
	v_mov_b32_e32 v139, 0
	s_delay_alu instid0(VALU_DEP_3) | instskip(SKIP_1) | instid1(SALU_CYCLE_1)
	v_cmp_gt_i64_e32 vcc_lo, s[4:5], v[16:17]
	s_and_b32 s18, s2, vcc_lo
	s_and_saveexec_b32 s3, s18
	s_cbranch_execz .LBB38_70
; %bb.69:                               ;   in Loop: Header=BB38_5 Depth=1
	scratch_load_b32 v14, off, off offset:48 ; 4-byte Folded Reload
	s_wait_loadcnt 0x0
	v_add_co_u32 v16, vcc_lo, v14, v6
	scratch_load_b32 v14, off, off offset:52 ; 4-byte Folded Reload
	s_wait_loadcnt 0x0
	s_wait_alu 0xfffd
	v_add_co_ci_u32_e64 v17, null, v14, v7, vcc_lo
	scratch_load_b32 v14, off, off offset:56 ; 4-byte Folded Reload
	s_wait_loadcnt 0x0
	v_add_co_u32 v22, vcc_lo, v14, v6
	scratch_load_b32 v14, off, off offset:60 ; 4-byte Folded Reload
	s_wait_loadcnt 0x0
	s_wait_alu 0xfffd
	v_add_co_ci_u32_e64 v23, null, v14, v7, vcc_lo
	global_load_b64 v[130:131], v[16:17], off
	global_load_b64 v[138:139], v[22:23], off
.LBB38_70:                              ;   in Loop: Header=BB38_5 Depth=1
	s_wait_alu 0xfffe
	s_or_b32 exec_lo, exec_lo, s3
	v_add_co_u32 v16, vcc_lo, v8, 31
	s_wait_alu 0xfffd
	v_add_co_ci_u32_e64 v17, null, 0, v9, vcc_lo
	v_mov_b32_e32 v22, 0
	v_mov_b32_e32 v23, 0
	s_delay_alu instid0(VALU_DEP_3) | instskip(SKIP_3) | instid1(SALU_CYCLE_1)
	v_cmp_gt_i64_e32 vcc_lo, s[4:5], v[16:17]
	v_mov_b32_e32 v16, 0
	v_mov_b32_e32 v17, 0
	s_and_b32 s18, s2, vcc_lo
	s_and_saveexec_b32 s3, s18
	s_cbranch_execz .LBB38_72
; %bb.71:                               ;   in Loop: Header=BB38_5 Depth=1
	scratch_load_b32 v14, off, off offset:32 ; 4-byte Folded Reload
	s_wait_loadcnt 0x0
	v_add_co_u32 v16, vcc_lo, v14, v6
	scratch_load_b32 v14, off, off offset:36 ; 4-byte Folded Reload
	s_wait_loadcnt 0x0
	s_wait_alu 0xfffd
	v_add_co_ci_u32_e64 v17, null, v14, v7, vcc_lo
	scratch_load_b32 v14, off, off offset:40 ; 4-byte Folded Reload
	s_wait_loadcnt 0x0
	v_add_co_u32 v22, vcc_lo, v14, v6
	scratch_load_b32 v14, off, off offset:44 ; 4-byte Folded Reload
	s_wait_loadcnt 0x0
	s_wait_alu 0xfffd
	v_add_co_ci_u32_e64 v23, null, v14, v7, vcc_lo
	global_load_b64 v[16:17], v[16:17], off
	global_load_b64 v[22:23], v[22:23], off
.LBB38_72:                              ;   in Loop: Header=BB38_5 Depth=1
	s_wait_alu 0xfffe
	s_or_b32 exec_lo, exec_lo, s3
	s_wait_loadcnt 0x1
	ds_bpermute_b32 v14, v5, v10
	ds_bpermute_b32 v15, v5, v11
	v_dual_mov_b32 v105, v51 :: v_dual_mov_b32 v104, v50
	s_mov_b32 s3, 0
	s_wait_loadcnt_dscnt 0x0
	v_add_f64_e64 v[14:15], v[48:49], -v[14:15]
	ds_bpermute_b32 v48, v5, v10 offset:4
	ds_bpermute_b32 v49, v5, v11 offset:4
	s_wait_dscnt 0x0
	v_add_f64_e64 v[48:49], v[52:53], -v[48:49]
	ds_bpermute_b32 v52, v5, v12
	ds_bpermute_b32 v53, v5, v13
	v_mul_f64_e32 v[14:15], v[50:51], v[14:15]
	scratch_load_b64 v[50:51], off, off offset:8 ; 8-byte Folded Reload
	v_mul_f64_e32 v[48:49], v[18:19], v[48:49]
	s_wait_loadcnt_dscnt 0x0
	v_fma_f64 v[14:15], v[14:15], v[52:53], v[50:51]
	ds_bpermute_b32 v52, v5, v12 offset:4
	ds_bpermute_b32 v53, v5, v13 offset:4
	ds_bpermute_b32 v50, v5, v12 offset:8
	ds_bpermute_b32 v51, v5, v13 offset:8
	s_wait_dscnt 0x2
	v_fma_f64 v[14:15], v[48:49], v[52:53], v[14:15]
	ds_bpermute_b32 v48, v5, v10 offset:8
	ds_bpermute_b32 v49, v5, v11 offset:8
	v_dual_mov_b32 v53, v21 :: v_dual_mov_b32 v52, v20
	s_wait_dscnt 0x0
	v_add_f64_e64 v[48:49], v[154:155], -v[48:49]
	s_delay_alu instid0(VALU_DEP_1) | instskip(NEXT) | instid1(VALU_DEP_1)
	v_mul_f64_e32 v[48:49], v[52:53], v[48:49]
	v_fma_f64 v[14:15], v[48:49], v[50:51], v[14:15]
	ds_bpermute_b32 v48, v5, v10 offset:12
	ds_bpermute_b32 v49, v5, v11 offset:12
	;; [unrolled: 1-line block ×4, first 2 shown]
	s_wait_dscnt 0x2
	v_add_f64_e64 v[48:49], v[54:55], -v[48:49]
	scratch_load_b64 v[54:55], off, off offset:68 th:TH_LOAD_LU ; 8-byte Folded Reload
	v_mul_f64_e32 v[48:49], v[26:27], v[48:49]
	s_wait_dscnt 0x0
	s_delay_alu instid0(VALU_DEP_1)
	v_fma_f64 v[14:15], v[48:49], v[50:51], v[14:15]
	ds_bpermute_b32 v48, v5, v10 offset:16
	ds_bpermute_b32 v49, v5, v11 offset:16
	ds_bpermute_b32 v50, v5, v12 offset:16
	ds_bpermute_b32 v51, v5, v13 offset:16
	s_wait_dscnt 0x2
	v_add_f64_e64 v[48:49], v[56:57], -v[48:49]
	s_delay_alu instid0(VALU_DEP_1) | instskip(SKIP_1) | instid1(VALU_DEP_1)
	v_mul_f64_e32 v[48:49], v[24:25], v[48:49]
	s_wait_dscnt 0x0
	v_fma_f64 v[14:15], v[48:49], v[50:51], v[14:15]
	ds_bpermute_b32 v48, v5, v10 offset:20
	ds_bpermute_b32 v49, v5, v11 offset:20
	ds_bpermute_b32 v50, v5, v12 offset:20
	ds_bpermute_b32 v51, v5, v13 offset:20
	s_wait_dscnt 0x2
	v_add_f64_e64 v[48:49], v[62:63], -v[48:49]
	s_delay_alu instid0(VALU_DEP_1) | instskip(SKIP_1) | instid1(VALU_DEP_1)
	v_mul_f64_e32 v[48:49], v[30:31], v[48:49]
	s_wait_dscnt 0x0
	v_fma_f64 v[14:15], v[48:49], v[50:51], v[14:15]
	ds_bpermute_b32 v48, v5, v10 offset:24
	ds_bpermute_b32 v49, v5, v11 offset:24
	ds_bpermute_b32 v50, v5, v12 offset:24
	ds_bpermute_b32 v51, v5, v13 offset:24
	s_wait_dscnt 0x2
	v_add_f64_e64 v[48:49], v[64:65], -v[48:49]
	s_delay_alu instid0(VALU_DEP_1) | instskip(SKIP_1) | instid1(VALU_DEP_1)
	v_mul_f64_e32 v[48:49], v[28:29], v[48:49]
	s_wait_dscnt 0x0
	v_fma_f64 v[14:15], v[48:49], v[50:51], v[14:15]
	ds_bpermute_b32 v48, v5, v10 offset:28
	ds_bpermute_b32 v49, v5, v11 offset:28
	ds_bpermute_b32 v50, v5, v12 offset:28
	ds_bpermute_b32 v51, v5, v13 offset:28
	s_wait_dscnt 0x2
	v_add_f64_e64 v[48:49], v[66:67], -v[48:49]
	s_delay_alu instid0(VALU_DEP_1) | instskip(SKIP_1) | instid1(VALU_DEP_1)
	v_mul_f64_e32 v[48:49], v[34:35], v[48:49]
	s_wait_dscnt 0x0
	v_fma_f64 v[14:15], v[48:49], v[50:51], v[14:15]
	ds_bpermute_b32 v48, v5, v10 offset:32
	ds_bpermute_b32 v49, v5, v11 offset:32
	ds_bpermute_b32 v50, v5, v12 offset:32
	ds_bpermute_b32 v51, v5, v13 offset:32
	s_wait_dscnt 0x2
	v_add_f64_e64 v[48:49], v[68:69], -v[48:49]
	s_delay_alu instid0(VALU_DEP_1) | instskip(SKIP_1) | instid1(VALU_DEP_1)
	v_mul_f64_e32 v[48:49], v[32:33], v[48:49]
	s_wait_dscnt 0x0
	v_fma_f64 v[14:15], v[48:49], v[50:51], v[14:15]
	ds_bpermute_b32 v48, v5, v10 offset:36
	ds_bpermute_b32 v49, v5, v11 offset:36
	ds_bpermute_b32 v50, v5, v12 offset:36
	ds_bpermute_b32 v51, v5, v13 offset:36
	s_wait_dscnt 0x2
	v_add_f64_e64 v[48:49], v[72:73], -v[48:49]
	s_delay_alu instid0(VALU_DEP_1) | instskip(SKIP_1) | instid1(VALU_DEP_1)
	v_mul_f64_e32 v[48:49], v[38:39], v[48:49]
	s_wait_dscnt 0x0
	v_fma_f64 v[14:15], v[48:49], v[50:51], v[14:15]
	ds_bpermute_b32 v48, v5, v10 offset:40
	ds_bpermute_b32 v49, v5, v11 offset:40
	;; [unrolled: 1-line block ×4, first 2 shown]
	s_wait_dscnt 0x2
	v_add_f64_e64 v[48:49], v[76:77], -v[48:49]
	s_wait_loadcnt 0x0
	s_delay_alu instid0(VALU_DEP_1) | instskip(SKIP_1) | instid1(VALU_DEP_1)
	v_mul_f64_e32 v[48:49], v[54:55], v[48:49]
	s_wait_dscnt 0x0
	v_fma_f64 v[14:15], v[48:49], v[50:51], v[14:15]
	ds_bpermute_b32 v48, v5, v10 offset:44
	ds_bpermute_b32 v49, v5, v11 offset:44
	ds_bpermute_b32 v50, v5, v12 offset:44
	ds_bpermute_b32 v51, v5, v13 offset:44
	s_wait_dscnt 0x2
	v_add_f64_e64 v[48:49], v[78:79], -v[48:49]
	s_delay_alu instid0(VALU_DEP_1) | instskip(SKIP_1) | instid1(VALU_DEP_1)
	v_mul_f64_e32 v[48:49], v[42:43], v[48:49]
	s_wait_dscnt 0x0
	v_fma_f64 v[14:15], v[48:49], v[50:51], v[14:15]
	ds_bpermute_b32 v48, v5, v10 offset:48
	ds_bpermute_b32 v49, v5, v11 offset:48
	ds_bpermute_b32 v50, v5, v12 offset:48
	ds_bpermute_b32 v51, v5, v13 offset:48
	s_wait_dscnt 0x2
	v_add_f64_e64 v[48:49], v[82:83], -v[48:49]
	;; [unrolled: 10-line block ×7, first 2 shown]
	s_delay_alu instid0(VALU_DEP_1) | instskip(SKIP_1) | instid1(VALU_DEP_1)
	v_mul_f64_e32 v[48:49], v[74:75], v[48:49]
	s_wait_dscnt 0x0
	v_fma_f64 v[14:15], v[48:49], v[50:51], v[14:15]
	scratch_load_b64 v[48:49], off, off     ; 8-byte Folded Reload
	s_wait_loadcnt 0x0
	v_add_f64_e32 v[48:49], v[48:49], v[104:105]
	s_delay_alu instid0(VALU_DEP_1) | instskip(NEXT) | instid1(VALU_DEP_1)
	v_add_f64_e32 v[20:21], v[48:49], v[18:19]
	v_add_f64_e32 v[18:19], v[20:21], v[52:53]
	ds_bpermute_b32 v20, v5, v10 offset:72
	ds_bpermute_b32 v21, v5, v11 offset:72
	s_wait_dscnt 0x0
	v_add_f64_e64 v[20:21], v[88:89], -v[20:21]
	v_add_f64_e32 v[18:19], v[18:19], v[26:27]
	ds_bpermute_b32 v26, v5, v10 offset:80
	ds_bpermute_b32 v27, v5, v11 offset:80
	v_mul_f64_e32 v[20:21], v[70:71], v[20:21]
	s_wait_dscnt 0x0
	v_add_f64_e64 v[26:27], v[106:107], -v[26:27]
	v_add_f64_e32 v[18:19], v[18:19], v[24:25]
	ds_bpermute_b32 v24, v5, v10 offset:76
	ds_bpermute_b32 v25, v5, v11 offset:76
	s_wait_dscnt 0x0
	v_add_f64_e64 v[24:25], v[100:101], -v[24:25]
	v_mul_f64_e32 v[26:27], v[80:81], v[26:27]
	v_add_f64_e32 v[18:19], v[18:19], v[30:31]
	s_delay_alu instid0(VALU_DEP_3) | instskip(NEXT) | instid1(VALU_DEP_2)
	v_mul_f64_e32 v[24:25], v[84:85], v[24:25]
	v_add_f64_e32 v[18:19], v[18:19], v[28:29]
	ds_bpermute_b32 v28, v5, v12 offset:72
	ds_bpermute_b32 v29, v5, v13 offset:72
	s_wait_dscnt 0x0
	v_fma_f64 v[14:15], v[20:21], v[28:29], v[14:15]
	ds_bpermute_b32 v20, v5, v10 offset:84
	ds_bpermute_b32 v21, v5, v11 offset:84
	;; [unrolled: 1-line block ×4, first 2 shown]
	v_add_f64_e32 v[18:19], v[18:19], v[34:35]
	s_wait_dscnt 0x2
	v_add_f64_e64 v[20:21], v[112:113], -v[20:21]
	s_wait_dscnt 0x0
	v_fma_f64 v[14:15], v[24:25], v[28:29], v[14:15]
	ds_bpermute_b32 v24, v5, v10 offset:88
	ds_bpermute_b32 v25, v5, v11 offset:88
	ds_bpermute_b32 v28, v5, v12 offset:80
	ds_bpermute_b32 v29, v5, v13 offset:80
	v_add_f64_e32 v[18:19], v[18:19], v[32:33]
	s_wait_dscnt 0x2
	v_add_f64_e64 v[24:25], v[114:115], -v[24:25]
	v_mul_f64_e32 v[20:21], v[98:99], v[20:21]
	s_wait_dscnt 0x0
	v_fma_f64 v[14:15], v[26:27], v[28:29], v[14:15]
	ds_bpermute_b32 v26, v5, v10 offset:92
	ds_bpermute_b32 v27, v5, v11 offset:92
	ds_bpermute_b32 v28, v5, v12 offset:84
	ds_bpermute_b32 v29, v5, v13 offset:84
	v_add_f64_e32 v[18:19], v[18:19], v[38:39]
	s_wait_dscnt 0x2
	v_add_f64_e64 v[26:27], v[118:119], -v[26:27]
	v_mul_f64_e32 v[24:25], v[92:93], v[24:25]
	;; [unrolled: 10-line block ×8, first 2 shown]
	s_wait_dscnt 0x0
	v_fma_f64 v[14:15], v[20:21], v[28:29], v[14:15]
	ds_bpermute_b32 v20, v5, v10 offset:120
	ds_bpermute_b32 v21, v5, v11 offset:120
	;; [unrolled: 1-line block ×6, first 2 shown]
	v_add_f64_e32 v[18:19], v[18:19], v[58:59]
	s_wait_dscnt 0x4
	v_add_f64_e64 v[20:21], v[138:139], -v[20:21]
	v_mul_f64_e32 v[26:27], v[1:2], v[26:27]
	s_wait_dscnt 0x2
	v_fma_f64 v[14:15], v[24:25], v[28:29], v[14:15]
	ds_bpermute_b32 v24, v5, v12 offset:116
	ds_bpermute_b32 v25, v5, v13 offset:116
	v_add_f64_e32 v[18:19], v[18:19], v[74:75]
	v_mul_f64_e32 v[20:21], v[130:131], v[20:21]
	s_wait_dscnt 0x0
	v_fma_f64 v[14:15], v[26:27], v[24:25], v[14:15]
	s_delay_alu instid0(VALU_DEP_3) | instskip(NEXT) | instid1(VALU_DEP_1)
	v_add_f64_e32 v[18:19], v[18:19], v[70:71]
	v_add_f64_e32 v[18:19], v[18:19], v[84:85]
	s_delay_alu instid0(VALU_DEP_1) | instskip(NEXT) | instid1(VALU_DEP_1)
	v_add_f64_e32 v[18:19], v[18:19], v[80:81]
	v_add_f64_e32 v[18:19], v[18:19], v[98:99]
	s_delay_alu instid0(VALU_DEP_1) | instskip(NEXT) | instid1(VALU_DEP_1)
	v_add_f64_e32 v[18:19], v[18:19], v[92:93]
	v_add_f64_e32 v[18:19], v[18:19], v[108:109]
	s_delay_alu instid0(VALU_DEP_1) | instskip(NEXT) | instid1(VALU_DEP_1)
	v_add_f64_e32 v[18:19], v[18:19], v[102:103]
	v_add_f64_e32 v[18:19], v[18:19], v[116:117]
	s_delay_alu instid0(VALU_DEP_1) | instskip(NEXT) | instid1(VALU_DEP_1)
	v_add_f64_e32 v[18:19], v[18:19], v[110:111]
	v_add_f64_e32 v[18:19], v[18:19], v[124:125]
	s_delay_alu instid0(VALU_DEP_1) | instskip(NEXT) | instid1(VALU_DEP_1)
	v_add_f64_e32 v[18:19], v[18:19], v[120:121]
	v_add_f64_e32 v[1:2], v[18:19], v[1:2]
	ds_bpermute_b32 v18, v5, v12 offset:120
	ds_bpermute_b32 v19, v5, v13 offset:120
	s_wait_dscnt 0x0
	v_fma_f64 v[14:15], v[20:21], v[18:19], v[14:15]
	v_add_f64_e32 v[18:19], v[1:2], v[130:131]
	ds_bpermute_b32 v1, v5, v12 offset:124
	ds_bpermute_b32 v2, v5, v13 offset:124
.LBB38_73:                              ;   in Loop: Header=BB38_5 Depth=1
	s_wait_alu 0xfffe
	s_and_b32 vcc_lo, exec_lo, s3
	s_wait_alu 0xfffe
	s_cbranch_vccz .LBB38_4
; %bb.74:                               ;   in Loop: Header=BB38_5 Depth=1
	s_load_b32 s3, s[20:21], 0x0
	v_mov_b32_e32 v138, 0
	v_dual_mov_b32 v139, 0 :: v_dual_mov_b32 v10, 0
	v_mov_b32_e32 v11, 0
	s_wait_kmcnt 0x0
	s_cmp_lt_u32 ttmp9, s3
	s_cselect_b32 s18, 12, 18
	s_delay_alu instid0(SALU_CYCLE_1)
	s_add_nc_u64 s[34:35], s[20:21], s[18:19]
	s_load_u16 s3, s[34:35], 0x0
	s_wait_dscnt 0x1
	scratch_load_b32 v1, off, off offset:76 ; 4-byte Folded Reload
	s_wait_dscnt 0x0
	scratch_load_b32 v2, off, off offset:80 ; 4-byte Folded Reload
	s_wait_loadcnt 0x0
	s_wait_kmcnt 0x0
	v_mad_u32_u24 v1, v1, s3, v2
	s_mov_b32 s3, exec_lo
	s_delay_alu instid0(VALU_DEP_1) | instskip(NEXT) | instid1(VALU_DEP_1)
	v_and_b32_e32 v1, 31, v1
	v_add_co_u32 v1, vcc_lo, v8, v1
	s_wait_alu 0xfffd
	v_add_co_ci_u32_e64 v2, null, 0, v9, vcc_lo
	v_mov_b32_e32 v8, 0
	v_mov_b32_e32 v9, 0
	s_delay_alu instid0(VALU_DEP_3)
	v_cmpx_gt_i64_e64 s[4:5], v[1:2]
	s_cbranch_execz .LBB38_76
; %bb.75:                               ;   in Loop: Header=BB38_5 Depth=1
	v_lshlrev_b64_e32 v[1:2], 3, v[1:2]
	s_delay_alu instid0(VALU_DEP_1) | instskip(SKIP_1) | instid1(VALU_DEP_2)
	v_add_co_u32 v8, vcc_lo, s12, v1
	s_wait_alu 0xfffd
	v_add_co_ci_u32_e64 v9, null, s13, v2, vcc_lo
	v_add_co_u32 v1, vcc_lo, s14, v1
	s_wait_alu 0xfffd
	v_add_co_ci_u32_e64 v2, null, s15, v2, vcc_lo
	global_load_b64 v[8:9], v[8:9], off
	global_load_b64 v[10:11], v[1:2], off
.LBB38_76:                              ;   in Loop: Header=BB38_5 Depth=1
	s_wait_alu 0xfffe
	s_or_b32 exec_lo, exec_lo, s3
	v_mov_b32_e32 v60, 0
	v_mov_b32_e32 v61, 0
	s_and_saveexec_b32 s3, s2
	s_cbranch_execz .LBB38_78
; %bb.77:                               ;   in Loop: Header=BB38_5 Depth=1
	s_clause 0x2
	scratch_load_b32 v1, off, off offset:16
	scratch_load_b32 v2, off, off offset:20
	;; [unrolled: 1-line block ×3, first 2 shown]
	s_wait_loadcnt 0x2
	v_add_co_u32 v1, vcc_lo, v1, v6
	s_wait_loadcnt 0x1
	s_wait_alu 0xfffd
	v_add_co_ci_u32_e64 v2, null, v2, v7, vcc_lo
	s_wait_loadcnt 0x0
	v_add_co_u32 v14, vcc_lo, v12, v6
	scratch_load_b32 v12, off, off offset:28 ; 4-byte Folded Reload
	s_wait_loadcnt 0x0
	s_wait_alu 0xfffd
	v_add_co_ci_u32_e64 v15, null, v12, v7, vcc_lo
	global_load_b64 v[138:139], v[1:2], off
	global_load_b64 v[60:61], v[14:15], off
.LBB38_78:                              ;   in Loop: Header=BB38_5 Depth=1
	s_wait_alu 0xfffe
	s_or_b32 exec_lo, exec_lo, s3
	v_mov_b32_e32 v18, 0
	v_dual_mov_b32 v19, 0 :: v_dual_mov_b32 v154, 0
	v_dual_mov_b32 v56, 0 :: v_dual_mov_b32 v155, 0
	v_mov_b32_e32 v57, 0
	s_and_saveexec_b32 s3, s2
	s_cbranch_execz .LBB38_80
; %bb.79:                               ;   in Loop: Header=BB38_5 Depth=1
	v_add_co_u32 v1, vcc_lo, v150, v6
	s_wait_alu 0xfffd
	v_add_co_ci_u32_e64 v2, null, v151, v7, vcc_lo
	v_add_co_u32 v16, vcc_lo, v152, v6
	s_wait_alu 0xfffd
	v_add_co_ci_u32_e64 v17, null, v153, v7, vcc_lo
	global_load_b64 v[154:155], v[1:2], off
	global_load_b64 v[56:57], v[16:17], off
.LBB38_80:                              ;   in Loop: Header=BB38_5 Depth=1
	s_wait_alu 0xfffe
	s_or_b32 exec_lo, exec_lo, s3
	v_mov_b32_e32 v58, 0
	v_mov_b32_e32 v59, 0
	s_and_saveexec_b32 s3, s2
	s_cbranch_execz .LBB38_82
; %bb.81:                               ;   in Loop: Header=BB38_5 Depth=1
	v_add_co_u32 v1, vcc_lo, v146, v6
	s_wait_alu 0xfffd
	v_add_co_ci_u32_e64 v2, null, v147, v7, vcc_lo
	v_add_co_u32 v16, vcc_lo, v148, v6
	s_wait_alu 0xfffd
	v_add_co_ci_u32_e64 v17, null, v149, v7, vcc_lo
	global_load_b64 v[18:19], v[1:2], off
	global_load_b64 v[58:59], v[16:17], off
.LBB38_82:                              ;   in Loop: Header=BB38_5 Depth=1
	s_wait_alu 0xfffe
	s_or_b32 exec_lo, exec_lo, s3
	v_mov_b32_e32 v20, 0
	v_dual_mov_b32 v21, 0 :: v_dual_mov_b32 v24, 0
	v_dual_mov_b32 v62, 0 :: v_dual_mov_b32 v25, 0
	v_mov_b32_e32 v63, 0
	s_and_saveexec_b32 s3, s2
	s_cbranch_execz .LBB38_84
; %bb.83:                               ;   in Loop: Header=BB38_5 Depth=1
	v_add_co_u32 v1, vcc_lo, v141, v6
	s_wait_alu 0xfffd
	v_add_co_ci_u32_e64 v2, null, v143, v7, vcc_lo
	v_add_co_u32 v16, vcc_lo, v144, v6
	s_wait_alu 0xfffd
	v_add_co_ci_u32_e64 v17, null, v145, v7, vcc_lo
	global_load_b64 v[24:25], v[1:2], off
	global_load_b64 v[62:63], v[16:17], off
.LBB38_84:                              ;   in Loop: Header=BB38_5 Depth=1
	s_wait_alu 0xfffe
	s_or_b32 exec_lo, exec_lo, s3
	v_mov_b32_e32 v64, 0
	v_mov_b32_e32 v65, 0
	s_and_saveexec_b32 s3, s2
	s_cbranch_execz .LBB38_86
; %bb.85:                               ;   in Loop: Header=BB38_5 Depth=1
	v_add_co_u32 v1, vcc_lo, v253, v6
	s_wait_alu 0xfffd
	v_add_co_ci_u32_e64 v2, null, v254, v7, vcc_lo
	v_add_co_u32 v16, vcc_lo, v255, v6
	s_wait_alu 0xfffd
	v_add_co_ci_u32_e64 v17, null, v0, v7, vcc_lo
	global_load_b64 v[20:21], v[1:2], off
	global_load_b64 v[64:65], v[16:17], off
.LBB38_86:                              ;   in Loop: Header=BB38_5 Depth=1
	;; [unrolled: 34-line block ×5, first 2 shown]
	s_wait_alu 0xfffe
	s_or_b32 exec_lo, exec_lo, s3
	v_mov_b32_e32 v38, 0
	v_dual_mov_b32 v39, 0 :: v_dual_mov_b32 v40, 0
	v_dual_mov_b32 v90, 0 :: v_dual_mov_b32 v41, 0
	v_mov_b32_e32 v91, 0
	s_and_saveexec_b32 s3, s2
	s_cbranch_execz .LBB38_100
; %bb.99:                               ;   in Loop: Header=BB38_5 Depth=1
	v_add_co_u32 v1, vcc_lo, v225, v6
	s_wait_alu 0xfffd
	v_add_co_ci_u32_e64 v2, null, v226, v7, vcc_lo
	v_add_co_u32 v16, vcc_lo, v227, v6
	s_wait_alu 0xfffd
	v_add_co_ci_u32_e64 v17, null, v228, v7, vcc_lo
	global_load_b64 v[40:41], v[1:2], off
	global_load_b64 v[90:91], v[16:17], off
.LBB38_100:                             ;   in Loop: Header=BB38_5 Depth=1
	s_wait_alu 0xfffe
	s_or_b32 exec_lo, exec_lo, s3
	v_mov_b32_e32 v92, 0
	v_mov_b32_e32 v93, 0
	s_and_saveexec_b32 s3, s2
	s_cbranch_execz .LBB38_102
; %bb.101:                              ;   in Loop: Header=BB38_5 Depth=1
	v_add_co_u32 v1, vcc_lo, v221, v6
	s_wait_alu 0xfffd
	v_add_co_ci_u32_e64 v2, null, v222, v7, vcc_lo
	v_add_co_u32 v16, vcc_lo, v223, v6
	s_wait_alu 0xfffd
	v_add_co_ci_u32_e64 v17, null, v224, v7, vcc_lo
	global_load_b64 v[38:39], v[1:2], off
	global_load_b64 v[92:93], v[16:17], off
.LBB38_102:                             ;   in Loop: Header=BB38_5 Depth=1
	s_wait_alu 0xfffe
	s_or_b32 exec_lo, exec_lo, s3
	v_mov_b32_e32 v42, 0
	v_dual_mov_b32 v43, 0 :: v_dual_mov_b32 v44, 0
	v_dual_mov_b32 v98, 0 :: v_dual_mov_b32 v45, 0
	v_mov_b32_e32 v99, 0
	s_and_saveexec_b32 s3, s2
	s_cbranch_execz .LBB38_104
; %bb.103:                              ;   in Loop: Header=BB38_5 Depth=1
	v_add_co_u32 v1, vcc_lo, v217, v6
	s_wait_alu 0xfffd
	v_add_co_ci_u32_e64 v2, null, v218, v7, vcc_lo
	v_add_co_u32 v16, vcc_lo, v219, v6
	s_wait_alu 0xfffd
	v_add_co_ci_u32_e64 v17, null, v220, v7, vcc_lo
	global_load_b64 v[44:45], v[1:2], off
	global_load_b64 v[98:99], v[16:17], off
.LBB38_104:                             ;   in Loop: Header=BB38_5 Depth=1
	s_wait_alu 0xfffe
	s_or_b32 exec_lo, exec_lo, s3
	v_mov_b32_e32 v102, 0
	v_mov_b32_e32 v103, 0
	s_and_saveexec_b32 s3, s2
	s_cbranch_execz .LBB38_106
; %bb.105:                              ;   in Loop: Header=BB38_5 Depth=1
	v_add_co_u32 v1, vcc_lo, v213, v6
	s_wait_alu 0xfffd
	v_add_co_ci_u32_e64 v2, null, v214, v7, vcc_lo
	v_add_co_u32 v16, vcc_lo, v215, v6
	s_wait_alu 0xfffd
	v_add_co_ci_u32_e64 v17, null, v216, v7, vcc_lo
	global_load_b64 v[42:43], v[1:2], off
	global_load_b64 v[102:103], v[16:17], off
.LBB38_106:                             ;   in Loop: Header=BB38_5 Depth=1
	s_wait_alu 0xfffe
	s_or_b32 exec_lo, exec_lo, s3
	v_mov_b32_e32 v46, 0
	v_dual_mov_b32 v47, 0 :: v_dual_mov_b32 v48, 0
	v_dual_mov_b32 v104, 0 :: v_dual_mov_b32 v49, 0
	v_mov_b32_e32 v105, 0
	s_and_saveexec_b32 s3, s2
	s_cbranch_execz .LBB38_108
; %bb.107:                              ;   in Loop: Header=BB38_5 Depth=1
	v_add_co_u32 v1, vcc_lo, v209, v6
	s_wait_alu 0xfffd
	v_add_co_ci_u32_e64 v2, null, v210, v7, vcc_lo
	v_add_co_u32 v16, vcc_lo, v211, v6
	s_wait_alu 0xfffd
	v_add_co_ci_u32_e64 v17, null, v212, v7, vcc_lo
	global_load_b64 v[48:49], v[1:2], off
	global_load_b64 v[104:105], v[16:17], off
.LBB38_108:                             ;   in Loop: Header=BB38_5 Depth=1
	;; [unrolled: 34-line block ×8, first 2 shown]
	s_wait_alu 0xfffe
	s_or_b32 exec_lo, exec_lo, s3
	v_mov_b32_e32 v132, 0
	v_mov_b32_e32 v133, 0
	s_and_saveexec_b32 s3, s2
	s_cbranch_execz .LBB38_134
; %bb.133:                              ;   in Loop: Header=BB38_5 Depth=1
	v_add_co_u32 v16, vcc_lo, v159, v6
	s_wait_alu 0xfffd
	v_add_co_ci_u32_e64 v17, null, v160, v7, vcc_lo
	v_add_co_u32 v22, vcc_lo, v161, v6
	s_wait_alu 0xfffd
	v_add_co_ci_u32_e64 v23, null, v162, v7, vcc_lo
	global_load_b64 v[106:107], v[16:17], off
	global_load_b64 v[132:133], v[22:23], off
.LBB38_134:                             ;   in Loop: Header=BB38_5 Depth=1
	s_wait_alu 0xfffe
	s_or_b32 exec_lo, exec_lo, s3
	v_mov_b32_e32 v124, 0
	v_dual_mov_b32 v125, 0 :: v_dual_mov_b32 v126, 0
	v_dual_mov_b32 v134, 0 :: v_dual_mov_b32 v127, 0
	v_mov_b32_e32 v135, 0
	s_and_saveexec_b32 s3, s2
	s_cbranch_execz .LBB38_136
; %bb.135:                              ;   in Loop: Header=BB38_5 Depth=1
	scratch_load_b32 v12, off, off offset:64 ; 4-byte Folded Reload
	s_wait_loadcnt 0x0
	v_add_co_u32 v16, vcc_lo, v12, v6
	s_wait_alu 0xfffd
	v_add_co_ci_u32_e64 v17, null, v156, v7, vcc_lo
	v_add_co_u32 v22, vcc_lo, v157, v6
	s_wait_alu 0xfffd
	v_add_co_ci_u32_e64 v23, null, v158, v7, vcc_lo
	global_load_b64 v[126:127], v[16:17], off
	global_load_b64 v[134:135], v[22:23], off
.LBB38_136:                             ;   in Loop: Header=BB38_5 Depth=1
	s_wait_alu 0xfffe
	s_or_b32 exec_lo, exec_lo, s3
	v_mov_b32_e32 v136, 0
	v_mov_b32_e32 v137, 0
	s_and_saveexec_b32 s3, s2
	s_cbranch_execz .LBB38_138
; %bb.137:                              ;   in Loop: Header=BB38_5 Depth=1
	scratch_load_b32 v12, off, off offset:48 ; 4-byte Folded Reload
	s_wait_loadcnt 0x0
	v_add_co_u32 v16, vcc_lo, v12, v6
	scratch_load_b32 v12, off, off offset:52 ; 4-byte Folded Reload
	s_wait_loadcnt 0x0
	s_wait_alu 0xfffd
	v_add_co_ci_u32_e64 v17, null, v12, v7, vcc_lo
	scratch_load_b32 v12, off, off offset:56 ; 4-byte Folded Reload
	s_wait_loadcnt 0x0
	v_add_co_u32 v22, vcc_lo, v12, v6
	scratch_load_b32 v12, off, off offset:60 ; 4-byte Folded Reload
	s_wait_loadcnt 0x0
	s_wait_alu 0xfffd
	v_add_co_ci_u32_e64 v23, null, v12, v7, vcc_lo
	global_load_b64 v[124:125], v[16:17], off
	global_load_b64 v[136:137], v[22:23], off
.LBB38_138:                             ;   in Loop: Header=BB38_5 Depth=1
	s_wait_alu 0xfffe
	s_or_b32 exec_lo, exec_lo, s3
	v_mov_b32_e32 v16, 0
	v_dual_mov_b32 v17, 0 :: v_dual_mov_b32 v22, 0
	s_wait_loadcnt 0x1
	v_dual_mov_b32 v13, v138 :: v_dual_mov_b32 v14, v139
	v_mov_b32_e32 v23, 0
	s_and_saveexec_b32 s3, s2
	s_cbranch_execz .LBB38_3
; %bb.139:                              ;   in Loop: Header=BB38_5 Depth=1
	scratch_load_b32 v12, off, off offset:32 ; 4-byte Folded Reload
	s_wait_loadcnt 0x0
	v_add_co_u32 v16, vcc_lo, v12, v6
	scratch_load_b32 v12, off, off offset:36 ; 4-byte Folded Reload
	s_wait_loadcnt 0x0
	s_wait_alu 0xfffd
	v_add_co_ci_u32_e64 v17, null, v12, v7, vcc_lo
	scratch_load_b32 v12, off, off offset:40 ; 4-byte Folded Reload
	s_wait_loadcnt 0x0
	v_add_co_u32 v22, vcc_lo, v12, v6
	scratch_load_b32 v12, off, off offset:44 ; 4-byte Folded Reload
	s_wait_loadcnt 0x0
	s_wait_alu 0xfffd
	v_add_co_ci_u32_e64 v23, null, v12, v7, vcc_lo
	global_load_b64 v[16:17], v[16:17], off
	global_load_b64 v[22:23], v[22:23], off
	s_branch .LBB38_3
.LBB38_140:
                                        ; implicit-def: $vgpr1_vgpr2
                                        ; kill: killed $vgpr1_vgpr2
                                        ; implicit-def: $vgpr1_vgpr2
                                        ; kill: killed $vgpr1_vgpr2
	s_branch .LBB38_143
.LBB38_141:
	scratch_load_b32 v0, off, off offset:604 ; 4-byte Folded Reload
.LBB38_142:
	s_cbranch_execnz .LBB38_219
.LBB38_143:
	v_mov_b32_e32 v1, 0
	v_mov_b32_e32 v2, 0
	s_and_not1_b32 vcc_lo, exec_lo, s31
	scratch_store_b64 off, v[1:2], off      ; 8-byte Folded Spill
	v_mov_b32_e32 v1, 0
	v_mov_b32_e32 v2, 0
	scratch_store_b64 off, v[1:2], off offset:8 ; 8-byte Folded Spill
	s_wait_alu 0xfffe
	s_cbranch_vccnz .LBB38_219
; %bb.144:
	s_wait_loadcnt 0x0
	v_bfe_u32 v1, v0, 10, 10
	s_lshl_b64 s[2:3], s[16:17], 3
	s_mov_b64 s[20:21], 31
	s_mov_b64 s[22:23], s[16:17]
	s_clause 0x1
	scratch_store_b32 off, v0, off offset:604
	scratch_store_b32 off, v1, off offset:596
	v_lshlrev_b32_e32 v205, 5, v1
	v_lshlrev_b32_e32 v1, 8, v1
	v_and_b32_e32 v0, 0x3ff, v0
	s_delay_alu instid0(VALU_DEP_3) | instskip(SKIP_1) | instid1(VALU_DEP_3)
	v_add_co_u32 v175, s18, v205, s16
	s_wait_alu 0xfffe
	v_add_co_u32 v3, s2, v1, s2
	s_wait_alu 0xf1ff
	v_add_co_ci_u32_e64 v4, null, 0, s3, s2
	v_add_co_ci_u32_e64 v133, null, 0, 0, s18
	s_delay_alu instid0(VALU_DEP_3) | instskip(SKIP_1) | instid1(VALU_DEP_3)
	v_add_co_u32 v13, vcc_lo, v3, 8
	s_wait_alu 0xfffd
	v_add_co_ci_u32_e64 v9, null, 0, v4, vcc_lo
	v_add_co_u32 v17, vcc_lo, v3, 16
	v_mul_lo_u32 v7, s7, v175
	s_delay_alu instid0(VALU_DEP_3)
	v_mul_lo_u32 v20, s6, v9
	s_wait_alu 0xfffd
	v_add_co_ci_u32_e64 v9, null, 0, v4, vcc_lo
	v_add_co_u32 v21, vcc_lo, v3, 24
	s_wait_alu 0xfffd
	v_add_co_ci_u32_e64 v11, null, 0, v4, vcc_lo
	v_add_co_u32 v25, vcc_lo, v3, 32
	v_mul_lo_u32 v8, s6, v133
	v_mad_co_u64_u32 v[1:2], null, s6, v175, 0
	s_wait_alu 0xfffd
	v_add_co_ci_u32_e64 v14, null, 0, v4, vcc_lo
	v_add_co_u32 v27, vcc_lo, v3, 40
	s_wait_alu 0xfffd
	v_add_co_ci_u32_e64 v18, null, 0, v4, vcc_lo
	v_mad_co_u64_u32 v[5:6], null, s6, v13, s[8:9]
	v_mul_lo_u32 v19, s7, v13
	v_mul_lo_u32 v28, s6, v14
	v_mad_co_u64_u32 v[13:14], null, s6, v13, s[10:11]
	v_add3_u32 v2, v2, v8, v7
	v_mad_co_u64_u32 v[7:8], null, s6, v17, s[8:9]
	v_mul_lo_u32 v22, s6, v9
	v_mul_lo_u32 v23, s7, v17
	;; [unrolled: 1-line block ×3, first 2 shown]
	v_mad_co_u64_u32 v[17:18], null, s6, v17, s[10:11]
	v_add3_u32 v6, v19, v6, v20
	v_mad_co_u64_u32 v[9:10], null, s6, v21, s[8:9]
	v_mul_lo_u32 v24, s6, v11
	v_mul_lo_u32 v26, s7, v21
	v_add3_u32 v14, v19, v14, v20
	v_mad_co_u64_u32 v[19:20], null, s6, v21, s[10:11]
	v_mad_co_u64_u32 v[11:12], null, s6, v25, s[8:9]
	v_mul_lo_u32 v29, s7, v25
	v_add3_u32 v8, v23, v8, v22
	v_add3_u32 v18, v23, v18, v22
	v_mad_co_u64_u32 v[21:22], null, s6, v25, s[10:11]
	v_add_co_u32 v32, vcc_lo, v3, 48
	v_mad_co_u64_u32 v[15:16], null, s6, v27, s[8:9]
	v_mul_lo_u32 v31, s7, v27
	v_add3_u32 v10, v26, v10, v24
	v_add3_u32 v20, v26, v20, v24
	v_mad_co_u64_u32 v[25:26], null, s6, v27, s[10:11]
	s_wait_alu 0xfffd
	v_add_co_ci_u32_e64 v33, null, 0, v4, vcc_lo
	v_mad_co_u64_u32 v[23:24], null, s6, v32, s[8:9]
	v_add3_u32 v12, v29, v12, v28
	v_add3_u32 v22, v29, v22, v28
	v_mul_lo_u32 v34, s7, v32
	v_mad_co_u64_u32 v[27:28], null, s6, v32, s[10:11]
	v_add_co_u32 v32, vcc_lo, v3, 56
	s_wait_alu 0xfffd
	v_add_co_ci_u32_e64 v35, null, 0, v4, vcc_lo
	v_add_co_u32 v37, vcc_lo, v3, 64
	s_wait_alu 0xfffd
	v_add_co_ci_u32_e64 v38, null, 0, v4, vcc_lo
	v_mul_lo_u32 v33, s6, v33
	v_add3_u32 v16, v31, v16, v30
	v_add3_u32 v26, v31, v26, v30
	v_mad_co_u64_u32 v[29:30], null, s6, v32, s[8:9]
	v_mul_lo_u32 v35, s6, v35
	v_mul_lo_u32 v36, s7, v32
	v_mad_co_u64_u32 v[31:32], null, s6, v32, s[10:11]
	v_add_co_u32 v39, vcc_lo, 0x48, v3
	v_mul_lo_u32 v41, s6, v38
	s_wait_alu 0xfffd
	v_add_co_ci_u32_e64 v38, null, 0, v4, vcc_lo
	v_add_co_u32 v45, vcc_lo, 0x50, v3
	s_wait_alu 0xfffd
	v_add_co_ci_u32_e64 v46, null, 0, v4, vcc_lo
	v_add3_u32 v24, v34, v24, v33
	v_add3_u32 v28, v34, v28, v33
	;; [unrolled: 1-line block ×4, first 2 shown]
	v_mul_lo_u32 v42, s7, v37
	v_mad_co_u64_u32 v[33:34], null, s6, v37, s[8:9]
	v_mad_co_u64_u32 v[35:36], null, s6, v37, s[10:11]
	v_mul_lo_u32 v43, s6, v38
	v_mul_lo_u32 v44, s7, v39
	v_mad_co_u64_u32 v[37:38], null, s6, v39, s[8:9]
	v_mad_co_u64_u32 v[39:40], null, s6, v39, s[10:11]
	v_add_co_u32 v47, vcc_lo, 0x58, v3
	v_mul_lo_u32 v49, s6, v46
	s_wait_alu 0xfffd
	v_add_co_ci_u32_e64 v46, null, 0, v4, vcc_lo
	v_add_co_u32 v53, vcc_lo, 0x60, v3
	s_wait_alu 0xfffd
	v_add_co_ci_u32_e64 v54, null, 0, v4, vcc_lo
	v_add3_u32 v34, v42, v34, v41
	v_add3_u32 v36, v42, v36, v41
	;; [unrolled: 1-line block ×4, first 2 shown]
	v_mul_lo_u32 v50, s7, v45
	v_mad_co_u64_u32 v[41:42], null, s6, v45, s[8:9]
	v_mad_co_u64_u32 v[43:44], null, s6, v45, s[10:11]
	v_mul_lo_u32 v51, s6, v46
	v_mul_lo_u32 v52, s7, v47
	v_mad_co_u64_u32 v[45:46], null, s6, v47, s[8:9]
	v_mad_co_u64_u32 v[47:48], null, s6, v47, s[10:11]
	v_add_co_u32 v55, vcc_lo, 0x68, v3
	v_mul_lo_u32 v57, s6, v54
	s_wait_alu 0xfffd
	v_add_co_ci_u32_e64 v54, null, 0, v4, vcc_lo
	v_add3_u32 v42, v50, v42, v49
	v_add3_u32 v44, v50, v44, v49
	v_add3_u32 v46, v52, v46, v51
	v_add3_u32 v48, v52, v48, v51
	v_mul_lo_u32 v58, s7, v53
	v_mad_co_u64_u32 v[49:50], null, s6, v53, s[8:9]
	v_mad_co_u64_u32 v[51:52], null, s6, v53, s[10:11]
	v_mul_lo_u32 v59, s6, v54
	v_mul_lo_u32 v60, s7, v55
	v_mad_co_u64_u32 v[53:54], null, s6, v55, s[8:9]
	v_mad_co_u64_u32 v[55:56], null, s6, v55, s[10:11]
	v_add_co_u32 v61, vcc_lo, 0x70, v3
	s_wait_alu 0xfffd
	v_add_co_ci_u32_e64 v62, null, 0, v4, vcc_lo
	v_add3_u32 v50, v58, v50, v57
	v_add3_u32 v52, v58, v52, v57
	;; [unrolled: 1-line block ×4, first 2 shown]
	v_mul_lo_u32 v62, s6, v62
	v_mul_lo_u32 v63, s7, v61
	v_mad_co_u64_u32 v[57:58], null, s6, v61, s[8:9]
	v_mad_co_u64_u32 v[59:60], null, s6, v61, s[10:11]
	s_load_b32 s2, s[0:1], 0x44
	s_mov_b32 s3, 0
	v_add3_u32 v58, v63, v58, v62
	v_add3_u32 v60, v63, v60, v62
	v_add_co_u32 v63, vcc_lo, 0x78, v3
	s_wait_alu 0xfffd
	v_add_co_ci_u32_e64 v61, null, 0, v4, vcc_lo
	v_add_co_u32 v67, vcc_lo, 0x80, v3
	s_delay_alu instid0(VALU_DEP_3) | instskip(NEXT) | instid1(VALU_DEP_3)
	v_mul_lo_u32 v66, s7, v63
	v_mul_lo_u32 v65, s6, v61
	v_mad_co_u64_u32 v[61:62], null, s6, v63, s[8:9]
	v_mad_co_u64_u32 v[63:64], null, s6, v63, s[10:11]
	v_mul_lo_u32 v70, s7, v67
	s_delay_alu instid0(VALU_DEP_3) | instskip(NEXT) | instid1(VALU_DEP_3)
	v_add3_u32 v62, v66, v62, v65
	v_add3_u32 v64, v66, v64, v65
	s_wait_alu 0xfffd
	v_add_co_ci_u32_e64 v65, null, 0, v4, vcc_lo
	v_add_co_u32 v71, vcc_lo, 0x88, v3
	s_delay_alu instid0(VALU_DEP_2) | instskip(SKIP_2) | instid1(VALU_DEP_4)
	v_mul_lo_u32 v69, s6, v65
	v_mad_co_u64_u32 v[65:66], null, s6, v67, s[8:9]
	v_mad_co_u64_u32 v[67:68], null, s6, v67, s[10:11]
	v_mul_lo_u32 v74, s7, v71
	s_delay_alu instid0(VALU_DEP_3) | instskip(NEXT) | instid1(VALU_DEP_3)
	v_add3_u32 v66, v70, v66, v69
	v_add3_u32 v68, v70, v68, v69
	s_wait_alu 0xfffd
	v_add_co_ci_u32_e64 v69, null, 0, v4, vcc_lo
	v_add_co_u32 v75, vcc_lo, 0x90, v3
	s_delay_alu instid0(VALU_DEP_2) | instskip(SKIP_2) | instid1(VALU_DEP_4)
	;; [unrolled: 11-line block ×14, first 2 shown]
	v_mul_lo_u32 v121, s6, v117
	v_mad_co_u64_u32 v[117:118], null, s6, v119, s[8:9]
	v_mad_co_u64_u32 v[119:120], null, s6, v119, s[10:11]
	v_mul_lo_u32 v126, s7, v123
	s_delay_alu instid0(VALU_DEP_3) | instskip(NEXT) | instid1(VALU_DEP_3)
	v_add3_u32 v118, v122, v118, v121
	v_add3_u32 v120, v122, v120, v121
	s_wait_alu 0xfffd
	v_add_co_ci_u32_e64 v121, null, 0, v4, vcc_lo
	v_add_co_u32 v3, vcc_lo, 0xf8, v3
	s_wait_alu 0xfffd
	v_add_co_ci_u32_e64 v4, null, 0, v4, vcc_lo
	s_delay_alu instid0(VALU_DEP_3) | instskip(SKIP_2) | instid1(VALU_DEP_4)
	v_mul_lo_u32 v125, s6, v121
	v_mad_co_u64_u32 v[121:122], null, s6, v123, s[8:9]
	v_mad_co_u64_u32 v[123:124], null, s6, v123, s[10:11]
	v_mul_lo_u32 v4, s6, v4
	v_mul_lo_u32 v129, s7, v3
	v_mad_co_u64_u32 v[127:128], null, s6, v3, s[10:11]
	v_add3_u32 v122, v126, v122, v125
	v_add3_u32 v124, v126, v124, v125
	v_mad_co_u64_u32 v[125:126], null, s6, v3, s[8:9]
	v_add_co_u32 v3, vcc_lo, v175, 31
	v_add3_u32 v128, v129, v128, v4
	s_delay_alu instid0(VALU_DEP_2) | instskip(NEXT) | instid1(VALU_DEP_4)
	v_mul_lo_u32 v130, s7, v3
	v_add3_u32 v126, v129, v126, v4
	s_wait_alu 0xfffd
	v_add_co_ci_u32_e64 v4, null, 0, v133, vcc_lo
	s_delay_alu instid0(VALU_DEP_1) | instskip(SKIP_1) | instid1(VALU_DEP_1)
	v_mul_lo_u32 v129, s6, v4
	v_mad_co_u64_u32 v[3:4], null, s6, v3, 0
	v_add3_u32 v4, v4, v129, v130
	v_add_co_u32 v129, vcc_lo, v175, 30
	s_wait_alu 0xfffd
	v_add_co_ci_u32_e64 v130, null, 0, v133, vcc_lo
	s_delay_alu instid0(VALU_DEP_2) | instskip(NEXT) | instid1(VALU_DEP_2)
	v_mul_lo_u32 v132, s7, v129
	v_mul_lo_u32 v131, s6, v130
	v_mad_co_u64_u32 v[129:130], null, s6, v129, 0
	s_delay_alu instid0(VALU_DEP_1) | instskip(SKIP_3) | instid1(VALU_DEP_2)
	v_add3_u32 v130, v130, v131, v132
	v_add_co_u32 v131, vcc_lo, v175, 29
	s_wait_alu 0xfffd
	v_add_co_ci_u32_e64 v132, null, 0, v133, vcc_lo
	v_mul_lo_u32 v135, s7, v131
	s_delay_alu instid0(VALU_DEP_2) | instskip(SKIP_1) | instid1(VALU_DEP_1)
	v_mul_lo_u32 v134, s6, v132
	v_mad_co_u64_u32 v[131:132], null, s6, v131, 0
	v_add3_u32 v132, v132, v134, v135
	v_add_co_u32 v134, vcc_lo, v175, 28
	s_wait_alu 0xfffd
	v_add_co_ci_u32_e64 v135, null, 0, v133, vcc_lo
	s_delay_alu instid0(VALU_DEP_2) | instskip(NEXT) | instid1(VALU_DEP_2)
	v_mul_lo_u32 v137, s7, v134
	v_mul_lo_u32 v136, s6, v135
	v_mad_co_u64_u32 v[134:135], null, s6, v134, 0
	s_delay_alu instid0(VALU_DEP_1) | instskip(SKIP_3) | instid1(VALU_DEP_2)
	v_add3_u32 v135, v135, v136, v137
	v_add_co_u32 v136, vcc_lo, v175, 27
	s_wait_alu 0xfffd
	v_add_co_ci_u32_e64 v137, null, 0, v133, vcc_lo
	v_mul_lo_u32 v139, s7, v136
	s_delay_alu instid0(VALU_DEP_2) | instskip(SKIP_1) | instid1(VALU_DEP_1)
	;; [unrolled: 17-line block ×10, first 2 shown]
	v_mul_lo_u32 v170, s6, v169
	v_mad_co_u64_u32 v[168:169], null, s6, v168, 0
	v_add3_u32 v169, v169, v170, v171
	v_add_co_u32 v170, vcc_lo, v175, 10
	s_wait_alu 0xfffd
	v_add_co_ci_u32_e64 v171, null, 0, v133, vcc_lo
	s_delay_alu instid0(VALU_DEP_2) | instskip(NEXT) | instid1(VALU_DEP_2)
	v_mul_lo_u32 v173, s7, v170
	v_mul_lo_u32 v172, s6, v171
	v_mad_co_u64_u32 v[170:171], null, s6, v170, 0
	s_delay_alu instid0(VALU_DEP_1) | instskip(SKIP_3) | instid1(VALU_DEP_2)
	v_add3_u32 v171, v171, v172, v173
	v_add_co_u32 v172, vcc_lo, v175, 9
	s_wait_alu 0xfffd
	v_add_co_ci_u32_e64 v173, null, 0, v133, vcc_lo
	v_mul_lo_u32 v174, s7, v172
	v_mad_co_u64_u32 v[176:177], null, s6, v172, 0
	s_delay_alu instid0(VALU_DEP_3) | instskip(SKIP_1) | instid1(VALU_DEP_1)
	v_mul_lo_u32 v173, s6, v173
	v_add_co_u32 v172, vcc_lo, v175, 8
	v_mad_co_u64_u32 v[178:179], null, s6, v172, 0
	s_delay_alu instid0(VALU_DEP_3) | instskip(SKIP_4) | instid1(VALU_DEP_3)
	v_add3_u32 v177, v177, v173, v174
	s_wait_alu 0xfffd
	v_add_co_ci_u32_e64 v173, null, 0, v133, vcc_lo
	v_mul_lo_u32 v174, s7, v172
	v_add_co_u32 v172, vcc_lo, v175, 7
	v_mul_lo_u32 v173, s6, v173
	s_delay_alu instid0(VALU_DEP_2) | instskip(NEXT) | instid1(VALU_DEP_2)
	v_mad_co_u64_u32 v[180:181], null, s6, v172, 0
	v_add3_u32 v179, v179, v173, v174
	s_wait_alu 0xfffd
	v_add_co_ci_u32_e64 v173, null, 0, v133, vcc_lo
	v_mul_lo_u32 v174, s7, v172
	v_add_co_u32 v172, vcc_lo, v175, 6
	s_delay_alu instid0(VALU_DEP_3) | instskip(NEXT) | instid1(VALU_DEP_2)
	v_mul_lo_u32 v173, s6, v173
	v_mad_co_u64_u32 v[182:183], null, s6, v172, 0
	s_delay_alu instid0(VALU_DEP_2) | instskip(SKIP_4) | instid1(VALU_DEP_3)
	v_add3_u32 v181, v181, v173, v174
	s_wait_alu 0xfffd
	v_add_co_ci_u32_e64 v173, null, 0, v133, vcc_lo
	v_mul_lo_u32 v174, s7, v172
	v_add_co_u32 v172, vcc_lo, v175, 5
	v_mul_lo_u32 v173, s6, v173
	s_delay_alu instid0(VALU_DEP_2) | instskip(NEXT) | instid1(VALU_DEP_2)
	v_mad_co_u64_u32 v[184:185], null, s6, v172, 0
	v_add3_u32 v183, v183, v173, v174
	s_wait_alu 0xfffd
	v_add_co_ci_u32_e64 v173, null, 0, v133, vcc_lo
	v_mul_lo_u32 v174, s7, v172
	v_add_co_u32 v172, vcc_lo, v175, 4
	s_delay_alu instid0(VALU_DEP_3) | instskip(NEXT) | instid1(VALU_DEP_2)
	v_mul_lo_u32 v173, s6, v173
	v_mad_co_u64_u32 v[187:188], null, s6, v172, 0
	s_delay_alu instid0(VALU_DEP_2) | instskip(SKIP_4) | instid1(VALU_DEP_3)
	v_add3_u32 v185, v185, v173, v174
	s_wait_alu 0xfffd
	v_add_co_ci_u32_e64 v173, null, 0, v133, vcc_lo
	v_mul_lo_u32 v174, s7, v172
	v_add_co_u32 v172, vcc_lo, v175, 3
	v_mul_lo_u32 v173, s6, v173
	s_delay_alu instid0(VALU_DEP_2) | instskip(NEXT) | instid1(VALU_DEP_2)
	v_mad_co_u64_u32 v[189:190], null, s6, v172, 0
	v_add3_u32 v188, v188, v173, v174
	s_wait_alu 0xfffd
	v_add_co_ci_u32_e64 v173, null, 0, v133, vcc_lo
	v_mul_lo_u32 v174, s7, v172
	s_delay_alu instid0(VALU_DEP_2) | instskip(NEXT) | instid1(VALU_DEP_1)
	v_mul_lo_u32 v173, s6, v173
	v_add3_u32 v190, v190, v173, v174
	v_add_co_u32 v173, vcc_lo, v175, 2
	s_wait_alu 0xfffd
	v_add_co_ci_u32_e64 v133, null, 0, v133, vcc_lo
	v_add_co_u32 v199, vcc_lo, v1, s6
	s_wait_alu 0xfffd
	v_add_co_ci_u32_e64 v200, null, s7, v2, vcc_lo
	v_lshlrev_b64_e32 v[1:2], 3, v[1:2]
	v_mul_lo_u32 v172, s7, v173
	v_mad_co_u64_u32 v[193:194], null, s6, v173, 0
	v_mul_lo_u32 v133, s6, v133
	s_delay_alu instid0(VALU_DEP_4)
	v_add_co_u32 v210, vcc_lo, s8, v1
	s_wait_alu 0xfffd
	v_add_co_ci_u32_e64 v173, null, s9, v2, vcc_lo
	v_add_co_u32 v174, vcc_lo, s10, v1
	s_wait_alu 0xfffd
	v_add_co_ci_u32_e64 v175, null, s11, v2, vcc_lo
	v_lshlrev_b64_e32 v[1:2], 3, v[3:4]
	v_add3_u32 v194, v194, v133, v172
	s_delay_alu instid0(VALU_DEP_2)
	v_add_co_u32 v3, vcc_lo, s8, v1
	scratch_store_b32 off, v3, off offset:16 ; 4-byte Folded Spill
	s_wait_alu 0xfffd
	v_add_co_ci_u32_e64 v3, null, s9, v2, vcc_lo
	v_add_co_u32 v1, vcc_lo, s10, v1
	s_clause 0x1
	scratch_store_b32 off, v3, off offset:20
	scratch_store_b32 off, v1, off offset:24
	s_wait_alu 0xfffd
	v_add_co_ci_u32_e64 v1, null, s11, v2, vcc_lo
	scratch_store_b32 off, v1, off offset:28 ; 4-byte Folded Spill
	v_lshlrev_b64_e32 v[1:2], 3, v[129:130]
	v_mov_b32_e32 v130, 0
	s_delay_alu instid0(VALU_DEP_2) | instskip(NEXT) | instid1(VALU_DEP_2)
	v_add_co_u32 v3, vcc_lo, s8, v1
	v_mov_b32_e32 v209, v130
	scratch_store_b32 off, v0, off offset:600 ; 4-byte Folded Spill
	v_add_nc_u32_e32 v129, s30, v0
	scratch_store_b32 off, v3, off offset:32 ; 4-byte Folded Spill
	s_wait_alu 0xfffd
	v_add_co_ci_u32_e64 v3, null, s9, v2, vcc_lo
	v_add_co_u32 v1, vcc_lo, s10, v1
	s_clause 0x1
	scratch_store_b32 off, v3, off offset:36
	scratch_store_b32 off, v1, off offset:40
	s_wait_alu 0xfffd
	v_add_co_ci_u32_e64 v1, null, s11, v2, vcc_lo
	scratch_store_b32 off, v1, off offset:44 ; 4-byte Folded Spill
	v_lshlrev_b64_e32 v[1:2], 3, v[131:132]
	s_delay_alu instid0(VALU_DEP_1)
	v_add_co_u32 v3, vcc_lo, s8, v1
	scratch_store_b32 off, v3, off offset:48 ; 4-byte Folded Spill
	s_wait_alu 0xfffd
	v_add_co_ci_u32_e64 v3, null, s9, v2, vcc_lo
	v_add_co_u32 v1, vcc_lo, s10, v1
	s_clause 0x1
	scratch_store_b32 off, v3, off offset:52
	scratch_store_b32 off, v1, off offset:56
	s_wait_alu 0xfffd
	v_add_co_ci_u32_e64 v1, null, s11, v2, vcc_lo
	scratch_store_b32 off, v1, off offset:60 ; 4-byte Folded Spill
	v_lshlrev_b64_e32 v[1:2], 3, v[134:135]
	s_delay_alu instid0(VALU_DEP_1)
	v_add_co_u32 v3, vcc_lo, s8, v1
	;; [unrolled: 13-line block ×25, first 2 shown]
	scratch_store_b32 off, v3, off offset:436 ; 4-byte Folded Spill
	s_wait_alu 0xfffd
	v_add_co_ci_u32_e64 v3, null, s9, v2, vcc_lo
	v_add_co_u32 v1, vcc_lo, s10, v1
	scratch_store_b32 off, v1, off offset:444 ; 4-byte Folded Spill
	s_wait_alu 0xfffd
	v_add_co_ci_u32_e64 v1, null, s11, v2, vcc_lo
	scratch_store_b32 off, v1, off offset:448 ; 4-byte Folded Spill
	v_lshlrev_b64_e32 v[1:2], 3, v[187:188]
	s_delay_alu instid0(VALU_DEP_1) | instskip(SKIP_1) | instid1(VALU_DEP_2)
	v_add_co_u32 v187, vcc_lo, s8, v1
	s_wait_alu 0xfffd
	v_add_co_ci_u32_e64 v176, null, s9, v2, vcc_lo
	v_add_co_u32 v255, vcc_lo, s10, v1
	s_wait_alu 0xfffd
	v_add_co_ci_u32_e64 v188, null, s11, v2, vcc_lo
	v_lshlrev_b64_e32 v[1:2], 3, v[189:190]
	s_delay_alu instid0(VALU_DEP_1) | instskip(SKIP_1) | instid1(VALU_DEP_2)
	v_add_co_u32 v191, vcc_lo, s8, v1
	s_wait_alu 0xfffd
	v_add_co_ci_u32_e64 v192, null, s9, v2, vcc_lo
	v_add_co_u32 v195, vcc_lo, s10, v1
	s_wait_alu 0xfffd
	v_add_co_ci_u32_e64 v196, null, s11, v2, vcc_lo
	;; [unrolled: 8-line block ×3, first 2 shown]
	v_lshlrev_b64_e32 v[1:2], 3, v[199:200]
	s_delay_alu instid0(VALU_DEP_1) | instskip(SKIP_1) | instid1(VALU_DEP_2)
	v_add_co_u32 v203, vcc_lo, s8, v1
	s_wait_alu 0xfffd
	v_add_co_ci_u32_e64 v204, null, s9, v2, vcc_lo
	v_add_co_u32 v207, vcc_lo, s10, v1
	v_mov_b32_e32 v0, 0
	v_mov_b32_e32 v1, 0
	s_wait_kmcnt 0x0
	s_lshl_b32 s8, s2, 5
	s_wait_alu 0xfffe
	s_mov_b32 s9, s3
	v_lshlrev_b64_e32 v[131:132], 3, v[129:130]
	s_wait_alu 0xfffd
	v_add_co_ci_u32_e64 v208, null, s11, v2, vcc_lo
	scratch_store_b64 off, v[0:1], off offset:8 ; 8-byte Folded Spill
	v_mov_b32_e32 v0, 0
	v_mov_b32_e32 v1, 0
	s_wait_alu 0xfffe
	s_mul_u64 s[18:19], s[6:7], s[8:9]
	s_add_nc_u64 s[10:11], s[0:1], 64
	s_wait_alu 0xfffe
	s_lshl_b64 s[18:19], s[18:19], 3
	s_clause 0x1
	scratch_store_b32 off, v3, off offset:440
	scratch_store_b64 off, v[0:1], off
	s_branch .LBB38_147
.LBB38_145:                             ;   in Loop: Header=BB38_147 Depth=1
	s_wait_alu 0xfffe
	s_or_b32 exec_lo, exec_lo, s2
	v_add_co_u32 v1, vcc_lo, v174, v131
	s_wait_alu 0xfffd
	v_add_co_ci_u32_e64 v2, null, v175, v132, vcc_lo
	s_wait_loadcnt 0x1
	ds_bpermute_b32 v3, v130, v133
	ds_bpermute_b32 v4, v130, v134
	scratch_load_b64 v[139:140], off, off offset:8 th:TH_LOAD_LU ; 8-byte Folded Reload
	global_load_b64 v[1:2], v[1:2], off
	s_wait_loadcnt 0x2
	ds_bpermute_b32 v141, v130, v135 offset:4
	ds_bpermute_b32 v142, v130, v136 offset:4
	;; [unrolled: 1-line block ×60, first 2 shown]
	s_wait_loadcnt_dscnt 0x3c
	v_add_f64_e64 v[1:2], v[1:2], -v[3:4]
	v_add_co_u32 v3, vcc_lo, v210, v131
	s_wait_alu 0xfffd
	v_add_co_ci_u32_e64 v4, null, v173, v132, vcc_lo
	global_load_b64 v[137:138], v[3:4], off
	ds_bpermute_b32 v3, v130, v135
	ds_bpermute_b32 v4, v130, v136
	s_wait_loadcnt 0x0
	v_mul_f64_e32 v[1:2], v[137:138], v[1:2]
	s_wait_dscnt 0x0
	s_delay_alu instid0(VALU_DEP_1)
	v_fma_f64 v[1:2], v[1:2], v[3:4], v[139:140]
	v_add_co_u32 v3, vcc_lo, v13, v131
	s_wait_alu 0xfffd
	v_add_co_ci_u32_e64 v4, null, v14, v132, vcc_lo
	ds_bpermute_b32 v139, v130, v133 offset:4
	ds_bpermute_b32 v140, v130, v134 offset:4
	global_load_b64 v[3:4], v[3:4], off
	s_wait_loadcnt_dscnt 0x0
	v_add_f64_e64 v[139:140], v[3:4], -v[139:140]
	v_add_co_u32 v3, vcc_lo, v5, v131
	s_wait_alu 0xfffd
	v_add_co_ci_u32_e64 v4, null, v6, v132, vcc_lo
	global_load_b64 v[3:4], v[3:4], off
	s_wait_loadcnt 0x0
	v_mul_f64_e32 v[139:140], v[3:4], v[139:140]
	s_delay_alu instid0(VALU_DEP_1)
	v_fma_f64 v[1:2], v[139:140], v[141:142], v[1:2]
	v_add_co_u32 v139, vcc_lo, v17, v131
	s_wait_alu 0xfffd
	v_add_co_ci_u32_e64 v140, null, v18, v132, vcc_lo
	ds_bpermute_b32 v141, v130, v133 offset:8
	ds_bpermute_b32 v142, v130, v134 offset:8
	global_load_b64 v[139:140], v[139:140], off
	s_wait_loadcnt_dscnt 0x0
	v_add_f64_e64 v[141:142], v[139:140], -v[141:142]
	v_add_co_u32 v139, vcc_lo, v7, v131
	s_wait_alu 0xfffd
	v_add_co_ci_u32_e64 v140, null, v8, v132, vcc_lo
	global_load_b64 v[139:140], v[139:140], off
	s_wait_loadcnt 0x0
	v_mul_f64_e32 v[141:142], v[139:140], v[141:142]
	s_delay_alu instid0(VALU_DEP_1)
	v_fma_f64 v[1:2], v[141:142], v[143:144], v[1:2]
	v_add_co_u32 v141, vcc_lo, v19, v131
	s_wait_alu 0xfffd
	v_add_co_ci_u32_e64 v142, null, v20, v132, vcc_lo
	ds_bpermute_b32 v143, v130, v133 offset:12
	ds_bpermute_b32 v144, v130, v134 offset:12
	global_load_b64 v[141:142], v[141:142], off
	s_wait_loadcnt_dscnt 0x0
	v_add_f64_e64 v[143:144], v[141:142], -v[143:144]
	v_add_co_u32 v141, vcc_lo, v9, v131
	s_wait_alu 0xfffd
	v_add_co_ci_u32_e64 v142, null, v10, v132, vcc_lo
	global_load_b64 v[141:142], v[141:142], off
	s_wait_loadcnt 0x0
	v_mul_f64_e32 v[143:144], v[141:142], v[143:144]
	s_delay_alu instid0(VALU_DEP_1)
	v_fma_f64 v[1:2], v[143:144], v[145:146], v[1:2]
	v_add_co_u32 v143, vcc_lo, v21, v131
	s_wait_alu 0xfffd
	v_add_co_ci_u32_e64 v144, null, v22, v132, vcc_lo
	ds_bpermute_b32 v145, v130, v133 offset:16
	ds_bpermute_b32 v146, v130, v134 offset:16
	global_load_b64 v[143:144], v[143:144], off
	s_wait_loadcnt_dscnt 0x0
	v_add_f64_e64 v[145:146], v[143:144], -v[145:146]
	v_add_co_u32 v143, vcc_lo, v11, v131
	s_wait_alu 0xfffd
	v_add_co_ci_u32_e64 v144, null, v12, v132, vcc_lo
	global_load_b64 v[143:144], v[143:144], off
	s_wait_loadcnt 0x0
	v_mul_f64_e32 v[145:146], v[143:144], v[145:146]
	s_delay_alu instid0(VALU_DEP_1)
	v_fma_f64 v[1:2], v[145:146], v[147:148], v[1:2]
	v_add_co_u32 v145, vcc_lo, v25, v131
	s_wait_alu 0xfffd
	v_add_co_ci_u32_e64 v146, null, v26, v132, vcc_lo
	ds_bpermute_b32 v147, v130, v133 offset:20
	ds_bpermute_b32 v148, v130, v134 offset:20
	global_load_b64 v[145:146], v[145:146], off
	s_wait_loadcnt_dscnt 0x0
	v_add_f64_e64 v[147:148], v[145:146], -v[147:148]
	v_add_co_u32 v145, vcc_lo, v15, v131
	s_wait_alu 0xfffd
	v_add_co_ci_u32_e64 v146, null, v16, v132, vcc_lo
	global_load_b64 v[145:146], v[145:146], off
	s_wait_loadcnt 0x0
	v_mul_f64_e32 v[147:148], v[145:146], v[147:148]
	s_delay_alu instid0(VALU_DEP_1)
	v_fma_f64 v[1:2], v[147:148], v[149:150], v[1:2]
	v_add_co_u32 v147, vcc_lo, v27, v131
	s_wait_alu 0xfffd
	v_add_co_ci_u32_e64 v148, null, v28, v132, vcc_lo
	ds_bpermute_b32 v149, v130, v133 offset:24
	ds_bpermute_b32 v150, v130, v134 offset:24
	global_load_b64 v[147:148], v[147:148], off
	s_wait_loadcnt_dscnt 0x0
	v_add_f64_e64 v[149:150], v[147:148], -v[149:150]
	v_add_co_u32 v147, vcc_lo, v23, v131
	s_wait_alu 0xfffd
	v_add_co_ci_u32_e64 v148, null, v24, v132, vcc_lo
	global_load_b64 v[147:148], v[147:148], off
	s_wait_loadcnt 0x0
	v_mul_f64_e32 v[149:150], v[147:148], v[149:150]
	s_delay_alu instid0(VALU_DEP_1)
	v_fma_f64 v[149:150], v[149:150], v[151:152], v[1:2]
	v_add_co_u32 v1, vcc_lo, v31, v131
	s_wait_alu 0xfffd
	v_add_co_ci_u32_e64 v2, null, v32, v132, vcc_lo
	ds_bpermute_b32 v151, v130, v133 offset:28
	ds_bpermute_b32 v152, v130, v134 offset:28
	global_load_b64 v[1:2], v[1:2], off
	s_wait_loadcnt_dscnt 0x0
	v_add_f64_e64 v[151:152], v[1:2], -v[151:152]
	v_add_co_u32 v1, vcc_lo, v29, v131
	s_wait_alu 0xfffd
	v_add_co_ci_u32_e64 v2, null, v30, v132, vcc_lo
	global_load_b64 v[1:2], v[1:2], off
	s_wait_loadcnt 0x0
	v_mul_f64_e32 v[151:152], v[1:2], v[151:152]
	s_delay_alu instid0(VALU_DEP_1)
	v_fma_f64 v[151:152], v[151:152], v[153:154], v[149:150]
	v_add_co_u32 v149, vcc_lo, v35, v131
	s_wait_alu 0xfffd
	v_add_co_ci_u32_e64 v150, null, v36, v132, vcc_lo
	ds_bpermute_b32 v153, v130, v133 offset:32
	ds_bpermute_b32 v154, v130, v134 offset:32
	global_load_b64 v[149:150], v[149:150], off
	s_wait_loadcnt_dscnt 0x0
	v_add_f64_e64 v[153:154], v[149:150], -v[153:154]
	v_add_co_u32 v149, vcc_lo, v33, v131
	s_wait_alu 0xfffd
	v_add_co_ci_u32_e64 v150, null, v34, v132, vcc_lo
	global_load_b64 v[149:150], v[149:150], off
	s_wait_loadcnt 0x0
	v_mul_f64_e32 v[153:154], v[149:150], v[153:154]
	s_delay_alu instid0(VALU_DEP_1)
	v_fma_f64 v[153:154], v[153:154], v[155:156], v[151:152]
	v_add_co_u32 v151, vcc_lo, v39, v131
	s_wait_alu 0xfffd
	v_add_co_ci_u32_e64 v152, null, v40, v132, vcc_lo
	ds_bpermute_b32 v155, v130, v133 offset:36
	ds_bpermute_b32 v156, v130, v134 offset:36
	global_load_b64 v[151:152], v[151:152], off
	s_wait_loadcnt_dscnt 0x0
	v_add_f64_e64 v[155:156], v[151:152], -v[155:156]
	v_add_co_u32 v151, vcc_lo, v37, v131
	s_wait_alu 0xfffd
	v_add_co_ci_u32_e64 v152, null, v38, v132, vcc_lo
	global_load_b64 v[151:152], v[151:152], off
	s_wait_loadcnt 0x0
	v_mul_f64_e32 v[155:156], v[151:152], v[155:156]
	s_delay_alu instid0(VALU_DEP_1)
	v_fma_f64 v[155:156], v[155:156], v[157:158], v[153:154]
	v_add_co_u32 v153, vcc_lo, v43, v131
	s_wait_alu 0xfffd
	v_add_co_ci_u32_e64 v154, null, v44, v132, vcc_lo
	ds_bpermute_b32 v157, v130, v133 offset:40
	ds_bpermute_b32 v158, v130, v134 offset:40
	global_load_b64 v[153:154], v[153:154], off
	s_wait_loadcnt_dscnt 0x0
	v_add_f64_e64 v[157:158], v[153:154], -v[157:158]
	v_add_co_u32 v153, vcc_lo, v41, v131
	s_wait_alu 0xfffd
	v_add_co_ci_u32_e64 v154, null, v42, v132, vcc_lo
	global_load_b64 v[153:154], v[153:154], off
	s_wait_loadcnt 0x0
	v_mul_f64_e32 v[157:158], v[153:154], v[157:158]
	s_delay_alu instid0(VALU_DEP_1)
	v_fma_f64 v[157:158], v[157:158], v[159:160], v[155:156]
	v_add_co_u32 v155, vcc_lo, v47, v131
	s_wait_alu 0xfffd
	v_add_co_ci_u32_e64 v156, null, v48, v132, vcc_lo
	ds_bpermute_b32 v159, v130, v133 offset:44
	ds_bpermute_b32 v160, v130, v134 offset:44
	global_load_b64 v[155:156], v[155:156], off
	s_wait_loadcnt_dscnt 0x0
	v_add_f64_e64 v[159:160], v[155:156], -v[159:160]
	v_add_co_u32 v155, vcc_lo, v45, v131
	s_wait_alu 0xfffd
	v_add_co_ci_u32_e64 v156, null, v46, v132, vcc_lo
	global_load_b64 v[155:156], v[155:156], off
	s_wait_loadcnt 0x0
	v_mul_f64_e32 v[159:160], v[155:156], v[159:160]
	s_delay_alu instid0(VALU_DEP_1)
	v_fma_f64 v[159:160], v[159:160], v[161:162], v[157:158]
	v_add_co_u32 v157, vcc_lo, v51, v131
	s_wait_alu 0xfffd
	v_add_co_ci_u32_e64 v158, null, v52, v132, vcc_lo
	ds_bpermute_b32 v161, v130, v133 offset:48
	ds_bpermute_b32 v162, v130, v134 offset:48
	global_load_b64 v[157:158], v[157:158], off
	s_wait_loadcnt_dscnt 0x0
	v_add_f64_e64 v[161:162], v[157:158], -v[161:162]
	v_add_co_u32 v157, vcc_lo, v49, v131
	s_wait_alu 0xfffd
	v_add_co_ci_u32_e64 v158, null, v50, v132, vcc_lo
	global_load_b64 v[157:158], v[157:158], off
	s_wait_loadcnt 0x0
	v_mul_f64_e32 v[161:162], v[157:158], v[161:162]
	s_delay_alu instid0(VALU_DEP_1)
	v_fma_f64 v[161:162], v[161:162], v[163:164], v[159:160]
	v_add_co_u32 v159, vcc_lo, v55, v131
	s_wait_alu 0xfffd
	v_add_co_ci_u32_e64 v160, null, v56, v132, vcc_lo
	ds_bpermute_b32 v163, v130, v133 offset:52
	ds_bpermute_b32 v164, v130, v134 offset:52
	global_load_b64 v[159:160], v[159:160], off
	s_wait_loadcnt_dscnt 0x0
	v_add_f64_e64 v[163:164], v[159:160], -v[163:164]
	v_add_co_u32 v159, vcc_lo, v53, v131
	s_wait_alu 0xfffd
	v_add_co_ci_u32_e64 v160, null, v54, v132, vcc_lo
	global_load_b64 v[159:160], v[159:160], off
	s_wait_loadcnt 0x0
	v_mul_f64_e32 v[163:164], v[159:160], v[163:164]
	s_delay_alu instid0(VALU_DEP_1)
	v_fma_f64 v[161:162], v[163:164], v[165:166], v[161:162]
	v_add_co_u32 v163, vcc_lo, v59, v131
	s_wait_alu 0xfffd
	v_add_co_ci_u32_e64 v164, null, v60, v132, vcc_lo
	ds_bpermute_b32 v165, v130, v133 offset:56
	ds_bpermute_b32 v166, v130, v134 offset:56
	global_load_b64 v[163:164], v[163:164], off
	s_wait_loadcnt_dscnt 0x0
	v_add_f64_e64 v[163:164], v[163:164], -v[165:166]
	v_add_co_u32 v165, vcc_lo, v57, v131
	s_wait_alu 0xfffd
	v_add_co_ci_u32_e64 v166, null, v58, v132, vcc_lo
	global_load_b64 v[165:166], v[165:166], off
	s_wait_loadcnt 0x0
	v_mul_f64_e32 v[163:164], v[165:166], v[163:164]
	s_delay_alu instid0(VALU_DEP_1)
	v_fma_f64 v[161:162], v[163:164], v[167:168], v[161:162]
	v_add_co_u32 v163, vcc_lo, v63, v131
	s_wait_alu 0xfffd
	v_add_co_ci_u32_e64 v164, null, v64, v132, vcc_lo
	ds_bpermute_b32 v167, v130, v133 offset:60
	ds_bpermute_b32 v168, v130, v134 offset:60
	global_load_b64 v[163:164], v[163:164], off
	s_wait_loadcnt_dscnt 0x0
	v_add_f64_e64 v[163:164], v[163:164], -v[167:168]
	v_add_co_u32 v167, vcc_lo, v61, v131
	s_wait_alu 0xfffd
	v_add_co_ci_u32_e64 v168, null, v62, v132, vcc_lo
	global_load_b64 v[167:168], v[167:168], off
	s_wait_loadcnt 0x0
	v_mul_f64_e32 v[163:164], v[167:168], v[163:164]
	s_delay_alu instid0(VALU_DEP_1)
	v_fma_f64 v[161:162], v[163:164], v[169:170], v[161:162]
	v_add_co_u32 v163, vcc_lo, v67, v131
	s_wait_alu 0xfffd
	v_add_co_ci_u32_e64 v164, null, v68, v132, vcc_lo
	ds_bpermute_b32 v169, v130, v133 offset:64
	ds_bpermute_b32 v170, v130, v134 offset:64
	global_load_b64 v[163:164], v[163:164], off
	s_wait_loadcnt_dscnt 0x0
	v_add_f64_e64 v[163:164], v[163:164], -v[169:170]
	v_add_co_u32 v169, vcc_lo, v65, v131
	s_wait_alu 0xfffd
	v_add_co_ci_u32_e64 v170, null, v66, v132, vcc_lo
	global_load_b64 v[169:170], v[169:170], off
	s_wait_loadcnt 0x0
	v_mul_f64_e32 v[163:164], v[169:170], v[163:164]
	s_delay_alu instid0(VALU_DEP_1)
	v_fma_f64 v[161:162], v[163:164], v[171:172], v[161:162]
	v_add_co_u32 v163, vcc_lo, v71, v131
	s_wait_alu 0xfffd
	v_add_co_ci_u32_e64 v164, null, v72, v132, vcc_lo
	ds_bpermute_b32 v171, v130, v133 offset:68
	ds_bpermute_b32 v172, v130, v134 offset:68
	global_load_b64 v[163:164], v[163:164], off
	s_wait_loadcnt_dscnt 0x0
	v_add_f64_e64 v[163:164], v[163:164], -v[171:172]
	v_add_co_u32 v171, vcc_lo, v69, v131
	s_wait_alu 0xfffd
	v_add_co_ci_u32_e64 v172, null, v70, v132, vcc_lo
	global_load_b64 v[171:172], v[171:172], off
	s_wait_loadcnt 0x0
	v_mul_f64_e32 v[163:164], v[171:172], v[163:164]
	s_delay_alu instid0(VALU_DEP_1)
	v_fma_f64 v[161:162], v[163:164], v[177:178], v[161:162]
	v_add_co_u32 v163, vcc_lo, v75, v131
	s_wait_alu 0xfffd
	v_add_co_ci_u32_e64 v164, null, v76, v132, vcc_lo
	ds_bpermute_b32 v177, v130, v133 offset:72
	ds_bpermute_b32 v178, v130, v134 offset:72
	global_load_b64 v[163:164], v[163:164], off
	s_wait_loadcnt_dscnt 0x0
	v_add_f64_e64 v[163:164], v[163:164], -v[177:178]
	v_add_co_u32 v177, vcc_lo, v73, v131
	s_wait_alu 0xfffd
	v_add_co_ci_u32_e64 v178, null, v74, v132, vcc_lo
	global_load_b64 v[177:178], v[177:178], off
	s_wait_loadcnt 0x0
	v_mul_f64_e32 v[163:164], v[177:178], v[163:164]
	s_delay_alu instid0(VALU_DEP_1)
	v_fma_f64 v[161:162], v[163:164], v[179:180], v[161:162]
	v_add_co_u32 v163, vcc_lo, v79, v131
	s_wait_alu 0xfffd
	v_add_co_ci_u32_e64 v164, null, v80, v132, vcc_lo
	ds_bpermute_b32 v179, v130, v133 offset:76
	ds_bpermute_b32 v180, v130, v134 offset:76
	global_load_b64 v[163:164], v[163:164], off
	s_wait_loadcnt_dscnt 0x0
	v_add_f64_e64 v[163:164], v[163:164], -v[179:180]
	v_add_co_u32 v179, vcc_lo, v77, v131
	s_wait_alu 0xfffd
	v_add_co_ci_u32_e64 v180, null, v78, v132, vcc_lo
	global_load_b64 v[179:180], v[179:180], off
	s_wait_loadcnt 0x0
	v_mul_f64_e32 v[163:164], v[179:180], v[163:164]
	s_delay_alu instid0(VALU_DEP_1)
	v_fma_f64 v[161:162], v[163:164], v[189:190], v[161:162]
	v_add_co_u32 v163, vcc_lo, v83, v131
	s_wait_alu 0xfffd
	v_add_co_ci_u32_e64 v164, null, v84, v132, vcc_lo
	ds_bpermute_b32 v189, v130, v133 offset:80
	ds_bpermute_b32 v190, v130, v134 offset:80
	global_load_b64 v[163:164], v[163:164], off
	s_wait_loadcnt_dscnt 0x0
	v_add_f64_e64 v[163:164], v[163:164], -v[189:190]
	v_add_co_u32 v189, vcc_lo, v81, v131
	s_wait_alu 0xfffd
	v_add_co_ci_u32_e64 v190, null, v82, v132, vcc_lo
	global_load_b64 v[189:190], v[189:190], off
	s_wait_loadcnt 0x0
	v_mul_f64_e32 v[163:164], v[189:190], v[163:164]
	s_delay_alu instid0(VALU_DEP_1)
	v_fma_f64 v[161:162], v[163:164], v[193:194], v[161:162]
	v_add_co_u32 v163, vcc_lo, v87, v131
	s_wait_alu 0xfffd
	v_add_co_ci_u32_e64 v164, null, v88, v132, vcc_lo
	ds_bpermute_b32 v193, v130, v133 offset:84
	ds_bpermute_b32 v194, v130, v134 offset:84
	global_load_b64 v[163:164], v[163:164], off
	s_wait_loadcnt_dscnt 0x0
	v_add_f64_e64 v[163:164], v[163:164], -v[193:194]
	v_add_co_u32 v193, vcc_lo, v85, v131
	s_wait_alu 0xfffd
	v_add_co_ci_u32_e64 v194, null, v86, v132, vcc_lo
	global_load_b64 v[193:194], v[193:194], off
	s_wait_loadcnt 0x0
	v_mul_f64_e32 v[163:164], v[193:194], v[163:164]
	s_delay_alu instid0(VALU_DEP_1)
	v_fma_f64 v[161:162], v[163:164], v[199:200], v[161:162]
	v_add_co_u32 v163, vcc_lo, v91, v131
	s_wait_alu 0xfffd
	v_add_co_ci_u32_e64 v164, null, v92, v132, vcc_lo
	ds_bpermute_b32 v199, v130, v133 offset:88
	ds_bpermute_b32 v200, v130, v134 offset:88
	global_load_b64 v[163:164], v[163:164], off
	s_wait_loadcnt_dscnt 0x0
	v_add_f64_e64 v[163:164], v[163:164], -v[199:200]
	v_add_co_u32 v199, vcc_lo, v89, v131
	s_wait_alu 0xfffd
	v_add_co_ci_u32_e64 v200, null, v90, v132, vcc_lo
	global_load_b64 v[199:200], v[199:200], off
	s_wait_loadcnt 0x0
	v_mul_f64_e32 v[163:164], v[199:200], v[163:164]
	s_delay_alu instid0(VALU_DEP_1)
	v_fma_f64 v[161:162], v[163:164], v[205:206], v[161:162]
	v_add_co_u32 v163, vcc_lo, v95, v131
	s_wait_alu 0xfffd
	v_add_co_ci_u32_e64 v164, null, v96, v132, vcc_lo
	ds_bpermute_b32 v205, v130, v133 offset:92
	ds_bpermute_b32 v206, v130, v134 offset:92
	global_load_b64 v[163:164], v[163:164], off
	s_wait_loadcnt_dscnt 0x0
	v_add_f64_e64 v[163:164], v[163:164], -v[205:206]
	v_add_co_u32 v205, vcc_lo, v93, v131
	s_wait_alu 0xfffd
	v_add_co_ci_u32_e64 v206, null, v94, v132, vcc_lo
	global_load_b64 v[205:206], v[205:206], off
	s_wait_loadcnt 0x0
	v_mul_f64_e32 v[163:164], v[205:206], v[163:164]
	s_delay_alu instid0(VALU_DEP_1)
	v_fma_f64 v[161:162], v[163:164], v[211:212], v[161:162]
	v_add_co_u32 v163, vcc_lo, v99, v131
	s_wait_alu 0xfffd
	v_add_co_ci_u32_e64 v164, null, v100, v132, vcc_lo
	ds_bpermute_b32 v211, v130, v133 offset:96
	ds_bpermute_b32 v212, v130, v134 offset:96
	global_load_b64 v[163:164], v[163:164], off
	s_wait_loadcnt_dscnt 0x0
	v_add_f64_e64 v[163:164], v[163:164], -v[211:212]
	v_add_co_u32 v211, vcc_lo, v97, v131
	s_wait_alu 0xfffd
	v_add_co_ci_u32_e64 v212, null, v98, v132, vcc_lo
	global_load_b64 v[211:212], v[211:212], off
	s_wait_loadcnt 0x0
	v_mul_f64_e32 v[163:164], v[211:212], v[163:164]
	s_delay_alu instid0(VALU_DEP_1)
	v_fma_f64 v[161:162], v[163:164], v[217:218], v[161:162]
	v_add_co_u32 v163, vcc_lo, v103, v131
	s_wait_alu 0xfffd
	v_add_co_ci_u32_e64 v164, null, v104, v132, vcc_lo
	ds_bpermute_b32 v217, v130, v133 offset:100
	ds_bpermute_b32 v218, v130, v134 offset:100
	global_load_b64 v[163:164], v[163:164], off
	s_wait_loadcnt_dscnt 0x0
	v_add_f64_e64 v[163:164], v[163:164], -v[217:218]
	v_add_co_u32 v217, vcc_lo, v101, v131
	s_wait_alu 0xfffd
	v_add_co_ci_u32_e64 v218, null, v102, v132, vcc_lo
	global_load_b64 v[217:218], v[217:218], off
	s_wait_loadcnt 0x0
	v_mul_f64_e32 v[163:164], v[217:218], v[163:164]
	s_delay_alu instid0(VALU_DEP_1)
	v_fma_f64 v[161:162], v[163:164], v[223:224], v[161:162]
	v_add_co_u32 v163, vcc_lo, v107, v131
	s_wait_alu 0xfffd
	v_add_co_ci_u32_e64 v164, null, v108, v132, vcc_lo
	ds_bpermute_b32 v223, v130, v133 offset:104
	ds_bpermute_b32 v224, v130, v134 offset:104
	global_load_b64 v[163:164], v[163:164], off
	s_wait_loadcnt_dscnt 0x0
	v_add_f64_e64 v[163:164], v[163:164], -v[223:224]
	v_add_co_u32 v223, vcc_lo, v105, v131
	s_wait_alu 0xfffd
	v_add_co_ci_u32_e64 v224, null, v106, v132, vcc_lo
	global_load_b64 v[223:224], v[223:224], off
	s_wait_loadcnt 0x0
	v_mul_f64_e32 v[163:164], v[223:224], v[163:164]
	s_delay_alu instid0(VALU_DEP_1)
	v_fma_f64 v[161:162], v[163:164], v[229:230], v[161:162]
	v_add_co_u32 v163, vcc_lo, v111, v131
	s_wait_alu 0xfffd
	v_add_co_ci_u32_e64 v164, null, v112, v132, vcc_lo
	ds_bpermute_b32 v229, v130, v133 offset:108
	ds_bpermute_b32 v230, v130, v134 offset:108
	global_load_b64 v[163:164], v[163:164], off
	s_wait_loadcnt_dscnt 0x0
	v_add_f64_e64 v[163:164], v[163:164], -v[229:230]
	v_add_co_u32 v229, vcc_lo, v109, v131
	s_wait_alu 0xfffd
	v_add_co_ci_u32_e64 v230, null, v110, v132, vcc_lo
	global_load_b64 v[229:230], v[229:230], off
	s_wait_loadcnt 0x0
	v_mul_f64_e32 v[163:164], v[229:230], v[163:164]
	s_delay_alu instid0(VALU_DEP_1)
	v_fma_f64 v[161:162], v[163:164], v[231:232], v[161:162]
	v_add_co_u32 v163, vcc_lo, v115, v131
	s_wait_alu 0xfffd
	v_add_co_ci_u32_e64 v164, null, v116, v132, vcc_lo
	ds_bpermute_b32 v231, v130, v133 offset:112
	ds_bpermute_b32 v232, v130, v134 offset:112
	global_load_b64 v[163:164], v[163:164], off
	s_wait_loadcnt_dscnt 0x0
	v_add_f64_e64 v[163:164], v[163:164], -v[231:232]
	v_add_co_u32 v231, vcc_lo, v113, v131
	s_wait_alu 0xfffd
	v_add_co_ci_u32_e64 v232, null, v114, v132, vcc_lo
	global_load_b64 v[231:232], v[231:232], off
	s_wait_loadcnt 0x0
	v_mul_f64_e32 v[163:164], v[231:232], v[163:164]
	s_delay_alu instid0(VALU_DEP_1)
	v_fma_f64 v[161:162], v[163:164], v[233:234], v[161:162]
	v_add_co_u32 v163, vcc_lo, v119, v131
	s_wait_alu 0xfffd
	v_add_co_ci_u32_e64 v164, null, v120, v132, vcc_lo
	ds_bpermute_b32 v233, v130, v133 offset:116
	ds_bpermute_b32 v234, v130, v134 offset:116
	global_load_b64 v[163:164], v[163:164], off
	s_wait_loadcnt_dscnt 0x0
	v_add_f64_e64 v[163:164], v[163:164], -v[233:234]
	v_add_co_u32 v233, vcc_lo, v117, v131
	s_wait_alu 0xfffd
	v_add_co_ci_u32_e64 v234, null, v118, v132, vcc_lo
	global_load_b64 v[233:234], v[233:234], off
	s_wait_loadcnt 0x0
	v_mul_f64_e32 v[163:164], v[233:234], v[163:164]
	s_delay_alu instid0(VALU_DEP_1)
	v_fma_f64 v[161:162], v[163:164], v[235:236], v[161:162]
	v_add_co_u32 v163, vcc_lo, v123, v131
	s_wait_alu 0xfffd
	v_add_co_ci_u32_e64 v164, null, v124, v132, vcc_lo
	ds_bpermute_b32 v235, v130, v133 offset:120
	ds_bpermute_b32 v236, v130, v134 offset:120
	global_load_b64 v[163:164], v[163:164], off
	s_wait_loadcnt_dscnt 0x0
	v_add_f64_e64 v[163:164], v[163:164], -v[235:236]
	v_add_co_u32 v235, vcc_lo, v121, v131
	s_wait_alu 0xfffd
	v_add_co_ci_u32_e64 v236, null, v122, v132, vcc_lo
	global_load_b64 v[235:236], v[235:236], off
	s_wait_loadcnt 0x0
	v_mul_f64_e32 v[163:164], v[235:236], v[163:164]
	s_delay_alu instid0(VALU_DEP_1) | instskip(SKIP_3) | instid1(VALU_DEP_1)
	v_fma_f64 v[161:162], v[163:164], v[237:238], v[161:162]
	scratch_load_b64 v[163:164], off, off th:TH_LOAD_LU ; 8-byte Folded Reload
	s_wait_loadcnt 0x0
	v_add_f64_e32 v[137:138], v[163:164], v[137:138]
	v_add_f64_e32 v[3:4], v[137:138], v[3:4]
	ds_bpermute_b32 v137, v130, v135 offset:124
	ds_bpermute_b32 v138, v130, v136 offset:124
	;; [unrolled: 1-line block ×4, first 2 shown]
	v_add_f64_e32 v[3:4], v[3:4], v[139:140]
	s_delay_alu instid0(VALU_DEP_1) | instskip(NEXT) | instid1(VALU_DEP_1)
	v_add_f64_e32 v[3:4], v[3:4], v[141:142]
	v_add_f64_e32 v[3:4], v[3:4], v[143:144]
	s_delay_alu instid0(VALU_DEP_1) | instskip(NEXT) | instid1(VALU_DEP_1)
	v_add_f64_e32 v[3:4], v[3:4], v[145:146]
	;; [unrolled: 3-line block ×14, first 2 shown]
	v_add_f64_e32 v[139:140], v[1:2], v[235:236]
	v_add_co_u32 v1, vcc_lo, v125, v131
	s_wait_alu 0xfffd
	v_add_co_ci_u32_e64 v2, null, v126, v132, vcc_lo
	v_add_co_u32 v3, vcc_lo, v127, v131
	s_wait_alu 0xfffd
	v_add_co_ci_u32_e64 v4, null, v128, v132, vcc_lo
	global_load_b64 v[249:250], v[1:2], off
	global_load_b64 v[1:2], v[3:4], off
.LBB38_146:                             ;   in Loop: Header=BB38_147 Depth=1
	s_wait_loadcnt_dscnt 0x0
	v_add_f64_e64 v[1:2], v[1:2], -v[135:136]
	v_add_co_u32 v210, vcc_lo, v210, s18
	s_wait_alu 0xfffd
	v_add_co_ci_u32_e64 v173, null, s19, v173, vcc_lo
	v_add_co_u32 v174, vcc_lo, v174, s18
	s_wait_alu 0xfffd
	v_add_co_ci_u32_e64 v175, null, s19, v175, vcc_lo
	;; [unrolled: 3-line block ×9, first 2 shown]
	v_add_co_u32 v33, vcc_lo, v33, s18
	v_mul_f64_e32 v[1:2], v[249:250], v[1:2]
	s_wait_alu 0xfffd
	v_add_co_ci_u32_e64 v34, null, s19, v34, vcc_lo
	v_add_co_u32 v37, vcc_lo, v37, s18
	s_wait_alu 0xfffd
	v_add_co_ci_u32_e64 v38, null, s19, v38, vcc_lo
	v_add_co_u32 v41, vcc_lo, v41, s18
	s_wait_alu 0xfffd
	v_add_co_ci_u32_e64 v42, null, s19, v42, vcc_lo
	v_add_co_u32 v45, vcc_lo, v45, s18
	s_wait_alu 0xfffd
	v_add_co_ci_u32_e64 v46, null, s19, v46, vcc_lo
	v_add_co_u32 v49, vcc_lo, v49, s18
	s_wait_alu 0xfffd
	v_add_co_ci_u32_e64 v50, null, s19, v50, vcc_lo
	v_add_co_u32 v53, vcc_lo, v53, s18
	s_wait_alu 0xfffd
	v_add_co_ci_u32_e64 v54, null, s19, v54, vcc_lo
	v_add_co_u32 v57, vcc_lo, v57, s18
	s_wait_alu 0xfffd
	v_add_co_ci_u32_e64 v58, null, s19, v58, vcc_lo
	v_add_co_u32 v61, vcc_lo, v61, s18
	s_wait_alu 0xfffd
	v_add_co_ci_u32_e64 v62, null, s19, v62, vcc_lo
	v_add_co_u32 v65, vcc_lo, v65, s18
	s_wait_alu 0xfffd
	v_add_co_ci_u32_e64 v66, null, s19, v66, vcc_lo
	v_add_co_u32 v69, vcc_lo, v69, s18
	s_wait_alu 0xfffd
	v_add_co_ci_u32_e64 v70, null, s19, v70, vcc_lo
	v_fma_f64 v[0:1], v[1:2], v[137:138], v[161:162]
	v_add_co_u32 v73, vcc_lo, v73, s18
	s_wait_alu 0xfffd
	v_add_co_ci_u32_e64 v74, null, s19, v74, vcc_lo
	v_add_co_u32 v77, vcc_lo, v77, s18
	s_wait_alu 0xfffd
	v_add_co_ci_u32_e64 v78, null, s19, v78, vcc_lo
	;; [unrolled: 3-line block ×9, first 2 shown]
	v_add_co_u32 v109, vcc_lo, v109, s18
	scratch_store_b64 off, v[0:1], off offset:8 ; 8-byte Folded Spill
	v_add_f64_e32 v[0:1], v[139:140], v[249:250]
	s_wait_alu 0xfffd
	v_add_co_ci_u32_e64 v110, null, s19, v110, vcc_lo
	v_add_co_u32 v113, vcc_lo, v113, s18
	s_wait_alu 0xfffd
	v_add_co_ci_u32_e64 v114, null, s19, v114, vcc_lo
	v_add_co_u32 v117, vcc_lo, v117, s18
	;; [unrolled: 3-line block ×9, first 2 shown]
	s_wait_alu 0xfffd
	v_add_co_ci_u32_e64 v26, null, s19, v26, vcc_lo
	scratch_store_b64 off, v[0:1], off      ; 8-byte Folded Spill
	scratch_load_b32 v0, off, off offset:16 ; 4-byte Folded Reload
	v_add_co_u32 v27, vcc_lo, v27, s18
	s_wait_alu 0xfffd
	v_add_co_ci_u32_e64 v28, null, s19, v28, vcc_lo
	v_add_co_u32 v31, vcc_lo, v31, s18
	s_wait_alu 0xfffd
	v_add_co_ci_u32_e64 v32, null, s19, v32, vcc_lo
	;; [unrolled: 3-line block ×23, first 2 shown]
	v_add_co_u32 v119, vcc_lo, v119, s18
	v_mov_b32_e32 v205, v129
	s_wait_alu 0xfffd
	v_add_co_ci_u32_e64 v120, null, s19, v120, vcc_lo
	v_add_co_u32 v123, vcc_lo, v123, s18
	s_wait_alu 0xfffd
	v_add_co_ci_u32_e64 v124, null, s19, v124, vcc_lo
	v_add_co_u32 v127, vcc_lo, v127, s18
	s_wait_alu 0xfffd
	v_add_co_ci_u32_e64 v128, null, s19, v128, vcc_lo
	v_add_co_u32 v205, vcc_lo, v205, s8
	s_wait_alu 0xfffd
	v_add_co_ci_u32_e64 v209, null, 0, v209, vcc_lo
	s_add_nc_u64 s[22:23], s[22:23], s[8:9]
	s_add_nc_u64 s[20:21], s[20:21], s[8:9]
	s_wait_alu 0xfffe
	v_cmp_ge_i64_e64 s2, s[22:23], s[4:5]
	s_wait_loadcnt 0x0
	v_add_co_u32 v0, vcc_lo, v0, s18
	scratch_store_b32 off, v0, off offset:16 ; 4-byte Folded Spill
	scratch_load_b32 v0, off, off offset:20 ; 4-byte Folded Reload
	s_wait_loadcnt 0x0
	s_wait_alu 0xfffd
	v_add_co_ci_u32_e64 v0, null, s19, v0, vcc_lo
	scratch_store_b32 off, v0, off offset:20 ; 4-byte Folded Spill
	scratch_load_b32 v0, off, off offset:24 ; 4-byte Folded Reload
	s_wait_loadcnt 0x0
	v_add_co_u32 v0, vcc_lo, v0, s18
	scratch_store_b32 off, v0, off offset:24 ; 4-byte Folded Spill
	scratch_load_b32 v0, off, off offset:28 ; 4-byte Folded Reload
	s_wait_loadcnt 0x0
	s_wait_alu 0xfffd
	v_add_co_ci_u32_e64 v0, null, s19, v0, vcc_lo
	scratch_store_b32 off, v0, off offset:28 ; 4-byte Folded Spill
	scratch_load_b32 v0, off, off offset:32 ; 4-byte Folded Reload
	;; [unrolled: 9-line block ×53, first 2 shown]
	s_wait_loadcnt 0x0
	v_add_co_u32 v0, vcc_lo, v0, s18
	scratch_store_b32 off, v0, off offset:444 ; 4-byte Folded Spill
	scratch_load_b32 v0, off, off offset:448 ; 4-byte Folded Reload
	s_wait_loadcnt 0x0
	s_wait_alu 0xfffd
	v_add_co_ci_u32_e64 v0, null, s19, v0, vcc_lo
	v_add_co_u32 v187, vcc_lo, v187, s18
	s_wait_alu 0xfffd
	v_add_co_ci_u32_e64 v176, null, s19, v176, vcc_lo
	v_add_co_u32 v255, vcc_lo, v255, s18
	;; [unrolled: 3-line block ×8, first 2 shown]
	s_wait_alu 0xfffd
	v_add_co_ci_u32_e64 v208, null, s19, v208, vcc_lo
	s_and_b32 vcc_lo, exec_lo, s2
	scratch_store_b32 off, v0, off offset:448 ; 4-byte Folded Spill
	s_wait_alu 0xfffe
	s_cbranch_vccnz .LBB38_218
.LBB38_147:                             ; =>This Inner Loop Header: Depth=1
	s_add_nc_u64 s[24:25], s[16:17], s[20:21]
	v_add_co_u32 v133, vcc_lo, s16, v205
	s_wait_alu 0xfffe
	v_cmp_ge_i64_e64 s2, s[24:25], s[4:5]
	v_mov_b32_e32 v129, v205
	s_wait_alu 0xfffd
	v_add_co_ci_u32_e64 v134, null, 0, v209, vcc_lo
                                        ; implicit-def: $vgpr137_vgpr138
                                        ; implicit-def: $vgpr249_vgpr250
                                        ; implicit-def: $vgpr1_vgpr2
                                        ; implicit-def: $vgpr135
                                        ; implicit-def: $vgpr139_vgpr140
                                        ; implicit-def: $vgpr161_vgpr162
	s_and_b32 vcc_lo, exec_lo, s2
	s_mov_b32 s2, -1
	s_wait_alu 0xfffe
	s_cbranch_vccz .LBB38_215
; %bb.148:                              ;   in Loop: Header=BB38_147 Depth=1
	s_load_b32 s2, s[10:11], 0xc
	s_clause 0x1
	scratch_load_b32 v0, off, off offset:596
	scratch_load_b32 v1, off, off offset:600
	v_mov_b32_e32 v147, 0
	v_mov_b32_e32 v137, 0
	v_dual_mov_b32 v135, 0 :: v_dual_mov_b32 v138, 0
	v_mov_b32_e32 v136, 0
	v_mov_b32_e32 v148, 0
	s_wait_kmcnt 0x0
	s_and_b32 s2, s2, 0xffff
	s_wait_loadcnt 0x0
	s_wait_alu 0xfffe
	v_mad_u32_u24 v1, v0, s2, v1
	s_mov_b32 s2, exec_lo
	s_delay_alu instid0(VALU_DEP_1) | instskip(NEXT) | instid1(VALU_DEP_1)
	v_and_b32_e32 v1, 31, v1
	v_add_co_u32 v1, vcc_lo, v133, v1
	s_wait_alu 0xfffd
	v_add_co_ci_u32_e64 v2, null, 0, v134, vcc_lo
	s_delay_alu instid0(VALU_DEP_1)
	v_cmpx_gt_i64_e64 s[4:5], v[1:2]
	s_cbranch_execz .LBB38_150
; %bb.149:                              ;   in Loop: Header=BB38_147 Depth=1
	v_lshlrev_b64_e32 v[1:2], 3, v[1:2]
	s_delay_alu instid0(VALU_DEP_1) | instskip(SKIP_1) | instid1(VALU_DEP_2)
	v_add_co_u32 v3, vcc_lo, s12, v1
	s_wait_alu 0xfffd
	v_add_co_ci_u32_e64 v4, null, s13, v2, vcc_lo
	v_add_co_u32 v1, vcc_lo, s14, v1
	s_wait_alu 0xfffd
	v_add_co_ci_u32_e64 v2, null, s15, v2, vcc_lo
	global_load_b64 v[135:136], v[3:4], off
	global_load_b64 v[137:138], v[1:2], off
.LBB38_150:                             ;   in Loop: Header=BB38_147 Depth=1
	s_wait_alu 0xfffe
	s_or_b32 exec_lo, exec_lo, s2
	v_mov_b32_e32 v219, 0
	v_mov_b32_e32 v220, 0
	s_mov_b32 s2, exec_lo
	v_cmpx_gt_i64_e64 s[4:5], v[133:134]
	s_cbranch_execz .LBB38_152
; %bb.151:                              ;   in Loop: Header=BB38_147 Depth=1
	v_add_co_u32 v1, vcc_lo, v210, v131
	s_wait_alu 0xfffd
	v_add_co_ci_u32_e64 v2, null, v173, v132, vcc_lo
	v_add_co_u32 v3, vcc_lo, v174, v131
	s_wait_alu 0xfffd
	v_add_co_ci_u32_e64 v4, null, v175, v132, vcc_lo
	global_load_b64 v[147:148], v[1:2], off
	global_load_b64 v[219:220], v[3:4], off
.LBB38_152:                             ;   in Loop: Header=BB38_147 Depth=1
	s_wait_alu 0xfffe
	s_or_b32 exec_lo, exec_lo, s2
	v_add_co_u32 v1, vcc_lo, v133, 1
	s_wait_alu 0xfffd
	v_add_co_ci_u32_e64 v2, null, 0, v134, vcc_lo
	v_mov_b32_e32 v145, 0
	v_dual_mov_b32 v146, 0 :: v_dual_mov_b32 v149, 0
	s_delay_alu instid0(VALU_DEP_3)
	v_cmp_gt_i64_e32 vcc_lo, s[4:5], v[1:2]
	v_mov_b32_e32 v0, 0
	v_dual_mov_b32 v150, 0 :: v_dual_mov_b32 v1, 0
	scratch_store_b64 off, v[0:1], off offset:460 ; 8-byte Folded Spill
	s_and_saveexec_b32 s2, vcc_lo
	s_cbranch_execz .LBB38_154
; %bb.153:                              ;   in Loop: Header=BB38_147 Depth=1
	v_add_co_u32 v1, vcc_lo, v203, v131
	s_wait_alu 0xfffd
	v_add_co_ci_u32_e64 v2, null, v204, v132, vcc_lo
	v_add_co_u32 v3, vcc_lo, v207, v131
	s_wait_alu 0xfffd
	v_add_co_ci_u32_e64 v4, null, v208, v132, vcc_lo
	global_load_b64 v[149:150], v[1:2], off
	global_load_b64 v[0:1], v[3:4], off
	s_wait_loadcnt 0x0
	scratch_store_b64 off, v[0:1], off offset:460 ; 8-byte Folded Spill
.LBB38_154:                             ;   in Loop: Header=BB38_147 Depth=1
	s_wait_alu 0xfffe
	s_or_b32 exec_lo, exec_lo, s2
	v_add_co_u32 v1, vcc_lo, v133, 2
	s_wait_alu 0xfffd
	v_add_co_ci_u32_e64 v2, null, 0, v134, vcc_lo
	s_delay_alu instid0(VALU_DEP_1)
	v_cmp_gt_i64_e32 vcc_lo, s[4:5], v[1:2]
	v_mov_b32_e32 v0, 0
	v_mov_b32_e32 v1, 0
	scratch_store_b64 off, v[0:1], off offset:452 ; 8-byte Folded Spill
	s_and_saveexec_b32 s2, vcc_lo
	s_cbranch_execz .LBB38_156
; %bb.155:                              ;   in Loop: Header=BB38_147 Depth=1
	v_add_co_u32 v1, vcc_lo, v197, v131
	s_wait_alu 0xfffd
	v_add_co_ci_u32_e64 v2, null, v198, v132, vcc_lo
	v_add_co_u32 v3, vcc_lo, v201, v131
	s_wait_alu 0xfffd
	v_add_co_ci_u32_e64 v4, null, v202, v132, vcc_lo
	global_load_b64 v[145:146], v[1:2], off
	global_load_b64 v[0:1], v[3:4], off
	s_wait_loadcnt 0x0
	scratch_store_b64 off, v[0:1], off offset:452 ; 8-byte Folded Spill
.LBB38_156:                             ;   in Loop: Header=BB38_147 Depth=1
	s_wait_alu 0xfffe
	s_or_b32 exec_lo, exec_lo, s2
	v_add_co_u32 v1, vcc_lo, v133, 3
	s_wait_alu 0xfffd
	v_add_co_ci_u32_e64 v2, null, 0, v134, vcc_lo
	v_mov_b32_e32 v151, 0
	v_dual_mov_b32 v152, 0 :: v_dual_mov_b32 v227, 0
	s_delay_alu instid0(VALU_DEP_3)
	v_cmp_gt_i64_e32 vcc_lo, s[4:5], v[1:2]
	v_mov_b32_e32 v0, 0
	v_dual_mov_b32 v228, 0 :: v_dual_mov_b32 v1, 0
	scratch_store_b64 off, v[0:1], off offset:468 ; 8-byte Folded Spill
	s_and_saveexec_b32 s2, vcc_lo
	s_cbranch_execz .LBB38_158
; %bb.157:                              ;   in Loop: Header=BB38_147 Depth=1
	v_add_co_u32 v1, vcc_lo, v191, v131
	s_wait_alu 0xfffd
	v_add_co_ci_u32_e64 v2, null, v192, v132, vcc_lo
	v_add_co_u32 v3, vcc_lo, v195, v131
	s_wait_alu 0xfffd
	v_add_co_ci_u32_e64 v4, null, v196, v132, vcc_lo
	global_load_b64 v[227:228], v[1:2], off
	global_load_b64 v[0:1], v[3:4], off
	s_wait_loadcnt 0x0
	scratch_store_b64 off, v[0:1], off offset:468 ; 8-byte Folded Spill
.LBB38_158:                             ;   in Loop: Header=BB38_147 Depth=1
	s_wait_alu 0xfffe
	s_or_b32 exec_lo, exec_lo, s2
	v_add_co_u32 v1, vcc_lo, v133, 4
	s_wait_alu 0xfffd
	v_add_co_ci_u32_e64 v2, null, 0, v134, vcc_lo
	s_delay_alu instid0(VALU_DEP_1)
	v_cmp_gt_i64_e32 vcc_lo, s[4:5], v[1:2]
	v_mov_b32_e32 v0, 0
	v_mov_b32_e32 v1, 0
	scratch_store_b64 off, v[0:1], off offset:476 ; 8-byte Folded Spill
	s_and_saveexec_b32 s2, vcc_lo
	s_cbranch_execz .LBB38_160
; %bb.159:                              ;   in Loop: Header=BB38_147 Depth=1
	v_add_co_u32 v1, vcc_lo, v187, v131
	s_wait_alu 0xfffd
	v_add_co_ci_u32_e64 v2, null, v176, v132, vcc_lo
	v_add_co_u32 v3, vcc_lo, v255, v131
	s_wait_alu 0xfffd
	v_add_co_ci_u32_e64 v4, null, v188, v132, vcc_lo
	global_load_b64 v[151:152], v[1:2], off
	global_load_b64 v[0:1], v[3:4], off
	s_wait_loadcnt 0x0
	scratch_store_b64 off, v[0:1], off offset:476 ; 8-byte Folded Spill
.LBB38_160:                             ;   in Loop: Header=BB38_147 Depth=1
	s_wait_alu 0xfffe
	s_or_b32 exec_lo, exec_lo, s2
	v_add_co_u32 v1, vcc_lo, v133, 5
	s_wait_alu 0xfffd
	v_add_co_ci_u32_e64 v2, null, 0, v134, vcc_lo
	v_mov_b32_e32 v155, 0
	v_dual_mov_b32 v156, 0 :: v_dual_mov_b32 v157, 0
	s_delay_alu instid0(VALU_DEP_3)
	v_cmp_gt_i64_e32 vcc_lo, s[4:5], v[1:2]
	v_mov_b32_e32 v0, 0
	v_dual_mov_b32 v158, 0 :: v_dual_mov_b32 v1, 0
	scratch_store_b64 off, v[0:1], off offset:484 ; 8-byte Folded Spill
	s_and_saveexec_b32 s2, vcc_lo
	s_cbranch_execz .LBB38_162
; %bb.161:                              ;   in Loop: Header=BB38_147 Depth=1
	scratch_load_b32 v0, off, off offset:436 ; 4-byte Folded Reload
	s_wait_loadcnt 0x0
	v_add_co_u32 v1, vcc_lo, v0, v131
	scratch_load_b32 v0, off, off offset:440 ; 4-byte Folded Reload
	s_wait_loadcnt 0x0
	s_wait_alu 0xfffd
	v_add_co_ci_u32_e64 v2, null, v0, v132, vcc_lo
	scratch_load_b32 v0, off, off offset:444 ; 4-byte Folded Reload
	s_wait_loadcnt 0x0
	v_add_co_u32 v3, vcc_lo, v0, v131
	scratch_load_b32 v0, off, off offset:448 ; 4-byte Folded Reload
	s_wait_loadcnt 0x0
	s_wait_alu 0xfffd
	v_add_co_ci_u32_e64 v4, null, v0, v132, vcc_lo
	global_load_b64 v[157:158], v[1:2], off
	global_load_b64 v[0:1], v[3:4], off
	s_wait_loadcnt 0x0
	scratch_store_b64 off, v[0:1], off offset:484 ; 8-byte Folded Spill
.LBB38_162:                             ;   in Loop: Header=BB38_147 Depth=1
	s_wait_alu 0xfffe
	s_or_b32 exec_lo, exec_lo, s2
	v_add_co_u32 v1, vcc_lo, v133, 6
	s_wait_alu 0xfffd
	v_add_co_ci_u32_e64 v2, null, 0, v134, vcc_lo
	s_delay_alu instid0(VALU_DEP_1)
	v_cmp_gt_i64_e32 vcc_lo, s[4:5], v[1:2]
	v_mov_b32_e32 v0, 0
	v_mov_b32_e32 v1, 0
	scratch_store_b64 off, v[0:1], off offset:492 ; 8-byte Folded Spill
	s_and_saveexec_b32 s2, vcc_lo
	s_cbranch_execz .LBB38_164
; %bb.163:                              ;   in Loop: Header=BB38_147 Depth=1
	scratch_load_b32 v0, off, off offset:420 ; 4-byte Folded Reload
	s_wait_loadcnt 0x0
	v_add_co_u32 v1, vcc_lo, v0, v131
	scratch_load_b32 v0, off, off offset:424 ; 4-byte Folded Reload
	s_wait_loadcnt 0x0
	s_wait_alu 0xfffd
	v_add_co_ci_u32_e64 v2, null, v0, v132, vcc_lo
	scratch_load_b32 v0, off, off offset:428 ; 4-byte Folded Reload
	s_wait_loadcnt 0x0
	v_add_co_u32 v3, vcc_lo, v0, v131
	scratch_load_b32 v0, off, off offset:432 ; 4-byte Folded Reload
	s_wait_loadcnt 0x0
	s_wait_alu 0xfffd
	v_add_co_ci_u32_e64 v4, null, v0, v132, vcc_lo
	global_load_b64 v[155:156], v[1:2], off
	global_load_b64 v[0:1], v[3:4], off
	s_wait_loadcnt 0x0
	scratch_store_b64 off, v[0:1], off offset:492 ; 8-byte Folded Spill
.LBB38_164:                             ;   in Loop: Header=BB38_147 Depth=1
	s_wait_alu 0xfffe
	s_or_b32 exec_lo, exec_lo, s2
	v_add_co_u32 v1, vcc_lo, v133, 7
	s_wait_alu 0xfffd
	v_add_co_ci_u32_e64 v2, null, 0, v134, vcc_lo
	v_mov_b32_e32 v159, 0
	v_dual_mov_b32 v160, 0 :: v_dual_mov_b32 v221, 0
	s_delay_alu instid0(VALU_DEP_3)
	v_cmp_gt_i64_e32 vcc_lo, s[4:5], v[1:2]
	v_mov_b32_e32 v0, 0
	v_dual_mov_b32 v222, 0 :: v_dual_mov_b32 v1, 0
	scratch_store_b64 off, v[0:1], off offset:500 ; 8-byte Folded Spill
	s_and_saveexec_b32 s2, vcc_lo
	s_cbranch_execz .LBB38_166
; %bb.165:                              ;   in Loop: Header=BB38_147 Depth=1
	scratch_load_b32 v0, off, off offset:404 ; 4-byte Folded Reload
	s_wait_loadcnt 0x0
	v_add_co_u32 v1, vcc_lo, v0, v131
	scratch_load_b32 v0, off, off offset:408 ; 4-byte Folded Reload
	s_wait_loadcnt 0x0
	s_wait_alu 0xfffd
	v_add_co_ci_u32_e64 v2, null, v0, v132, vcc_lo
	scratch_load_b32 v0, off, off offset:412 ; 4-byte Folded Reload
	s_wait_loadcnt 0x0
	v_add_co_u32 v3, vcc_lo, v0, v131
	scratch_load_b32 v0, off, off offset:416 ; 4-byte Folded Reload
	s_wait_loadcnt 0x0
	s_wait_alu 0xfffd
	v_add_co_ci_u32_e64 v4, null, v0, v132, vcc_lo
	global_load_b64 v[221:222], v[1:2], off
	global_load_b64 v[0:1], v[3:4], off
	s_wait_loadcnt 0x0
	scratch_store_b64 off, v[0:1], off offset:500 ; 8-byte Folded Spill
.LBB38_166:                             ;   in Loop: Header=BB38_147 Depth=1
	s_wait_alu 0xfffe
	s_or_b32 exec_lo, exec_lo, s2
	v_add_co_u32 v1, vcc_lo, v133, 8
	s_wait_alu 0xfffd
	v_add_co_ci_u32_e64 v2, null, 0, v134, vcc_lo
	s_delay_alu instid0(VALU_DEP_1)
	v_cmp_gt_i64_e32 vcc_lo, s[4:5], v[1:2]
	v_mov_b32_e32 v0, 0
	v_mov_b32_e32 v1, 0
	scratch_store_b64 off, v[0:1], off offset:508 ; 8-byte Folded Spill
	s_and_saveexec_b32 s2, vcc_lo
	s_cbranch_execz .LBB38_168
; %bb.167:                              ;   in Loop: Header=BB38_147 Depth=1
	scratch_load_b32 v0, off, off offset:384 ; 4-byte Folded Reload
	s_wait_loadcnt 0x0
	v_add_co_u32 v1, vcc_lo, v0, v131
	scratch_load_b32 v0, off, off offset:392 ; 4-byte Folded Reload
	s_wait_loadcnt 0x0
	s_wait_alu 0xfffd
	v_add_co_ci_u32_e64 v2, null, v0, v132, vcc_lo
	scratch_load_b32 v0, off, off offset:396 ; 4-byte Folded Reload
	s_wait_loadcnt 0x0
	v_add_co_u32 v3, vcc_lo, v0, v131
	scratch_load_b32 v0, off, off offset:400 ; 4-byte Folded Reload
	s_wait_loadcnt 0x0
	s_wait_alu 0xfffd
	v_add_co_ci_u32_e64 v4, null, v0, v132, vcc_lo
	global_load_b64 v[159:160], v[1:2], off
	global_load_b64 v[0:1], v[3:4], off
	s_wait_loadcnt 0x0
	scratch_store_b64 off, v[0:1], off offset:508 ; 8-byte Folded Spill
.LBB38_168:                             ;   in Loop: Header=BB38_147 Depth=1
	s_wait_alu 0xfffe
	s_or_b32 exec_lo, exec_lo, s2
	v_add_co_u32 v1, vcc_lo, v133, 9
	s_wait_alu 0xfffd
	v_add_co_ci_u32_e64 v2, null, 0, v134, vcc_lo
	v_mov_b32_e32 v183, 0
	v_dual_mov_b32 v184, 0 :: v_dual_mov_b32 v181, 0
	s_delay_alu instid0(VALU_DEP_3)
	v_cmp_gt_i64_e32 vcc_lo, s[4:5], v[1:2]
	v_mov_b32_e32 v0, 0
	v_dual_mov_b32 v182, 0 :: v_dual_mov_b32 v1, 0
	scratch_store_b64 off, v[0:1], off offset:516 ; 8-byte Folded Spill
	s_and_saveexec_b32 s2, vcc_lo
	s_cbranch_execz .LBB38_170
; %bb.169:                              ;   in Loop: Header=BB38_147 Depth=1
	scratch_load_b32 v0, off, off offset:372 ; 4-byte Folded Reload
	s_wait_loadcnt 0x0
	v_add_co_u32 v1, vcc_lo, v0, v131
	scratch_load_b32 v0, off, off offset:376 ; 4-byte Folded Reload
	s_wait_loadcnt 0x0
	s_wait_alu 0xfffd
	v_add_co_ci_u32_e64 v2, null, v0, v132, vcc_lo
	scratch_load_b32 v0, off, off offset:380 ; 4-byte Folded Reload
	s_wait_loadcnt 0x0
	v_add_co_u32 v3, vcc_lo, v0, v131
	scratch_load_b32 v0, off, off offset:388 ; 4-byte Folded Reload
	s_wait_loadcnt 0x0
	s_wait_alu 0xfffd
	v_add_co_ci_u32_e64 v4, null, v0, v132, vcc_lo
	global_load_b64 v[181:182], v[1:2], off
	global_load_b64 v[0:1], v[3:4], off
	s_wait_loadcnt 0x0
	scratch_store_b64 off, v[0:1], off offset:516 ; 8-byte Folded Spill
.LBB38_170:                             ;   in Loop: Header=BB38_147 Depth=1
	s_wait_alu 0xfffe
	s_or_b32 exec_lo, exec_lo, s2
	v_add_co_u32 v1, vcc_lo, v133, 10
	s_wait_alu 0xfffd
	v_add_co_ci_u32_e64 v2, null, 0, v134, vcc_lo
	s_delay_alu instid0(VALU_DEP_1)
	v_cmp_gt_i64_e32 vcc_lo, s[4:5], v[1:2]
	v_mov_b32_e32 v0, 0
	v_mov_b32_e32 v1, 0
	scratch_store_b64 off, v[0:1], off offset:524 ; 8-byte Folded Spill
	s_and_saveexec_b32 s2, vcc_lo
	s_cbranch_execz .LBB38_172
; %bb.171:                              ;   in Loop: Header=BB38_147 Depth=1
	scratch_load_b32 v0, off, off offset:356 ; 4-byte Folded Reload
	s_wait_loadcnt 0x0
	v_add_co_u32 v1, vcc_lo, v0, v131
	scratch_load_b32 v0, off, off offset:360 ; 4-byte Folded Reload
	s_wait_loadcnt 0x0
	s_wait_alu 0xfffd
	v_add_co_ci_u32_e64 v2, null, v0, v132, vcc_lo
	scratch_load_b32 v0, off, off offset:364 ; 4-byte Folded Reload
	s_wait_loadcnt 0x0
	v_add_co_u32 v3, vcc_lo, v0, v131
	scratch_load_b32 v0, off, off offset:368 ; 4-byte Folded Reload
	s_wait_loadcnt 0x0
	s_wait_alu 0xfffd
	v_add_co_ci_u32_e64 v4, null, v0, v132, vcc_lo
	global_load_b64 v[183:184], v[1:2], off
	global_load_b64 v[0:1], v[3:4], off
	s_wait_loadcnt 0x0
	scratch_store_b64 off, v[0:1], off offset:524 ; 8-byte Folded Spill
.LBB38_172:                             ;   in Loop: Header=BB38_147 Depth=1
	s_wait_alu 0xfffe
	s_or_b32 exec_lo, exec_lo, s2
	v_add_co_u32 v1, vcc_lo, v133, 11
	s_wait_alu 0xfffd
	v_add_co_ci_u32_e64 v2, null, 0, v134, vcc_lo
	v_mov_b32_e32 v161, 0
	v_dual_mov_b32 v162, 0 :: v_dual_mov_b32 v163, 0
	s_delay_alu instid0(VALU_DEP_3)
	v_cmp_gt_i64_e32 vcc_lo, s[4:5], v[1:2]
	v_mov_b32_e32 v0, 0
	v_dual_mov_b32 v164, 0 :: v_dual_mov_b32 v1, 0
	scratch_store_b64 off, v[0:1], off offset:532 ; 8-byte Folded Spill
	s_and_saveexec_b32 s2, vcc_lo
	s_cbranch_execz .LBB38_174
; %bb.173:                              ;   in Loop: Header=BB38_147 Depth=1
	scratch_load_b32 v0, off, off offset:340 ; 4-byte Folded Reload
	s_wait_loadcnt 0x0
	v_add_co_u32 v1, vcc_lo, v0, v131
	scratch_load_b32 v0, off, off offset:344 ; 4-byte Folded Reload
	s_wait_loadcnt 0x0
	s_wait_alu 0xfffd
	v_add_co_ci_u32_e64 v2, null, v0, v132, vcc_lo
	scratch_load_b32 v0, off, off offset:348 ; 4-byte Folded Reload
	s_wait_loadcnt 0x0
	v_add_co_u32 v3, vcc_lo, v0, v131
	scratch_load_b32 v0, off, off offset:352 ; 4-byte Folded Reload
	s_wait_loadcnt 0x0
	s_wait_alu 0xfffd
	v_add_co_ci_u32_e64 v4, null, v0, v132, vcc_lo
	global_load_b64 v[163:164], v[1:2], off
	global_load_b64 v[0:1], v[3:4], off
	s_wait_loadcnt 0x0
	scratch_store_b64 off, v[0:1], off offset:532 ; 8-byte Folded Spill
.LBB38_174:                             ;   in Loop: Header=BB38_147 Depth=1
	s_wait_alu 0xfffe
	s_or_b32 exec_lo, exec_lo, s2
	v_add_co_u32 v1, vcc_lo, v133, 12
	s_wait_alu 0xfffd
	v_add_co_ci_u32_e64 v2, null, 0, v134, vcc_lo
	s_delay_alu instid0(VALU_DEP_1)
	v_cmp_gt_i64_e32 vcc_lo, s[4:5], v[1:2]
	v_mov_b32_e32 v0, 0
	v_mov_b32_e32 v1, 0
	scratch_store_b64 off, v[0:1], off offset:540 ; 8-byte Folded Spill
	s_and_saveexec_b32 s2, vcc_lo
	s_cbranch_execz .LBB38_176
; %bb.175:                              ;   in Loop: Header=BB38_147 Depth=1
	scratch_load_b32 v0, off, off offset:324 ; 4-byte Folded Reload
	s_wait_loadcnt 0x0
	v_add_co_u32 v1, vcc_lo, v0, v131
	scratch_load_b32 v0, off, off offset:328 ; 4-byte Folded Reload
	s_wait_loadcnt 0x0
	s_wait_alu 0xfffd
	v_add_co_ci_u32_e64 v2, null, v0, v132, vcc_lo
	scratch_load_b32 v0, off, off offset:332 ; 4-byte Folded Reload
	s_wait_loadcnt 0x0
	v_add_co_u32 v3, vcc_lo, v0, v131
	scratch_load_b32 v0, off, off offset:336 ; 4-byte Folded Reload
	s_wait_loadcnt 0x0
	s_wait_alu 0xfffd
	v_add_co_ci_u32_e64 v4, null, v0, v132, vcc_lo
	global_load_b64 v[161:162], v[1:2], off
	global_load_b64 v[0:1], v[3:4], off
	s_wait_loadcnt 0x0
	scratch_store_b64 off, v[0:1], off offset:540 ; 8-byte Folded Spill
.LBB38_176:                             ;   in Loop: Header=BB38_147 Depth=1
	s_wait_alu 0xfffe
	s_or_b32 exec_lo, exec_lo, s2
	v_add_co_u32 v1, vcc_lo, v133, 13
	s_wait_alu 0xfffd
	v_add_co_ci_u32_e64 v2, null, 0, v134, vcc_lo
	v_mov_b32_e32 v165, 0
	v_dual_mov_b32 v166, 0 :: v_dual_mov_b32 v167, 0
	s_delay_alu instid0(VALU_DEP_3)
	v_cmp_gt_i64_e32 vcc_lo, s[4:5], v[1:2]
	v_mov_b32_e32 v0, 0
	v_dual_mov_b32 v168, 0 :: v_dual_mov_b32 v1, 0
	scratch_store_b64 off, v[0:1], off offset:548 ; 8-byte Folded Spill
	s_and_saveexec_b32 s2, vcc_lo
	s_cbranch_execz .LBB38_178
; %bb.177:                              ;   in Loop: Header=BB38_147 Depth=1
	scratch_load_b32 v0, off, off offset:308 ; 4-byte Folded Reload
	s_wait_loadcnt 0x0
	v_add_co_u32 v1, vcc_lo, v0, v131
	scratch_load_b32 v0, off, off offset:312 ; 4-byte Folded Reload
	s_wait_loadcnt 0x0
	s_wait_alu 0xfffd
	v_add_co_ci_u32_e64 v2, null, v0, v132, vcc_lo
	scratch_load_b32 v0, off, off offset:316 ; 4-byte Folded Reload
	s_wait_loadcnt 0x0
	v_add_co_u32 v3, vcc_lo, v0, v131
	scratch_load_b32 v0, off, off offset:320 ; 4-byte Folded Reload
	s_wait_loadcnt 0x0
	s_wait_alu 0xfffd
	v_add_co_ci_u32_e64 v4, null, v0, v132, vcc_lo
	global_load_b64 v[167:168], v[1:2], off
	global_load_b64 v[0:1], v[3:4], off
	s_wait_loadcnt 0x0
	scratch_store_b64 off, v[0:1], off offset:548 ; 8-byte Folded Spill
.LBB38_178:                             ;   in Loop: Header=BB38_147 Depth=1
	s_wait_alu 0xfffe
	s_or_b32 exec_lo, exec_lo, s2
	v_add_co_u32 v1, vcc_lo, v133, 14
	s_wait_alu 0xfffd
	v_add_co_ci_u32_e64 v2, null, 0, v134, vcc_lo
	s_delay_alu instid0(VALU_DEP_1)
	v_cmp_gt_i64_e32 vcc_lo, s[4:5], v[1:2]
	v_mov_b32_e32 v0, 0
	v_mov_b32_e32 v1, 0
	scratch_store_b64 off, v[0:1], off offset:556 ; 8-byte Folded Spill
	s_and_saveexec_b32 s2, vcc_lo
	s_cbranch_execz .LBB38_180
; %bb.179:                              ;   in Loop: Header=BB38_147 Depth=1
	scratch_load_b32 v0, off, off offset:292 ; 4-byte Folded Reload
	s_wait_loadcnt 0x0
	v_add_co_u32 v1, vcc_lo, v0, v131
	scratch_load_b32 v0, off, off offset:296 ; 4-byte Folded Reload
	s_wait_loadcnt 0x0
	s_wait_alu 0xfffd
	v_add_co_ci_u32_e64 v2, null, v0, v132, vcc_lo
	scratch_load_b32 v0, off, off offset:300 ; 4-byte Folded Reload
	s_wait_loadcnt 0x0
	v_add_co_u32 v3, vcc_lo, v0, v131
	scratch_load_b32 v0, off, off offset:304 ; 4-byte Folded Reload
	s_wait_loadcnt 0x0
	s_wait_alu 0xfffd
	v_add_co_ci_u32_e64 v4, null, v0, v132, vcc_lo
	global_load_b64 v[165:166], v[1:2], off
	global_load_b64 v[0:1], v[3:4], off
	s_wait_loadcnt 0x0
	scratch_store_b64 off, v[0:1], off offset:556 ; 8-byte Folded Spill
.LBB38_180:                             ;   in Loop: Header=BB38_147 Depth=1
	s_wait_alu 0xfffe
	s_or_b32 exec_lo, exec_lo, s2
	v_add_co_u32 v1, vcc_lo, v133, 15
	v_mov_b32_e32 v177, 0
	v_dual_mov_b32 v178, 0 :: v_dual_mov_b32 v179, 0
	v_mov_b32_e32 v225, 0
	s_wait_alu 0xfffd
	v_add_co_ci_u32_e64 v2, null, 0, v134, vcc_lo
	v_mov_b32_e32 v180, 0
	v_mov_b32_e32 v226, 0
	s_mov_b32 s2, exec_lo
	s_delay_alu instid0(VALU_DEP_3)
	v_cmpx_gt_i64_e64 s[4:5], v[1:2]
	s_cbranch_execz .LBB38_182
; %bb.181:                              ;   in Loop: Header=BB38_147 Depth=1
	scratch_load_b32 v0, off, off offset:276 ; 4-byte Folded Reload
	s_wait_loadcnt 0x0
	v_add_co_u32 v1, vcc_lo, v0, v131
	scratch_load_b32 v0, off, off offset:280 ; 4-byte Folded Reload
	s_wait_loadcnt 0x0
	s_wait_alu 0xfffd
	v_add_co_ci_u32_e64 v2, null, v0, v132, vcc_lo
	scratch_load_b32 v0, off, off offset:284 ; 4-byte Folded Reload
	s_wait_loadcnt 0x0
	v_add_co_u32 v3, vcc_lo, v0, v131
	scratch_load_b32 v0, off, off offset:288 ; 4-byte Folded Reload
	s_wait_loadcnt 0x0
	s_wait_alu 0xfffd
	v_add_co_ci_u32_e64 v4, null, v0, v132, vcc_lo
	global_load_b64 v[179:180], v[1:2], off
	global_load_b64 v[225:226], v[3:4], off
.LBB38_182:                             ;   in Loop: Header=BB38_147 Depth=1
	s_wait_alu 0xfffe
	s_or_b32 exec_lo, exec_lo, s2
	v_add_co_u32 v1, vcc_lo, v133, 16
	s_wait_alu 0xfffd
	v_add_co_ci_u32_e64 v2, null, 0, v134, vcc_lo
	s_delay_alu instid0(VALU_DEP_1)
	v_cmp_gt_i64_e32 vcc_lo, s[4:5], v[1:2]
	v_mov_b32_e32 v0, 0
	v_mov_b32_e32 v1, 0
	scratch_store_b64 off, v[0:1], off offset:572 ; 8-byte Folded Spill
	s_and_saveexec_b32 s2, vcc_lo
	s_cbranch_execz .LBB38_184
; %bb.183:                              ;   in Loop: Header=BB38_147 Depth=1
	scratch_load_b32 v0, off, off offset:260 ; 4-byte Folded Reload
	s_wait_loadcnt 0x0
	v_add_co_u32 v1, vcc_lo, v0, v131
	scratch_load_b32 v0, off, off offset:264 ; 4-byte Folded Reload
	s_wait_loadcnt 0x0
	s_wait_alu 0xfffd
	v_add_co_ci_u32_e64 v2, null, v0, v132, vcc_lo
	scratch_load_b32 v0, off, off offset:268 ; 4-byte Folded Reload
	s_wait_loadcnt 0x0
	v_add_co_u32 v139, vcc_lo, v0, v131
	scratch_load_b32 v0, off, off offset:272 ; 4-byte Folded Reload
	s_wait_loadcnt 0x0
	s_wait_alu 0xfffd
	v_add_co_ci_u32_e64 v140, null, v0, v132, vcc_lo
	global_load_b64 v[177:178], v[1:2], off
	global_load_b64 v[0:1], v[139:140], off
	s_wait_loadcnt 0x0
	scratch_store_b64 off, v[0:1], off offset:572 ; 8-byte Folded Spill
.LBB38_184:                             ;   in Loop: Header=BB38_147 Depth=1
	s_wait_alu 0xfffe
	s_or_b32 exec_lo, exec_lo, s2
	v_add_co_u32 v1, vcc_lo, v133, 17
	s_wait_alu 0xfffd
	v_add_co_ci_u32_e64 v2, null, 0, v134, vcc_lo
	v_mov_b32_e32 v189, 0
	v_dual_mov_b32 v190, 0 :: v_dual_mov_b32 v193, 0
	s_delay_alu instid0(VALU_DEP_3)
	v_cmp_gt_i64_e32 vcc_lo, s[4:5], v[1:2]
	v_mov_b32_e32 v0, 0
	v_dual_mov_b32 v194, 0 :: v_dual_mov_b32 v1, 0
	scratch_store_b64 off, v[0:1], off offset:580 ; 8-byte Folded Spill
	s_and_saveexec_b32 s2, vcc_lo
	s_cbranch_execz .LBB38_186
; %bb.185:                              ;   in Loop: Header=BB38_147 Depth=1
	scratch_load_b32 v0, off, off offset:244 ; 4-byte Folded Reload
	s_wait_loadcnt 0x0
	v_add_co_u32 v1, vcc_lo, v0, v131
	scratch_load_b32 v0, off, off offset:248 ; 4-byte Folded Reload
	s_wait_loadcnt 0x0
	s_wait_alu 0xfffd
	v_add_co_ci_u32_e64 v2, null, v0, v132, vcc_lo
	scratch_load_b32 v0, off, off offset:252 ; 4-byte Folded Reload
	s_wait_loadcnt 0x0
	v_add_co_u32 v139, vcc_lo, v0, v131
	scratch_load_b32 v0, off, off offset:256 ; 4-byte Folded Reload
	s_wait_loadcnt 0x0
	s_wait_alu 0xfffd
	v_add_co_ci_u32_e64 v140, null, v0, v132, vcc_lo
	global_load_b64 v[193:194], v[1:2], off
	global_load_b64 v[0:1], v[139:140], off
	s_wait_loadcnt 0x0
	scratch_store_b64 off, v[0:1], off offset:580 ; 8-byte Folded Spill
.LBB38_186:                             ;   in Loop: Header=BB38_147 Depth=1
	s_wait_alu 0xfffe
	s_or_b32 exec_lo, exec_lo, s2
	v_add_co_u32 v1, vcc_lo, v133, 18
	v_mov_b32_e32 v185, 0
	s_wait_alu 0xfffd
	v_add_co_ci_u32_e64 v2, null, 0, v134, vcc_lo
	v_mov_b32_e32 v186, 0
	s_mov_b32 s2, exec_lo
	s_delay_alu instid0(VALU_DEP_2)
	v_cmpx_gt_i64_e64 s[4:5], v[1:2]
	s_cbranch_execz .LBB38_188
; %bb.187:                              ;   in Loop: Header=BB38_147 Depth=1
	scratch_load_b32 v0, off, off offset:228 ; 4-byte Folded Reload
	s_wait_loadcnt 0x0
	v_add_co_u32 v1, vcc_lo, v0, v131
	scratch_load_b32 v0, off, off offset:232 ; 4-byte Folded Reload
	s_wait_loadcnt 0x0
	s_wait_alu 0xfffd
	v_add_co_ci_u32_e64 v2, null, v0, v132, vcc_lo
	scratch_load_b32 v0, off, off offset:236 ; 4-byte Folded Reload
	s_wait_loadcnt 0x0
	v_add_co_u32 v139, vcc_lo, v0, v131
	scratch_load_b32 v0, off, off offset:240 ; 4-byte Folded Reload
	s_wait_loadcnt 0x0
	s_wait_alu 0xfffd
	v_add_co_ci_u32_e64 v140, null, v0, v132, vcc_lo
	global_load_b64 v[189:190], v[1:2], off
	global_load_b64 v[185:186], v[139:140], off
.LBB38_188:                             ;   in Loop: Header=BB38_147 Depth=1
	s_wait_alu 0xfffe
	s_or_b32 exec_lo, exec_lo, s2
	v_add_co_u32 v1, vcc_lo, v133, 19
	s_wait_alu 0xfffd
	v_add_co_ci_u32_e64 v2, null, 0, v134, vcc_lo
	v_mov_b32_e32 v199, 0
	v_dual_mov_b32 v200, 0 :: v_dual_mov_b32 v205, 0
	s_delay_alu instid0(VALU_DEP_3)
	v_cmp_gt_i64_e32 vcc_lo, s[4:5], v[1:2]
	v_mov_b32_e32 v0, 0
	v_dual_mov_b32 v206, 0 :: v_dual_mov_b32 v1, 0
	scratch_store_b64 off, v[0:1], off offset:564 ; 8-byte Folded Spill
	s_and_saveexec_b32 s2, vcc_lo
	s_cbranch_execz .LBB38_190
; %bb.189:                              ;   in Loop: Header=BB38_147 Depth=1
	scratch_load_b32 v0, off, off offset:212 ; 4-byte Folded Reload
	s_wait_loadcnt 0x0
	v_add_co_u32 v1, vcc_lo, v0, v131
	scratch_load_b32 v0, off, off offset:216 ; 4-byte Folded Reload
	s_wait_loadcnt 0x0
	s_wait_alu 0xfffd
	v_add_co_ci_u32_e64 v2, null, v0, v132, vcc_lo
	scratch_load_b32 v0, off, off offset:220 ; 4-byte Folded Reload
	s_wait_loadcnt 0x0
	v_add_co_u32 v139, vcc_lo, v0, v131
	scratch_load_b32 v0, off, off offset:224 ; 4-byte Folded Reload
	s_wait_loadcnt 0x0
	s_wait_alu 0xfffd
	v_add_co_ci_u32_e64 v140, null, v0, v132, vcc_lo
	global_load_b64 v[205:206], v[1:2], off
	global_load_b64 v[0:1], v[139:140], off
	s_wait_loadcnt 0x0
	scratch_store_b64 off, v[0:1], off offset:564 ; 8-byte Folded Spill
.LBB38_190:                             ;   in Loop: Header=BB38_147 Depth=1
	s_wait_alu 0xfffe
	s_or_b32 exec_lo, exec_lo, s2
	v_add_co_u32 v1, vcc_lo, v133, 20
	s_wait_alu 0xfffd
	v_add_co_ci_u32_e64 v2, null, 0, v134, vcc_lo
	s_delay_alu instid0(VALU_DEP_1)
	v_cmp_gt_i64_e32 vcc_lo, s[4:5], v[1:2]
	v_mov_b32_e32 v0, 0
	v_mov_b32_e32 v1, 0
	scratch_store_b64 off, v[0:1], off offset:588 ; 8-byte Folded Spill
	s_and_saveexec_b32 s2, vcc_lo
	s_cbranch_execz .LBB38_192
; %bb.191:                              ;   in Loop: Header=BB38_147 Depth=1
	scratch_load_b32 v0, off, off offset:196 ; 4-byte Folded Reload
	s_wait_loadcnt 0x0
	v_add_co_u32 v1, vcc_lo, v0, v131
	scratch_load_b32 v0, off, off offset:200 ; 4-byte Folded Reload
	s_wait_loadcnt 0x0
	s_wait_alu 0xfffd
	v_add_co_ci_u32_e64 v2, null, v0, v132, vcc_lo
	scratch_load_b32 v0, off, off offset:204 ; 4-byte Folded Reload
	s_wait_loadcnt 0x0
	v_add_co_u32 v139, vcc_lo, v0, v131
	scratch_load_b32 v0, off, off offset:208 ; 4-byte Folded Reload
	s_wait_loadcnt 0x0
	s_wait_alu 0xfffd
	v_add_co_ci_u32_e64 v140, null, v0, v132, vcc_lo
	global_load_b64 v[199:200], v[1:2], off
	global_load_b64 v[0:1], v[139:140], off
	s_wait_loadcnt 0x0
	scratch_store_b64 off, v[0:1], off offset:588 ; 8-byte Folded Spill
.LBB38_192:                             ;   in Loop: Header=BB38_147 Depth=1
	s_wait_alu 0xfffe
	s_or_b32 exec_lo, exec_lo, s2
	v_add_co_u32 v1, vcc_lo, v133, 21
	v_mov_b32_e32 v211, 0
	v_dual_mov_b32 v212, 0 :: v_dual_mov_b32 v217, 0
	v_mov_b32_e32 v233, 0
	s_wait_alu 0xfffd
	v_add_co_ci_u32_e64 v2, null, 0, v134, vcc_lo
	v_mov_b32_e32 v218, 0
	v_mov_b32_e32 v234, 0
	s_mov_b32 s2, exec_lo
	s_delay_alu instid0(VALU_DEP_3)
	v_cmpx_gt_i64_e64 s[4:5], v[1:2]
	s_cbranch_execz .LBB38_194
; %bb.193:                              ;   in Loop: Header=BB38_147 Depth=1
	scratch_load_b32 v0, off, off offset:180 ; 4-byte Folded Reload
	s_wait_loadcnt 0x0
	v_add_co_u32 v1, vcc_lo, v0, v131
	scratch_load_b32 v0, off, off offset:184 ; 4-byte Folded Reload
	s_wait_loadcnt 0x0
	s_wait_alu 0xfffd
	v_add_co_ci_u32_e64 v2, null, v0, v132, vcc_lo
	scratch_load_b32 v0, off, off offset:188 ; 4-byte Folded Reload
	s_wait_loadcnt 0x0
	v_add_co_u32 v139, vcc_lo, v0, v131
	scratch_load_b32 v0, off, off offset:192 ; 4-byte Folded Reload
	s_wait_loadcnt 0x0
	s_wait_alu 0xfffd
	v_add_co_ci_u32_e64 v140, null, v0, v132, vcc_lo
	global_load_b64 v[217:218], v[1:2], off
	global_load_b64 v[233:234], v[139:140], off
.LBB38_194:                             ;   in Loop: Header=BB38_147 Depth=1
	s_wait_alu 0xfffe
	s_or_b32 exec_lo, exec_lo, s2
	v_add_co_u32 v1, vcc_lo, v133, 22
	v_mov_b32_e32 v235, 0
	s_wait_alu 0xfffd
	v_add_co_ci_u32_e64 v2, null, 0, v134, vcc_lo
	v_mov_b32_e32 v236, 0
	s_mov_b32 s2, exec_lo
	s_delay_alu instid0(VALU_DEP_2)
	v_cmpx_gt_i64_e64 s[4:5], v[1:2]
	s_cbranch_execz .LBB38_196
; %bb.195:                              ;   in Loop: Header=BB38_147 Depth=1
	scratch_load_b32 v0, off, off offset:164 ; 4-byte Folded Reload
	s_wait_loadcnt 0x0
	v_add_co_u32 v1, vcc_lo, v0, v131
	scratch_load_b32 v0, off, off offset:168 ; 4-byte Folded Reload
	s_wait_loadcnt 0x0
	s_wait_alu 0xfffd
	v_add_co_ci_u32_e64 v2, null, v0, v132, vcc_lo
	scratch_load_b32 v0, off, off offset:172 ; 4-byte Folded Reload
	s_wait_loadcnt 0x0
	v_add_co_u32 v139, vcc_lo, v0, v131
	scratch_load_b32 v0, off, off offset:176 ; 4-byte Folded Reload
	s_wait_loadcnt 0x0
	s_wait_alu 0xfffd
	v_add_co_ci_u32_e64 v140, null, v0, v132, vcc_lo
	global_load_b64 v[211:212], v[1:2], off
	global_load_b64 v[235:236], v[139:140], off
.LBB38_196:                             ;   in Loop: Header=BB38_147 Depth=1
	s_wait_alu 0xfffe
	s_or_b32 exec_lo, exec_lo, s2
	v_add_co_u32 v1, vcc_lo, v133, 23
	v_mov_b32_e32 v223, 0
	v_dual_mov_b32 v224, 0 :: v_dual_mov_b32 v229, 0
	v_mov_b32_e32 v241, 0
	s_wait_alu 0xfffd
	v_add_co_ci_u32_e64 v2, null, 0, v134, vcc_lo
	v_mov_b32_e32 v230, 0
	v_mov_b32_e32 v242, 0
	s_mov_b32 s2, exec_lo
	s_delay_alu instid0(VALU_DEP_3)
	v_cmpx_gt_i64_e64 s[4:5], v[1:2]
	s_cbranch_execz .LBB38_198
; %bb.197:                              ;   in Loop: Header=BB38_147 Depth=1
	scratch_load_b32 v0, off, off offset:148 ; 4-byte Folded Reload
	s_wait_loadcnt 0x0
	v_add_co_u32 v1, vcc_lo, v0, v131
	scratch_load_b32 v0, off, off offset:152 ; 4-byte Folded Reload
	s_wait_loadcnt 0x0
	s_wait_alu 0xfffd
	v_add_co_ci_u32_e64 v2, null, v0, v132, vcc_lo
	scratch_load_b32 v0, off, off offset:156 ; 4-byte Folded Reload
	s_wait_loadcnt 0x0
	v_add_co_u32 v139, vcc_lo, v0, v131
	scratch_load_b32 v0, off, off offset:160 ; 4-byte Folded Reload
	s_wait_loadcnt 0x0
	s_wait_alu 0xfffd
	v_add_co_ci_u32_e64 v140, null, v0, v132, vcc_lo
	global_load_b64 v[229:230], v[1:2], off
	global_load_b64 v[241:242], v[139:140], off
.LBB38_198:                             ;   in Loop: Header=BB38_147 Depth=1
	s_wait_alu 0xfffe
	s_or_b32 exec_lo, exec_lo, s2
	v_add_co_u32 v1, vcc_lo, v133, 24
	v_mov_b32_e32 v243, 0
	s_wait_alu 0xfffd
	v_add_co_ci_u32_e64 v2, null, 0, v134, vcc_lo
	v_mov_b32_e32 v244, 0
	s_mov_b32 s2, exec_lo
	s_delay_alu instid0(VALU_DEP_2)
	v_cmpx_gt_i64_e64 s[4:5], v[1:2]
	s_cbranch_execz .LBB38_200
; %bb.199:                              ;   in Loop: Header=BB38_147 Depth=1
	scratch_load_b32 v0, off, off offset:132 ; 4-byte Folded Reload
	s_wait_loadcnt 0x0
	v_add_co_u32 v1, vcc_lo, v0, v131
	scratch_load_b32 v0, off, off offset:136 ; 4-byte Folded Reload
	s_wait_loadcnt 0x0
	s_wait_alu 0xfffd
	v_add_co_ci_u32_e64 v2, null, v0, v132, vcc_lo
	scratch_load_b32 v0, off, off offset:140 ; 4-byte Folded Reload
	s_wait_loadcnt 0x0
	v_add_co_u32 v139, vcc_lo, v0, v131
	scratch_load_b32 v0, off, off offset:144 ; 4-byte Folded Reload
	s_wait_loadcnt 0x0
	s_wait_alu 0xfffd
	v_add_co_ci_u32_e64 v140, null, v0, v132, vcc_lo
	global_load_b64 v[223:224], v[1:2], off
	global_load_b64 v[243:244], v[139:140], off
.LBB38_200:                             ;   in Loop: Header=BB38_147 Depth=1
	;; [unrolled: 61-line block ×5, first 2 shown]
	s_wait_alu 0xfffe
	s_or_b32 exec_lo, exec_lo, s2
	v_add_co_u32 v1, vcc_lo, v133, 31
	s_wait_alu 0xfffd
	v_add_co_ci_u32_e64 v2, null, 0, v134, vcc_lo
	v_mov_b32_e32 v249, 0
	v_mov_b32_e32 v250, 0
	v_dual_mov_b32 v214, v156 :: v_dual_mov_b32 v213, v155
	s_delay_alu instid0(VALU_DEP_4)
	v_cmp_gt_i64_e32 vcc_lo, s[4:5], v[1:2]
	v_dual_mov_b32 v1, 0 :: v_dual_mov_b32 v216, v150
	v_dual_mov_b32 v215, v149 :: v_dual_mov_b32 v154, v146
	;; [unrolled: 1-line block ×3, first 2 shown]
	s_and_saveexec_b32 s2, vcc_lo
	s_cbranch_execz .LBB38_214
; %bb.213:                              ;   in Loop: Header=BB38_147 Depth=1
	scratch_load_b32 v0, off, off offset:16 ; 4-byte Folded Reload
	s_wait_loadcnt 0x0
	v_add_co_u32 v1, vcc_lo, v0, v131
	scratch_load_b32 v0, off, off offset:20 ; 4-byte Folded Reload
	s_wait_loadcnt 0x0
	s_wait_alu 0xfffd
	v_add_co_ci_u32_e64 v2, null, v0, v132, vcc_lo
	scratch_load_b32 v0, off, off offset:24 ; 4-byte Folded Reload
	s_wait_loadcnt 0x0
	v_add_co_u32 v155, vcc_lo, v0, v131
	scratch_load_b32 v0, off, off offset:28 ; 4-byte Folded Reload
	s_wait_loadcnt 0x0
	s_wait_alu 0xfffd
	v_add_co_ci_u32_e64 v156, null, v0, v132, vcc_lo
	global_load_b64 v[249:250], v[1:2], off
	global_load_b64 v[1:2], v[155:156], off
.LBB38_214:                             ;   in Loop: Header=BB38_147 Depth=1
	s_wait_alu 0xfffe
	s_or_b32 exec_lo, exec_lo, s2
	s_wait_loadcnt 0x1
	ds_bpermute_b32 v155, v130, v135
	ds_bpermute_b32 v156, v130, v136
	scratch_load_b64 v[3:4], off, off offset:460 th:TH_LOAD_LU ; 8-byte Folded Reload
	ds_bpermute_b32 v145, v130, v135 offset:4
	ds_bpermute_b32 v146, v130, v136 offset:4
	s_mov_b32 s2, 0
	scratch_load_b64 v[149:150], off, off offset:468 th:TH_LOAD_LU ; 8-byte Folded Reload
	s_wait_loadcnt_dscnt 0x202
	v_add_f64_e64 v[155:156], v[219:220], -v[155:156]
	v_dual_mov_b32 v220, v148 :: v_dual_mov_b32 v219, v147
	s_delay_alu instid0(VALU_DEP_2)
	v_mul_f64_e32 v[155:156], v[147:148], v[155:156]
	scratch_load_b64 v[147:148], off, off offset:8 ; 8-byte Folded Reload
	s_wait_loadcnt_dscnt 0x200
	v_add_f64_e64 v[145:146], v[3:4], -v[145:146]
	ds_bpermute_b32 v3, v130, v137
	ds_bpermute_b32 v4, v130, v138
	v_mul_f64_e32 v[145:146], v[215:216], v[145:146]
	s_wait_loadcnt_dscnt 0x0
	v_fma_f64 v[3:4], v[155:156], v[3:4], v[147:148]
	scratch_load_b64 v[147:148], off, off offset:452 th:TH_LOAD_LU ; 8-byte Folded Reload
	ds_bpermute_b32 v155, v130, v137 offset:4
	ds_bpermute_b32 v156, v130, v138 offset:4
	s_wait_dscnt 0x0
	v_fma_f64 v[3:4], v[145:146], v[155:156], v[3:4]
	ds_bpermute_b32 v145, v130, v135 offset:8
	ds_bpermute_b32 v146, v130, v136 offset:8
	;; [unrolled: 1-line block ×4, first 2 shown]
	s_wait_loadcnt_dscnt 0x2
	v_add_f64_e64 v[145:146], v[147:148], -v[145:146]
	v_dual_mov_b32 v147, v153 :: v_dual_mov_b32 v148, v154
	scratch_load_b64 v[153:154], off, off offset:588 th:TH_LOAD_LU ; 8-byte Folded Reload
	v_mul_f64_e32 v[145:146], v[147:148], v[145:146]
	s_wait_dscnt 0x0
	s_delay_alu instid0(VALU_DEP_1)
	v_fma_f64 v[3:4], v[145:146], v[155:156], v[3:4]
	ds_bpermute_b32 v145, v130, v135 offset:12
	ds_bpermute_b32 v146, v130, v136 offset:12
	;; [unrolled: 1-line block ×4, first 2 shown]
	s_wait_dscnt 0x2
	v_add_f64_e64 v[145:146], v[149:150], -v[145:146]
	scratch_load_b64 v[149:150], off, off offset:476 th:TH_LOAD_LU ; 8-byte Folded Reload
	v_mul_f64_e32 v[145:146], v[227:228], v[145:146]
	s_wait_dscnt 0x0
	s_delay_alu instid0(VALU_DEP_1)
	v_fma_f64 v[3:4], v[145:146], v[155:156], v[3:4]
	ds_bpermute_b32 v145, v130, v135 offset:16
	ds_bpermute_b32 v146, v130, v136 offset:16
	ds_bpermute_b32 v155, v130, v137 offset:16
	ds_bpermute_b32 v156, v130, v138 offset:16
	s_wait_loadcnt_dscnt 0x2
	v_add_f64_e64 v[145:146], v[149:150], -v[145:146]
	scratch_load_b64 v[149:150], off, off offset:484 th:TH_LOAD_LU ; 8-byte Folded Reload
	v_mul_f64_e32 v[145:146], v[151:152], v[145:146]
	s_wait_dscnt 0x0
	s_delay_alu instid0(VALU_DEP_1)
	v_fma_f64 v[3:4], v[145:146], v[155:156], v[3:4]
	ds_bpermute_b32 v145, v130, v135 offset:20
	ds_bpermute_b32 v146, v130, v136 offset:20
	ds_bpermute_b32 v155, v130, v137 offset:20
	ds_bpermute_b32 v156, v130, v138 offset:20
	s_wait_loadcnt_dscnt 0x2
	;; [unrolled: 11-line block ×11, first 2 shown]
	v_add_f64_e64 v[145:146], v[149:150], -v[145:146]
	scratch_load_b64 v[149:150], off, off offset:572 th:TH_LOAD_LU ; 8-byte Folded Reload
	v_mul_f64_e32 v[145:146], v[165:166], v[145:146]
	s_wait_dscnt 0x0
	s_delay_alu instid0(VALU_DEP_1)
	v_fma_f64 v[3:4], v[145:146], v[155:156], v[3:4]
	ds_bpermute_b32 v145, v130, v135 offset:60
	ds_bpermute_b32 v146, v130, v136 offset:60
	;; [unrolled: 1-line block ×4, first 2 shown]
	s_wait_dscnt 0x2
	v_add_f64_e64 v[145:146], v[225:226], -v[145:146]
	s_delay_alu instid0(VALU_DEP_1) | instskip(SKIP_1) | instid1(VALU_DEP_1)
	v_mul_f64_e32 v[145:146], v[179:180], v[145:146]
	s_wait_dscnt 0x0
	v_fma_f64 v[3:4], v[145:146], v[155:156], v[3:4]
	ds_bpermute_b32 v145, v130, v135 offset:64
	ds_bpermute_b32 v146, v130, v136 offset:64
	s_wait_loadcnt_dscnt 0x0
	v_add_f64_e64 v[145:146], v[149:150], -v[145:146]
	ds_bpermute_b32 v149, v130, v137 offset:64
	ds_bpermute_b32 v150, v130, v138 offset:64
	v_mul_f64_e32 v[145:146], v[177:178], v[145:146]
	s_wait_dscnt 0x0
	s_delay_alu instid0(VALU_DEP_1)
	v_fma_f64 v[3:4], v[145:146], v[149:150], v[3:4]
	scratch_load_b64 v[149:150], off, off offset:580 th:TH_LOAD_LU ; 8-byte Folded Reload
	ds_bpermute_b32 v145, v130, v135 offset:68
	ds_bpermute_b32 v146, v130, v136 offset:68
	s_wait_loadcnt_dscnt 0x0
	v_add_f64_e64 v[145:146], v[149:150], -v[145:146]
	ds_bpermute_b32 v149, v130, v137 offset:68
	ds_bpermute_b32 v150, v130, v138 offset:68
	v_mul_f64_e32 v[145:146], v[193:194], v[145:146]
	s_wait_dscnt 0x0
	s_delay_alu instid0(VALU_DEP_1)
	v_fma_f64 v[3:4], v[145:146], v[149:150], v[3:4]
	scratch_load_b64 v[145:146], off, off   ; 8-byte Folded Reload
	ds_bpermute_b32 v149, v130, v135 offset:72
	ds_bpermute_b32 v150, v130, v136 offset:72
	s_wait_dscnt 0x0
	v_add_f64_e64 v[149:150], v[185:186], -v[149:150]
	s_delay_alu instid0(VALU_DEP_1) | instskip(SKIP_2) | instid1(VALU_DEP_1)
	v_mul_f64_e32 v[149:150], v[189:190], v[149:150]
	s_wait_loadcnt 0x0
	v_add_f64_e32 v[145:146], v[145:146], v[219:220]
	v_add_f64_e32 v[145:146], v[145:146], v[215:216]
	s_delay_alu instid0(VALU_DEP_1) | instskip(SKIP_2) | instid1(VALU_DEP_1)
	v_add_f64_e32 v[145:146], v[145:146], v[147:148]
	scratch_load_b64 v[147:148], off, off offset:564 th:TH_LOAD_LU ; 8-byte Folded Reload
	v_add_f64_e32 v[145:146], v[145:146], v[227:228]
	v_add_f64_e32 v[145:146], v[145:146], v[151:152]
	ds_bpermute_b32 v151, v130, v135 offset:76
	ds_bpermute_b32 v152, v130, v136 offset:76
	v_add_f64_e32 v[145:146], v[145:146], v[157:158]
	s_delay_alu instid0(VALU_DEP_1) | instskip(NEXT) | instid1(VALU_DEP_1)
	v_add_f64_e32 v[145:146], v[145:146], v[213:214]
	v_add_f64_e32 v[145:146], v[145:146], v[221:222]
	s_delay_alu instid0(VALU_DEP_1) | instskip(NEXT) | instid1(VALU_DEP_1)
	v_add_f64_e32 v[145:146], v[145:146], v[159:160]
	v_add_f64_e32 v[145:146], v[145:146], v[181:182]
	s_delay_alu instid0(VALU_DEP_1)
	v_add_f64_e32 v[145:146], v[145:146], v[183:184]
	s_wait_loadcnt_dscnt 0x0
	v_add_f64_e64 v[147:148], v[147:148], -v[151:152]
	ds_bpermute_b32 v151, v130, v135 offset:80
	ds_bpermute_b32 v152, v130, v136 offset:80
	v_add_f64_e32 v[145:146], v[145:146], v[163:164]
	s_wait_dscnt 0x0
	v_add_f64_e64 v[151:152], v[153:154], -v[151:152]
	ds_bpermute_b32 v153, v130, v137 offset:72
	ds_bpermute_b32 v154, v130, v138 offset:72
	v_mul_f64_e32 v[147:148], v[205:206], v[147:148]
	s_wait_dscnt 0x0
	v_fma_f64 v[3:4], v[149:150], v[153:154], v[3:4]
	ds_bpermute_b32 v149, v130, v135 offset:84
	ds_bpermute_b32 v150, v130, v136 offset:84
	;; [unrolled: 1-line block ×4, first 2 shown]
	v_add_f64_e32 v[145:146], v[145:146], v[161:162]
	v_mul_f64_e32 v[151:152], v[199:200], v[151:152]
	s_wait_dscnt 0x2
	v_add_f64_e64 v[149:150], v[233:234], -v[149:150]
	s_wait_dscnt 0x0
	v_fma_f64 v[3:4], v[147:148], v[153:154], v[3:4]
	ds_bpermute_b32 v147, v130, v135 offset:88
	ds_bpermute_b32 v148, v130, v136 offset:88
	ds_bpermute_b32 v153, v130, v137 offset:80
	ds_bpermute_b32 v154, v130, v138 offset:80
	v_add_f64_e32 v[145:146], v[145:146], v[167:168]
	s_wait_dscnt 0x2
	v_add_f64_e64 v[147:148], v[235:236], -v[147:148]
	v_mul_f64_e32 v[149:150], v[217:218], v[149:150]
	s_wait_dscnt 0x0
	v_fma_f64 v[3:4], v[151:152], v[153:154], v[3:4]
	ds_bpermute_b32 v151, v130, v135 offset:92
	ds_bpermute_b32 v152, v130, v136 offset:92
	ds_bpermute_b32 v153, v130, v137 offset:84
	ds_bpermute_b32 v154, v130, v138 offset:84
	v_add_f64_e32 v[145:146], v[145:146], v[165:166]
	s_wait_dscnt 0x2
	v_add_f64_e64 v[151:152], v[241:242], -v[151:152]
	v_mul_f64_e32 v[147:148], v[211:212], v[147:148]
	;; [unrolled: 10-line block ×7, first 2 shown]
	ds_bpermute_b32 v149, v130, v135 offset:116
	ds_bpermute_b32 v150, v130, v136 offset:116
	s_wait_dscnt 0x2
	v_fma_f64 v[3:4], v[151:152], v[153:154], v[3:4]
	ds_bpermute_b32 v151, v130, v137 offset:108
	ds_bpermute_b32 v152, v130, v138 offset:108
	s_wait_dscnt 0x2
	v_add_f64_e64 v[143:144], v[143:144], -v[149:150]
	ds_bpermute_b32 v149, v130, v137 offset:112
	ds_bpermute_b32 v150, v130, v138 offset:112
	v_add_f64_e32 v[145:146], v[145:146], v[199:200]
	v_mul_f64_e32 v[141:142], v[239:240], v[141:142]
	s_wait_dscnt 0x2
	v_fma_f64 v[3:4], v[147:148], v[151:152], v[3:4]
	ds_bpermute_b32 v147, v130, v135 offset:120
	ds_bpermute_b32 v148, v130, v136 offset:120
	;; [unrolled: 1-line block ×4, first 2 shown]
	v_mul_f64_e32 v[143:144], v[139:140], v[143:144]
	v_add_f64_e32 v[145:146], v[145:146], v[217:218]
	s_wait_dscnt 0x2
	v_add_f64_e64 v[147:148], v[171:172], -v[147:148]
	v_fma_f64 v[3:4], v[141:142], v[149:150], v[3:4]
	s_delay_alu instid0(VALU_DEP_3) | instskip(NEXT) | instid1(VALU_DEP_3)
	v_add_f64_e32 v[145:146], v[145:146], v[211:212]
	v_mul_f64_e32 v[147:148], v[253:254], v[147:148]
	s_delay_alu instid0(VALU_DEP_2) | instskip(NEXT) | instid1(VALU_DEP_1)
	v_add_f64_e32 v[145:146], v[145:146], v[229:230]
	v_add_f64_e32 v[145:146], v[145:146], v[223:224]
	s_delay_alu instid0(VALU_DEP_1) | instskip(NEXT) | instid1(VALU_DEP_1)
	v_add_f64_e32 v[145:146], v[145:146], v[237:238]
	v_add_f64_e32 v[145:146], v[145:146], v[231:232]
	s_delay_alu instid0(VALU_DEP_1) | instskip(NEXT) | instid1(VALU_DEP_1)
	v_add_f64_e32 v[145:146], v[145:146], v[245:246]
	v_add_f64_e32 v[141:142], v[145:146], v[239:240]
	ds_bpermute_b32 v145, v130, v137 offset:116
	ds_bpermute_b32 v146, v130, v138 offset:116
	s_wait_dscnt 0x0
	v_fma_f64 v[3:4], v[143:144], v[145:146], v[3:4]
	v_add_f64_e32 v[139:140], v[141:142], v[139:140]
	ds_bpermute_b32 v141, v130, v137 offset:120
	ds_bpermute_b32 v142, v130, v138 offset:120
	;; [unrolled: 1-line block ×4, first 2 shown]
	s_wait_dscnt 0x2
	v_fma_f64 v[161:162], v[147:148], v[141:142], v[3:4]
	v_add_f64_e32 v[139:140], v[139:140], v[253:254]
.LBB38_215:                             ;   in Loop: Header=BB38_147 Depth=1
	s_wait_alu 0xfffe
	s_and_b32 vcc_lo, exec_lo, s2
	s_wait_alu 0xfffe
	s_cbranch_vccz .LBB38_146
; %bb.216:                              ;   in Loop: Header=BB38_147 Depth=1
	s_load_b32 s2, s[10:11], 0x0
	v_mov_b32_e32 v135, 0
	v_mov_b32_e32 v136, 0
	s_wait_kmcnt 0x0
	s_cmp_lt_u32 ttmp9, s2
	s_cselect_b32 s2, 12, 18
	s_wait_alu 0xfffe
	s_add_nc_u64 s[24:25], s[10:11], s[2:3]
	s_load_u16 s2, s[24:25], 0x0
	s_clause 0x1
	scratch_load_b32 v0, off, off offset:596
	scratch_load_b32 v1, off, off offset:600
	s_wait_loadcnt 0x0
	s_wait_kmcnt 0x0
	v_mad_u32_u24 v1, v0, s2, v1
	s_mov_b32 s2, exec_lo
	s_delay_alu instid0(VALU_DEP_1) | instskip(NEXT) | instid1(VALU_DEP_1)
	v_and_b32_e32 v1, 31, v1
	v_add_co_u32 v1, vcc_lo, v133, v1
	s_wait_alu 0xfffd
	v_add_co_ci_u32_e64 v2, null, 0, v134, vcc_lo
	v_mov_b32_e32 v133, 0
	v_mov_b32_e32 v134, 0
	s_delay_alu instid0(VALU_DEP_3)
	v_cmpx_gt_i64_e64 s[4:5], v[1:2]
	s_cbranch_execz .LBB38_145
; %bb.217:                              ;   in Loop: Header=BB38_147 Depth=1
	v_lshlrev_b64_e32 v[1:2], 3, v[1:2]
	s_delay_alu instid0(VALU_DEP_1) | instskip(SKIP_1) | instid1(VALU_DEP_2)
	v_add_co_u32 v3, vcc_lo, s12, v1
	s_wait_alu 0xfffd
	v_add_co_ci_u32_e64 v4, null, s13, v2, vcc_lo
	v_add_co_u32 v1, vcc_lo, s14, v1
	s_wait_alu 0xfffd
	v_add_co_ci_u32_e64 v2, null, s15, v2, vcc_lo
	global_load_b64 v[133:134], v[3:4], off
	global_load_b64 v[135:136], v[1:2], off
	s_branch .LBB38_145
.LBB38_218:
	scratch_load_b32 v0, off, off offset:604 ; 4-byte Folded Reload
.LBB38_219:
	s_mov_b32 s2, ttmp9
	s_mov_b32 s3, 0
	s_wait_alu 0xfffe
	s_lshl_b64 s[2:3], s[2:3], 5
	s_wait_loadcnt 0x0
	s_wait_alu 0xfffe
	v_and_or_b32 v1, 0x3ff, v0, s2
	v_mov_b32_e32 v2, s3
	s_mov_b32 s2, exec_lo
	s_delay_alu instid0(VALU_DEP_1)
	v_cmpx_gt_i64_e64 s[6:7], v[1:2]
	s_cbranch_execz .LBB38_224
; %bb.220:
	s_clause 0x1
	s_load_u16 s4, s[0:1], 0x4e
	s_load_b128 s[0:3], s[0:1], 0x30
	v_bfe_u32 v3, v0, 10, 10
	v_mov_b32_e32 v4, 0
	v_lshlrev_b64_e32 v[0:1], 3, v[1:2]
	s_wait_kmcnt 0x0
	s_delay_alu instid0(VALU_DEP_2)
	v_mad_co_u64_u32 v[5:6], null, s4, ttmp7, v[3:4]
	s_cmp_eq_u64 s[0:1], 0
	v_mul_lo_u32 v3, v6, s6
	v_mul_lo_u32 v4, v5, s7
	s_cbranch_scc1 .LBB38_222
; %bb.221:
	scratch_load_b64 v[8:9], off, off offset:8 th:TH_LOAD_LU ; 8-byte Folded Reload
	v_mad_co_u64_u32 v[6:7], null, v5, s6, 0
	s_delay_alu instid0(VALU_DEP_1) | instskip(NEXT) | instid1(VALU_DEP_1)
	v_add3_u32 v7, v7, v4, v3
	v_lshlrev_b64_e32 v[6:7], 3, v[6:7]
	s_delay_alu instid0(VALU_DEP_1) | instskip(SKIP_1) | instid1(VALU_DEP_2)
	v_add_co_u32 v2, vcc_lo, s0, v6
	s_wait_alu 0xfffd
	v_add_co_ci_u32_e64 v7, null, s1, v7, vcc_lo
	s_delay_alu instid0(VALU_DEP_2) | instskip(SKIP_1) | instid1(VALU_DEP_2)
	v_add_co_u32 v6, vcc_lo, v2, v0
	s_wait_alu 0xfffd
	v_add_co_ci_u32_e64 v7, null, v7, v1, vcc_lo
	s_wait_loadcnt 0x0
	global_store_b64 v[6:7], v[8:9], off
.LBB38_222:
	s_cmp_eq_u64 s[2:3], 0
	s_cbranch_scc1 .LBB38_224
; %bb.223:
	v_mad_co_u64_u32 v[5:6], null, v5, s6, 0
	s_delay_alu instid0(VALU_DEP_1) | instskip(NEXT) | instid1(VALU_DEP_1)
	v_add3_u32 v6, v6, v4, v3
	v_lshlrev_b64_e32 v[2:3], 3, v[5:6]
	s_delay_alu instid0(VALU_DEP_1) | instskip(SKIP_1) | instid1(VALU_DEP_2)
	v_add_co_u32 v2, vcc_lo, s2, v2
	s_wait_alu 0xfffd
	v_add_co_ci_u32_e64 v3, null, s3, v3, vcc_lo
	s_delay_alu instid0(VALU_DEP_2) | instskip(SKIP_1) | instid1(VALU_DEP_2)
	v_add_co_u32 v0, vcc_lo, v2, v0
	s_wait_alu 0xfffd
	v_add_co_ci_u32_e64 v1, null, v3, v1, vcc_lo
	scratch_load_b64 v[2:3], off, off th:TH_LOAD_LU ; 8-byte Folded Reload
	s_wait_loadcnt 0x0
	global_store_b64 v[0:1], v[2:3], off
.LBB38_224:
	s_nop 0
	s_sendmsg sendmsg(MSG_DEALLOC_VGPRS)
	s_endpgm
	.section	.rodata,"a",@progbits
	.p2align	6, 0x0
	.amdhsa_kernel _ZN2at6native12_GLOBAL__N_135GammaBetaBackwardCUDAKernelTemplateIddLj32ELj1ELj32ELb1ELb0ELb0EEEvllPKT_S5_PKT0_S8_PS3_S9_
		.amdhsa_group_segment_fixed_size 0
		.amdhsa_private_segment_fixed_size 612
		.amdhsa_kernarg_size 320
		.amdhsa_user_sgpr_count 2
		.amdhsa_user_sgpr_dispatch_ptr 0
		.amdhsa_user_sgpr_queue_ptr 0
		.amdhsa_user_sgpr_kernarg_segment_ptr 1
		.amdhsa_user_sgpr_dispatch_id 0
		.amdhsa_user_sgpr_private_segment_size 0
		.amdhsa_wavefront_size32 1
		.amdhsa_uses_dynamic_stack 0
		.amdhsa_enable_private_segment 1
		.amdhsa_system_sgpr_workgroup_id_x 1
		.amdhsa_system_sgpr_workgroup_id_y 1
		.amdhsa_system_sgpr_workgroup_id_z 0
		.amdhsa_system_sgpr_workgroup_info 0
		.amdhsa_system_vgpr_workitem_id 1
		.amdhsa_next_free_vgpr 256
		.amdhsa_next_free_sgpr 36
		.amdhsa_reserve_vcc 1
		.amdhsa_float_round_mode_32 0
		.amdhsa_float_round_mode_16_64 0
		.amdhsa_float_denorm_mode_32 3
		.amdhsa_float_denorm_mode_16_64 3
		.amdhsa_fp16_overflow 0
		.amdhsa_workgroup_processor_mode 1
		.amdhsa_memory_ordered 1
		.amdhsa_forward_progress 1
		.amdhsa_inst_pref_size 255
		.amdhsa_round_robin_scheduling 0
		.amdhsa_exception_fp_ieee_invalid_op 0
		.amdhsa_exception_fp_denorm_src 0
		.amdhsa_exception_fp_ieee_div_zero 0
		.amdhsa_exception_fp_ieee_overflow 0
		.amdhsa_exception_fp_ieee_underflow 0
		.amdhsa_exception_fp_ieee_inexact 0
		.amdhsa_exception_int_div_zero 0
	.end_amdhsa_kernel
	.section	.text._ZN2at6native12_GLOBAL__N_135GammaBetaBackwardCUDAKernelTemplateIddLj32ELj1ELj32ELb1ELb0ELb0EEEvllPKT_S5_PKT0_S8_PS3_S9_,"axG",@progbits,_ZN2at6native12_GLOBAL__N_135GammaBetaBackwardCUDAKernelTemplateIddLj32ELj1ELj32ELb1ELb0ELb0EEEvllPKT_S5_PKT0_S8_PS3_S9_,comdat
.Lfunc_end38:
	.size	_ZN2at6native12_GLOBAL__N_135GammaBetaBackwardCUDAKernelTemplateIddLj32ELj1ELj32ELb1ELb0ELb0EEEvllPKT_S5_PKT0_S8_PS3_S9_, .Lfunc_end38-_ZN2at6native12_GLOBAL__N_135GammaBetaBackwardCUDAKernelTemplateIddLj32ELj1ELj32ELb1ELb0ELb0EEEvllPKT_S5_PKT0_S8_PS3_S9_
                                        ; -- End function
	.set _ZN2at6native12_GLOBAL__N_135GammaBetaBackwardCUDAKernelTemplateIddLj32ELj1ELj32ELb1ELb0ELb0EEEvllPKT_S5_PKT0_S8_PS3_S9_.num_vgpr, 256
	.set _ZN2at6native12_GLOBAL__N_135GammaBetaBackwardCUDAKernelTemplateIddLj32ELj1ELj32ELb1ELb0ELb0EEEvllPKT_S5_PKT0_S8_PS3_S9_.num_agpr, 0
	.set _ZN2at6native12_GLOBAL__N_135GammaBetaBackwardCUDAKernelTemplateIddLj32ELj1ELj32ELb1ELb0ELb0EEEvllPKT_S5_PKT0_S8_PS3_S9_.numbered_sgpr, 36
	.set _ZN2at6native12_GLOBAL__N_135GammaBetaBackwardCUDAKernelTemplateIddLj32ELj1ELj32ELb1ELb0ELb0EEEvllPKT_S5_PKT0_S8_PS3_S9_.num_named_barrier, 0
	.set _ZN2at6native12_GLOBAL__N_135GammaBetaBackwardCUDAKernelTemplateIddLj32ELj1ELj32ELb1ELb0ELb0EEEvllPKT_S5_PKT0_S8_PS3_S9_.private_seg_size, 612
	.set _ZN2at6native12_GLOBAL__N_135GammaBetaBackwardCUDAKernelTemplateIddLj32ELj1ELj32ELb1ELb0ELb0EEEvllPKT_S5_PKT0_S8_PS3_S9_.uses_vcc, 1
	.set _ZN2at6native12_GLOBAL__N_135GammaBetaBackwardCUDAKernelTemplateIddLj32ELj1ELj32ELb1ELb0ELb0EEEvllPKT_S5_PKT0_S8_PS3_S9_.uses_flat_scratch, 1
	.set _ZN2at6native12_GLOBAL__N_135GammaBetaBackwardCUDAKernelTemplateIddLj32ELj1ELj32ELb1ELb0ELb0EEEvllPKT_S5_PKT0_S8_PS3_S9_.has_dyn_sized_stack, 0
	.set _ZN2at6native12_GLOBAL__N_135GammaBetaBackwardCUDAKernelTemplateIddLj32ELj1ELj32ELb1ELb0ELb0EEEvllPKT_S5_PKT0_S8_PS3_S9_.has_recursion, 0
	.set _ZN2at6native12_GLOBAL__N_135GammaBetaBackwardCUDAKernelTemplateIddLj32ELj1ELj32ELb1ELb0ELb0EEEvllPKT_S5_PKT0_S8_PS3_S9_.has_indirect_call, 0
	.section	.AMDGPU.csdata,"",@progbits
; Kernel info:
; codeLenInByte = 44620
; TotalNumSgprs: 38
; NumVgprs: 256
; ScratchSize: 612
; MemoryBound: 0
; FloatMode: 240
; IeeeMode: 1
; LDSByteSize: 0 bytes/workgroup (compile time only)
; SGPRBlocks: 0
; VGPRBlocks: 31
; NumSGPRsForWavesPerEU: 38
; NumVGPRsForWavesPerEU: 256
; Occupancy: 5
; WaveLimiterHint : 0
; COMPUTE_PGM_RSRC2:SCRATCH_EN: 1
; COMPUTE_PGM_RSRC2:USER_SGPR: 2
; COMPUTE_PGM_RSRC2:TRAP_HANDLER: 0
; COMPUTE_PGM_RSRC2:TGID_X_EN: 1
; COMPUTE_PGM_RSRC2:TGID_Y_EN: 1
; COMPUTE_PGM_RSRC2:TGID_Z_EN: 0
; COMPUTE_PGM_RSRC2:TIDIG_COMP_CNT: 1
	.section	.text._ZN2at6native12_GLOBAL__N_135GammaBetaBackwardCUDAKernelTemplateIddLj32ELj1ELj8ELb1ELb1ELb0EEEvllPKT_S5_PKT0_S8_PS3_S9_,"axG",@progbits,_ZN2at6native12_GLOBAL__N_135GammaBetaBackwardCUDAKernelTemplateIddLj32ELj1ELj8ELb1ELb1ELb0EEEvllPKT_S5_PKT0_S8_PS3_S9_,comdat
	.globl	_ZN2at6native12_GLOBAL__N_135GammaBetaBackwardCUDAKernelTemplateIddLj32ELj1ELj8ELb1ELb1ELb0EEEvllPKT_S5_PKT0_S8_PS3_S9_ ; -- Begin function _ZN2at6native12_GLOBAL__N_135GammaBetaBackwardCUDAKernelTemplateIddLj32ELj1ELj8ELb1ELb1ELb0EEEvllPKT_S5_PKT0_S8_PS3_S9_
	.p2align	8
	.type	_ZN2at6native12_GLOBAL__N_135GammaBetaBackwardCUDAKernelTemplateIddLj32ELj1ELj8ELb1ELb1ELb0EEEvllPKT_S5_PKT0_S8_PS3_S9_,@function
_ZN2at6native12_GLOBAL__N_135GammaBetaBackwardCUDAKernelTemplateIddLj32ELj1ELj8ELb1ELb1ELb0EEEvllPKT_S5_PKT0_S8_PS3_S9_: ; @_ZN2at6native12_GLOBAL__N_135GammaBetaBackwardCUDAKernelTemplateIddLj32ELj1ELj8ELb1ELb1ELb0EEEvllPKT_S5_PKT0_S8_PS3_S9_
; %bb.0:
	s_load_b128 s[12:15], s[0:1], 0x0
	s_lshl_b32 s2, ttmp7, 3
	s_mov_b32 s3, 0
	v_bfe_u32 v14, v0, 10, 10
	s_add_nc_u64 s[20:21], s[0:1], 64
	s_wait_kmcnt 0x0
	v_cmp_gt_i64_e64 s4, s[12:13], s[2:3]
	s_and_b32 vcc_lo, exec_lo, s4
	s_cbranch_vccnz .LBB39_2
; %bb.1:
	v_bfe_u32 v1, v0, 10, 10
	s_add_nc_u64 s[4:5], s[0:1], 64
	s_mov_b32 s6, s3
	s_branch .LBB39_3
.LBB39_2:
	s_mov_b32 s6, -1
                                        ; implicit-def: $sgpr4_sgpr5
                                        ; implicit-def: $vgpr1
.LBB39_3:
	s_load_b128 s[16:19], s[0:1], 0x30
	v_mov_b32_e32 v6, 0
	v_dual_mov_b32 v7, 0 :: v_dual_mov_b32 v8, 0
	v_mov_b32_e32 v9, 0
	v_and_b32_e32 v15, 0x3ff, v0
	s_and_not1_b32 vcc_lo, exec_lo, s6
	s_cbranch_vccnz .LBB39_11
; %bb.4:
	s_load_b32 s22, s[0:1], 0x4c
	v_dual_mov_b32 v1, 0 :: v_dual_lshlrev_b32 v0, 3, v14
	s_clause 0x1
	s_load_b32 s24, s[0:1], 0x44
	s_load_b256 s[4:11], s[0:1], 0x10
	s_mov_b32 s23, 0
	v_dual_mov_b32 v16, 8 :: v_dual_mov_b32 v17, 4
	v_add_co_u32 v2, s0, v0, s2
	s_delay_alu instid0(VALU_DEP_1) | instskip(SKIP_1) | instid1(VALU_DEP_3)
	v_add_co_ci_u32_e64 v3, null, 0, 0, s0
	v_lshl_add_u32 v0, ttmp9, 5, v15
	v_mul_lo_u32 v8, s15, v2
	v_mad_co_u64_u32 v[4:5], null, s14, v2, 0
	s_delay_alu instid0(VALU_DEP_4)
	v_mul_lo_u32 v9, s14, v3
	v_dual_mov_b32 v18, 12 :: v_dual_mov_b32 v19, 16
	v_dual_mov_b32 v20, 20 :: v_dual_mov_b32 v21, 24
	s_wait_kmcnt 0x0
	s_and_b32 s0, s22, 0xffff
	s_lshl_b64 s[28:29], s[14:15], 3
	s_wait_alu 0xfffe
	v_mad_u32_u24 v6, v14, s0, v15
	v_add3_u32 v5, v5, v9, v8
	s_lshl_b32 s22, s24, 3
	s_delay_alu instid0(SALU_CYCLE_1) | instskip(NEXT) | instid1(VALU_DEP_2)
	s_mul_u64 s[26:27], s[14:15], s[22:23]
	v_and_b32_e32 v10, 31, v6
	v_lshlrev_b64_e32 v[6:7], 3, v[0:1]
	v_lshlrev_b64_e32 v[8:9], 3, v[4:5]
	v_mov_b32_e32 v0, 28
	s_lshl_b64 s[24:25], s[22:23], 3
	v_add_co_u32 v2, vcc_lo, v2, v10
	s_delay_alu instid0(VALU_DEP_1) | instskip(NEXT) | instid1(VALU_DEP_4)
	v_add_co_ci_u32_e64 v3, null, 0, v3, vcc_lo
	v_add_co_u32 v22, vcc_lo, v8, v6
	s_wait_alu 0xfffd
	v_add_co_ci_u32_e64 v23, null, v9, v7, vcc_lo
	s_delay_alu instid0(VALU_DEP_3)
	v_lshlrev_b64_e32 v[4:5], 3, v[2:3]
	v_mov_b32_e32 v8, 0
	v_dual_mov_b32 v6, 0 :: v_dual_mov_b32 v9, 0
	v_cmp_gt_u32_e64 s0, 8, v10
	v_mov_b32_e32 v7, 0
	s_lshl_b64 s[26:27], s[26:27], 3
	s_branch .LBB39_7
.LBB39_5:                               ;   in Loop: Header=BB39_7 Depth=1
	s_or_b32 exec_lo, exec_lo, s30
.LBB39_6:                               ;   in Loop: Header=BB39_7 Depth=1
	s_wait_alu 0xfffe
	s_or_b32 exec_lo, exec_lo, s1
	v_add_co_u32 v24, vcc_lo, s6, v22
	s_wait_alu 0xfffd
	v_add_co_ci_u32_e64 v25, null, s7, v23, vcc_lo
	s_wait_loadcnt 0x1
	ds_bpermute_b32 v56, v1, v12
	ds_bpermute_b32 v57, v1, v13
	s_wait_loadcnt 0x0
	ds_bpermute_b32 v58, v1, v10
	global_load_b64 v[26:27], v[24:25], off
	v_add_co_u32 v24, vcc_lo, v24, s28
	s_wait_alu 0xfffd
	v_add_co_ci_u32_e64 v25, null, s29, v25, vcc_lo
	v_add_co_u32 v28, vcc_lo, s4, v22
	s_wait_alu 0xfffd
	v_add_co_ci_u32_e64 v29, null, s5, v23, vcc_lo
	global_load_b64 v[30:31], v[24:25], off
	global_load_b64 v[32:33], v[28:29], off
	v_add_co_u32 v24, vcc_lo, v24, s28
	s_wait_alu 0xfffd
	v_add_co_ci_u32_e64 v25, null, s29, v25, vcc_lo
	v_add_co_u32 v28, vcc_lo, v28, s28
	s_wait_alu 0xfffd
	v_add_co_ci_u32_e64 v29, null, s29, v29, vcc_lo
	global_load_b64 v[34:35], v[24:25], off
	;; [unrolled: 8-line block ×7, first 2 shown]
	global_load_b64 v[54:55], v[28:29], off
	v_add_co_u32 v28, vcc_lo, v28, s28
	s_wait_alu 0xfffd
	v_add_co_ci_u32_e64 v29, null, s29, v29, vcc_lo
	ds_bpermute_b32 v59, v1, v11
	v_add_co_u32 v4, vcc_lo, v4, s24
	global_load_b64 v[28:29], v[28:29], off
	s_add_nc_u64 s[2:3], s[2:3], s[22:23]
	s_wait_alu 0xfffd
	v_add_co_ci_u32_e64 v5, null, s25, v5, vcc_lo
	v_add_co_u32 v2, vcc_lo, v2, s22
	s_wait_alu 0xfffe
	v_cmp_lt_i64_e64 s1, s[2:3], s[12:13]
	s_wait_alu 0xfffd
	v_add_co_ci_u32_e64 v3, null, 0, v3, vcc_lo
	v_add_co_u32 v22, vcc_lo, v22, s26
	s_wait_alu 0xfffd
	v_add_co_ci_u32_e64 v23, null, s27, v23, vcc_lo
	s_and_b32 vcc_lo, exec_lo, s1
	s_wait_loadcnt_dscnt 0xf02
	v_add_f64_e64 v[26:27], v[26:27], -v[56:57]
	ds_bpermute_b32 v56, v17, v12
	ds_bpermute_b32 v57, v17, v13
	s_wait_loadcnt 0xd
	v_add_f64_e32 v[6:7], v[6:7], v[32:33]
	s_wait_dscnt 0x0
	v_add_f64_e64 v[30:31], v[30:31], -v[56:57]
	ds_bpermute_b32 v56, v16, v12
	ds_bpermute_b32 v57, v16, v13
	v_mul_f64_e32 v[26:27], v[32:33], v[26:27]
	ds_bpermute_b32 v32, v17, v10
	ds_bpermute_b32 v33, v17, v11
	s_wait_loadcnt_dscnt 0xc02
	v_add_f64_e64 v[34:35], v[34:35], -v[56:57]
	s_wait_loadcnt 0xb
	v_add_f64_e32 v[6:7], v[6:7], v[36:37]
	v_mul_f64_e32 v[30:31], v[36:37], v[30:31]
	v_fma_f64 v[8:9], v[26:27], v[58:59], v[8:9]
	ds_bpermute_b32 v26, v18, v12
	ds_bpermute_b32 v27, v18, v13
	s_wait_loadcnt 0x9
	v_mul_f64_e32 v[34:35], v[40:41], v[34:35]
	v_add_f64_e32 v[6:7], v[6:7], v[40:41]
	s_wait_dscnt 0x0
	v_add_f64_e64 v[26:27], v[38:39], -v[26:27]
	v_fma_f64 v[8:9], v[30:31], v[32:33], v[8:9]
	ds_bpermute_b32 v30, v19, v12
	ds_bpermute_b32 v31, v19, v13
	;; [unrolled: 1-line block ×4, first 2 shown]
	s_wait_loadcnt 0x7
	v_add_f64_e32 v[6:7], v[6:7], v[44:45]
	s_wait_dscnt 0x2
	v_add_f64_e64 v[30:31], v[42:43], -v[30:31]
	v_mul_f64_e32 v[26:27], v[44:45], v[26:27]
	s_wait_dscnt 0x0
	v_fma_f64 v[8:9], v[34:35], v[32:33], v[8:9]
	ds_bpermute_b32 v32, v20, v12
	ds_bpermute_b32 v33, v20, v13
	;; [unrolled: 1-line block ×4, first 2 shown]
	s_wait_loadcnt 0x5
	v_add_f64_e32 v[6:7], v[6:7], v[48:49]
	s_wait_dscnt 0x2
	v_add_f64_e64 v[32:33], v[46:47], -v[32:33]
	v_mul_f64_e32 v[30:31], v[48:49], v[30:31]
	s_wait_dscnt 0x0
	v_fma_f64 v[8:9], v[26:27], v[34:35], v[8:9]
	ds_bpermute_b32 v26, v21, v12
	ds_bpermute_b32 v27, v21, v13
	;; [unrolled: 1-line block ×6, first 2 shown]
	s_wait_loadcnt 0x3
	v_add_f64_e32 v[6:7], v[6:7], v[52:53]
	s_wait_dscnt 0x4
	v_add_f64_e64 v[26:27], v[50:51], -v[26:27]
	v_mul_f64_e32 v[32:33], v[52:53], v[32:33]
	s_wait_loadcnt_dscnt 0x200
	v_add_f64_e64 v[12:13], v[24:25], -v[12:13]
	v_fma_f64 v[8:9], v[30:31], v[34:35], v[8:9]
	ds_bpermute_b32 v30, v20, v10
	ds_bpermute_b32 v31, v20, v11
	s_wait_loadcnt 0x1
	v_add_f64_e32 v[6:7], v[6:7], v[54:55]
	v_mul_f64_e32 v[24:25], v[54:55], v[26:27]
	ds_bpermute_b32 v26, v21, v10
	ds_bpermute_b32 v27, v21, v11
	;; [unrolled: 1-line block ×3, first 2 shown]
	s_wait_loadcnt 0x0
	v_mul_f64_e32 v[12:13], v[28:29], v[12:13]
	ds_bpermute_b32 v11, v0, v11
	s_wait_dscnt 0x4
	v_fma_f64 v[8:9], v[32:33], v[30:31], v[8:9]
	v_add_f64_e32 v[6:7], v[6:7], v[28:29]
	s_wait_dscnt 0x2
	s_delay_alu instid0(VALU_DEP_2) | instskip(SKIP_1) | instid1(VALU_DEP_1)
	v_fma_f64 v[8:9], v[24:25], v[26:27], v[8:9]
	s_wait_dscnt 0x0
	v_fma_f64 v[8:9], v[12:13], v[10:11], v[8:9]
	s_wait_alu 0xfffe
	s_cbranch_vccz .LBB39_10
.LBB39_7:                               ; =>This Inner Loop Header: Depth=1
	v_mov_b32_e32 v10, 0
	v_dual_mov_b32 v11, 0 :: v_dual_mov_b32 v12, 0
	v_mov_b32_e32 v13, 0
	s_and_saveexec_b32 s1, s0
	s_cbranch_execz .LBB39_6
; %bb.8:                                ;   in Loop: Header=BB39_7 Depth=1
	v_mov_b32_e32 v12, 0
	v_dual_mov_b32 v13, 0 :: v_dual_mov_b32 v10, 0
	v_mov_b32_e32 v11, 0
	s_mov_b32 s30, exec_lo
	v_cmpx_gt_i64_e64 s[12:13], v[2:3]
	s_cbranch_execz .LBB39_5
; %bb.9:                                ;   in Loop: Header=BB39_7 Depth=1
	v_add_co_u32 v10, vcc_lo, s8, v4
	s_wait_alu 0xfffd
	v_add_co_ci_u32_e64 v11, null, s9, v5, vcc_lo
	v_add_co_u32 v24, vcc_lo, s10, v4
	s_wait_alu 0xfffd
	v_add_co_ci_u32_e64 v25, null, s11, v5, vcc_lo
	global_load_b64 v[12:13], v[10:11], off
	global_load_b64 v[10:11], v[24:25], off
	s_branch .LBB39_5
.LBB39_10:
	v_mov_b32_e32 v1, v14
	s_mov_b64 s[4:5], s[20:21]
.LBB39_11:
	s_load_u16 s2, s[4:5], 0xe
	v_mov_b32_e32 v2, 0
	s_mov_b32 s0, ttmp9
	s_mov_b32 s1, 0
	s_wait_alu 0xfffe
	s_lshl_b64 s[0:1], s[0:1], 5
	s_wait_kmcnt 0x0
	s_cmp_eq_u64 s[16:17], 0
	s_wait_alu 0xfffe
	v_add_co_u32 v0, s0, s0, v15
	s_wait_alu 0xf1ff
	v_mad_co_u64_u32 v[2:3], null, s2, ttmp7, v[1:2]
	v_add_co_ci_u32_e64 v1, null, s1, 0, s0
	s_delay_alu instid0(VALU_DEP_1) | instskip(NEXT) | instid1(VALU_DEP_3)
	v_lshlrev_b64_e32 v[0:1], 3, v[0:1]
	v_mul_lo_u32 v3, v3, s14
	s_delay_alu instid0(VALU_DEP_4)
	v_mul_lo_u32 v4, v2, s15
	s_cbranch_scc1 .LBB39_13
; %bb.12:
	v_mad_co_u64_u32 v[10:11], null, v2, s14, 0
	s_delay_alu instid0(VALU_DEP_1) | instskip(NEXT) | instid1(VALU_DEP_1)
	v_add3_u32 v11, v11, v4, v3
	v_lshlrev_b64_e32 v[10:11], 3, v[10:11]
	s_delay_alu instid0(VALU_DEP_1) | instskip(SKIP_1) | instid1(VALU_DEP_2)
	v_add_co_u32 v5, vcc_lo, s16, v10
	s_wait_alu 0xfffd
	v_add_co_ci_u32_e64 v11, null, s17, v11, vcc_lo
	s_delay_alu instid0(VALU_DEP_2) | instskip(SKIP_1) | instid1(VALU_DEP_2)
	v_add_co_u32 v10, vcc_lo, v5, v0
	s_wait_alu 0xfffd
	v_add_co_ci_u32_e64 v11, null, v11, v1, vcc_lo
	global_store_b64 v[10:11], v[8:9], off
.LBB39_13:
	s_cmp_eq_u64 s[18:19], 0
	s_cbranch_scc1 .LBB39_15
; %bb.14:
	v_mad_co_u64_u32 v[8:9], null, v2, s14, 0
	s_delay_alu instid0(VALU_DEP_1) | instskip(NEXT) | instid1(VALU_DEP_1)
	v_add3_u32 v9, v9, v4, v3
	v_lshlrev_b64_e32 v[2:3], 3, v[8:9]
	s_delay_alu instid0(VALU_DEP_1) | instskip(SKIP_1) | instid1(VALU_DEP_2)
	v_add_co_u32 v2, vcc_lo, s18, v2
	s_wait_alu 0xfffd
	v_add_co_ci_u32_e64 v3, null, s19, v3, vcc_lo
	s_delay_alu instid0(VALU_DEP_2) | instskip(SKIP_1) | instid1(VALU_DEP_2)
	v_add_co_u32 v0, vcc_lo, v2, v0
	s_wait_alu 0xfffd
	v_add_co_ci_u32_e64 v1, null, v3, v1, vcc_lo
	global_store_b64 v[0:1], v[6:7], off
.LBB39_15:
	s_endpgm
	.section	.rodata,"a",@progbits
	.p2align	6, 0x0
	.amdhsa_kernel _ZN2at6native12_GLOBAL__N_135GammaBetaBackwardCUDAKernelTemplateIddLj32ELj1ELj8ELb1ELb1ELb0EEEvllPKT_S5_PKT0_S8_PS3_S9_
		.amdhsa_group_segment_fixed_size 0
		.amdhsa_private_segment_fixed_size 0
		.amdhsa_kernarg_size 320
		.amdhsa_user_sgpr_count 2
		.amdhsa_user_sgpr_dispatch_ptr 0
		.amdhsa_user_sgpr_queue_ptr 0
		.amdhsa_user_sgpr_kernarg_segment_ptr 1
		.amdhsa_user_sgpr_dispatch_id 0
		.amdhsa_user_sgpr_private_segment_size 0
		.amdhsa_wavefront_size32 1
		.amdhsa_uses_dynamic_stack 0
		.amdhsa_enable_private_segment 0
		.amdhsa_system_sgpr_workgroup_id_x 1
		.amdhsa_system_sgpr_workgroup_id_y 1
		.amdhsa_system_sgpr_workgroup_id_z 0
		.amdhsa_system_sgpr_workgroup_info 0
		.amdhsa_system_vgpr_workitem_id 1
		.amdhsa_next_free_vgpr 60
		.amdhsa_next_free_sgpr 31
		.amdhsa_reserve_vcc 1
		.amdhsa_float_round_mode_32 0
		.amdhsa_float_round_mode_16_64 0
		.amdhsa_float_denorm_mode_32 3
		.amdhsa_float_denorm_mode_16_64 3
		.amdhsa_fp16_overflow 0
		.amdhsa_workgroup_processor_mode 1
		.amdhsa_memory_ordered 1
		.amdhsa_forward_progress 1
		.amdhsa_inst_pref_size 16
		.amdhsa_round_robin_scheduling 0
		.amdhsa_exception_fp_ieee_invalid_op 0
		.amdhsa_exception_fp_denorm_src 0
		.amdhsa_exception_fp_ieee_div_zero 0
		.amdhsa_exception_fp_ieee_overflow 0
		.amdhsa_exception_fp_ieee_underflow 0
		.amdhsa_exception_fp_ieee_inexact 0
		.amdhsa_exception_int_div_zero 0
	.end_amdhsa_kernel
	.section	.text._ZN2at6native12_GLOBAL__N_135GammaBetaBackwardCUDAKernelTemplateIddLj32ELj1ELj8ELb1ELb1ELb0EEEvllPKT_S5_PKT0_S8_PS3_S9_,"axG",@progbits,_ZN2at6native12_GLOBAL__N_135GammaBetaBackwardCUDAKernelTemplateIddLj32ELj1ELj8ELb1ELb1ELb0EEEvllPKT_S5_PKT0_S8_PS3_S9_,comdat
.Lfunc_end39:
	.size	_ZN2at6native12_GLOBAL__N_135GammaBetaBackwardCUDAKernelTemplateIddLj32ELj1ELj8ELb1ELb1ELb0EEEvllPKT_S5_PKT0_S8_PS3_S9_, .Lfunc_end39-_ZN2at6native12_GLOBAL__N_135GammaBetaBackwardCUDAKernelTemplateIddLj32ELj1ELj8ELb1ELb1ELb0EEEvllPKT_S5_PKT0_S8_PS3_S9_
                                        ; -- End function
	.set _ZN2at6native12_GLOBAL__N_135GammaBetaBackwardCUDAKernelTemplateIddLj32ELj1ELj8ELb1ELb1ELb0EEEvllPKT_S5_PKT0_S8_PS3_S9_.num_vgpr, 60
	.set _ZN2at6native12_GLOBAL__N_135GammaBetaBackwardCUDAKernelTemplateIddLj32ELj1ELj8ELb1ELb1ELb0EEEvllPKT_S5_PKT0_S8_PS3_S9_.num_agpr, 0
	.set _ZN2at6native12_GLOBAL__N_135GammaBetaBackwardCUDAKernelTemplateIddLj32ELj1ELj8ELb1ELb1ELb0EEEvllPKT_S5_PKT0_S8_PS3_S9_.numbered_sgpr, 31
	.set _ZN2at6native12_GLOBAL__N_135GammaBetaBackwardCUDAKernelTemplateIddLj32ELj1ELj8ELb1ELb1ELb0EEEvllPKT_S5_PKT0_S8_PS3_S9_.num_named_barrier, 0
	.set _ZN2at6native12_GLOBAL__N_135GammaBetaBackwardCUDAKernelTemplateIddLj32ELj1ELj8ELb1ELb1ELb0EEEvllPKT_S5_PKT0_S8_PS3_S9_.private_seg_size, 0
	.set _ZN2at6native12_GLOBAL__N_135GammaBetaBackwardCUDAKernelTemplateIddLj32ELj1ELj8ELb1ELb1ELb0EEEvllPKT_S5_PKT0_S8_PS3_S9_.uses_vcc, 1
	.set _ZN2at6native12_GLOBAL__N_135GammaBetaBackwardCUDAKernelTemplateIddLj32ELj1ELj8ELb1ELb1ELb0EEEvllPKT_S5_PKT0_S8_PS3_S9_.uses_flat_scratch, 0
	.set _ZN2at6native12_GLOBAL__N_135GammaBetaBackwardCUDAKernelTemplateIddLj32ELj1ELj8ELb1ELb1ELb0EEEvllPKT_S5_PKT0_S8_PS3_S9_.has_dyn_sized_stack, 0
	.set _ZN2at6native12_GLOBAL__N_135GammaBetaBackwardCUDAKernelTemplateIddLj32ELj1ELj8ELb1ELb1ELb0EEEvllPKT_S5_PKT0_S8_PS3_S9_.has_recursion, 0
	.set _ZN2at6native12_GLOBAL__N_135GammaBetaBackwardCUDAKernelTemplateIddLj32ELj1ELj8ELb1ELb1ELb0EEEvllPKT_S5_PKT0_S8_PS3_S9_.has_indirect_call, 0
	.section	.AMDGPU.csdata,"",@progbits
; Kernel info:
; codeLenInByte = 1948
; TotalNumSgprs: 33
; NumVgprs: 60
; ScratchSize: 0
; MemoryBound: 0
; FloatMode: 240
; IeeeMode: 1
; LDSByteSize: 0 bytes/workgroup (compile time only)
; SGPRBlocks: 0
; VGPRBlocks: 7
; NumSGPRsForWavesPerEU: 33
; NumVGPRsForWavesPerEU: 60
; Occupancy: 16
; WaveLimiterHint : 0
; COMPUTE_PGM_RSRC2:SCRATCH_EN: 0
; COMPUTE_PGM_RSRC2:USER_SGPR: 2
; COMPUTE_PGM_RSRC2:TRAP_HANDLER: 0
; COMPUTE_PGM_RSRC2:TGID_X_EN: 1
; COMPUTE_PGM_RSRC2:TGID_Y_EN: 1
; COMPUTE_PGM_RSRC2:TGID_Z_EN: 0
; COMPUTE_PGM_RSRC2:TIDIG_COMP_CNT: 1
	.section	.text._ZN2at6native12_GLOBAL__N_135GammaBetaBackwardCUDAKernelTemplateIddLj32ELj1ELj8ELb1ELb0ELb0EEEvllPKT_S5_PKT0_S8_PS3_S9_,"axG",@progbits,_ZN2at6native12_GLOBAL__N_135GammaBetaBackwardCUDAKernelTemplateIddLj32ELj1ELj8ELb1ELb0ELb0EEEvllPKT_S5_PKT0_S8_PS3_S9_,comdat
	.globl	_ZN2at6native12_GLOBAL__N_135GammaBetaBackwardCUDAKernelTemplateIddLj32ELj1ELj8ELb1ELb0ELb0EEEvllPKT_S5_PKT0_S8_PS3_S9_ ; -- Begin function _ZN2at6native12_GLOBAL__N_135GammaBetaBackwardCUDAKernelTemplateIddLj32ELj1ELj8ELb1ELb0ELb0EEEvllPKT_S5_PKT0_S8_PS3_S9_
	.p2align	8
	.type	_ZN2at6native12_GLOBAL__N_135GammaBetaBackwardCUDAKernelTemplateIddLj32ELj1ELj8ELb1ELb0ELb0EEEvllPKT_S5_PKT0_S8_PS3_S9_,@function
_ZN2at6native12_GLOBAL__N_135GammaBetaBackwardCUDAKernelTemplateIddLj32ELj1ELj8ELb1ELb0ELb0EEEvllPKT_S5_PKT0_S8_PS3_S9_: ; @_ZN2at6native12_GLOBAL__N_135GammaBetaBackwardCUDAKernelTemplateIddLj32ELj1ELj8ELb1ELb0ELb0EEEvllPKT_S5_PKT0_S8_PS3_S9_
; %bb.0:
	s_clause 0x1
	s_load_b256 s[4:11], s[0:1], 0x0
	s_load_b128 s[12:15], s[0:1], 0x20
	s_lshl_b32 s30, ttmp9, 5
	s_mov_b32 s17, 0
	s_or_b32 s16, s30, 31
	s_wait_kmcnt 0x0
	v_cmp_le_i64_e64 s2, s[6:7], s[16:17]
	s_lshl_b32 s16, ttmp7, 3
	s_wait_alu 0xfffe
	v_cmp_gt_i64_e64 s31, s[4:5], s[16:17]
	s_and_b32 vcc_lo, exec_lo, s2
	v_cndmask_b32_e64 v1, 0, 1, s31
	s_delay_alu instid0(VALU_DEP_1)
	v_cmp_ne_u32_e64 s2, 1, v1
	s_cbranch_vccz .LBB40_48
; %bb.1:
	v_mov_b32_e32 v34, 0
	v_dual_mov_b32 v35, 0 :: v_dual_mov_b32 v36, 0
	v_mov_b32_e32 v37, 0
	s_and_b32 vcc_lo, exec_lo, s2
	s_cbranch_vccnz .LBB40_49
; %bb.2:
	v_bfe_u32 v46, v0, 10, 10
	v_dual_mov_b32 v1, 0 :: v_dual_and_b32 v48, 0x3ff, v0
	s_load_b32 s3, s[0:1], 0x44
	s_mov_b32 s19, 0
	s_delay_alu instid0(VALU_DEP_2) | instskip(NEXT) | instid1(VALU_DEP_2)
	v_dual_mov_b32 v36, 0 :: v_dual_lshlrev_b32 v47, 3, v46
	v_dual_mov_b32 v5, v1 :: v_dual_add_nc_u32 v4, s30, v48
	s_mov_b32 s23, s19
	s_delay_alu instid0(VALU_DEP_2) | instskip(NEXT) | instid1(VALU_DEP_1)
	v_add_co_u32 v10, s2, v47, s16
	v_add_co_ci_u32_e64 v11, null, 0, 0, s2
	s_delay_alu instid0(VALU_DEP_3) | instskip(NEXT) | instid1(VALU_DEP_3)
	v_cmp_gt_i64_e64 s2, s[6:7], v[4:5]
	v_mul_lo_u32 v6, s7, v10
	v_mad_co_u64_u32 v[2:3], null, s6, v10, 0
	s_delay_alu instid0(VALU_DEP_4)
	v_mul_lo_u32 v7, s6, v11
	v_lshlrev_b64_e32 v[38:39], 3, v[4:5]
	v_dual_mov_b32 v49, v1 :: v_dual_mov_b32 v34, 0
	v_mov_b32_e32 v37, 0
	s_wait_kmcnt 0x0
	s_lshl_b32 s22, s3, 3
	v_mov_b32_e32 v35, 0
	s_mul_u64 s[24:25], s[6:7], s[22:23]
	v_add3_u32 v3, v3, v7, v6
	v_add_co_u32 v6, vcc_lo, v10, 7
	s_delay_alu instid0(VALU_DEP_1)
	v_add_co_ci_u32_e64 v7, null, 0, v11, vcc_lo
	v_add_co_u32 v8, vcc_lo, v10, 6
	s_wait_alu 0xfffd
	v_add_co_ci_u32_e64 v9, null, 0, v11, vcc_lo
	v_lshlrev_b64_e32 v[4:5], 3, v[2:3]
	v_mul_lo_u32 v12, s7, v6
	v_mul_lo_u32 v13, s6, v7
	v_mad_co_u64_u32 v[6:7], null, s6, v6, 0
	v_mul_lo_u32 v14, s7, v8
	v_mul_lo_u32 v15, s6, v9
	v_mad_co_u64_u32 v[8:9], null, s6, v8, 0
	v_add_co_u32 v50, vcc_lo, s8, v4
	s_wait_alu 0xfffd
	v_add_co_ci_u32_e64 v51, null, s9, v5, vcc_lo
	v_add_co_u32 v52, vcc_lo, s10, v4
	v_add3_u32 v7, v7, v13, v12
	s_wait_alu 0xfffd
	v_add_co_ci_u32_e64 v53, null, s11, v5, vcc_lo
	v_add_co_u32 v12, vcc_lo, v10, 5
	v_add3_u32 v9, v9, v15, v14
	s_wait_alu 0xfffd
	v_add_co_ci_u32_e64 v13, null, 0, v11, vcc_lo
	v_lshlrev_b64_e32 v[4:5], 3, v[6:7]
	v_mul_lo_u32 v14, s7, v12
	v_lshlrev_b64_e32 v[6:7], 3, v[8:9]
	s_delay_alu instid0(VALU_DEP_4)
	v_mul_lo_u32 v13, s6, v13
	v_mad_co_u64_u32 v[8:9], null, s6, v12, 0
	v_add_co_u32 v54, vcc_lo, s8, v4
	s_wait_alu 0xfffd
	v_add_co_ci_u32_e64 v55, null, s9, v5, vcc_lo
	v_add_co_u32 v56, vcc_lo, s10, v4
	s_wait_alu 0xfffd
	v_add_co_ci_u32_e64 v57, null, s11, v5, vcc_lo
	v_add_co_u32 v58, vcc_lo, s8, v6
	v_add3_u32 v9, v9, v13, v14
	s_wait_alu 0xfffd
	v_add_co_ci_u32_e64 v59, null, s9, v7, vcc_lo
	v_add_co_u32 v12, vcc_lo, v10, 4
	v_add_co_u32 v60, s3, s10, v6
	s_wait_alu 0xfffd
	v_add_co_ci_u32_e64 v6, null, 0, v11, vcc_lo
	v_lshlrev_b64_e32 v[4:5], 3, v[8:9]
	v_add_co_u32 v8, vcc_lo, v10, 3
	s_wait_alu 0xfffd
	v_add_co_ci_u32_e64 v9, null, 0, v11, vcc_lo
	s_wait_alu 0xf1ff
	v_add_co_ci_u32_e64 v61, null, s11, v7, s3
	v_mul_lo_u32 v13, s7, v12
	v_mul_lo_u32 v14, s6, v6
	v_mad_co_u64_u32 v[6:7], null, s6, v12, 0
	v_mul_lo_u32 v12, s7, v8
	v_mul_lo_u32 v15, s6, v9
	v_mad_co_u64_u32 v[8:9], null, s6, v8, 0
	v_add_co_u32 v62, vcc_lo, s8, v4
	s_wait_alu 0xfffd
	v_add_co_ci_u32_e64 v63, null, s9, v5, vcc_lo
	v_add3_u32 v7, v7, v14, v13
	v_add_co_u32 v64, vcc_lo, s10, v4
	s_wait_alu 0xfffd
	v_add_co_ci_u32_e64 v65, null, s11, v5, vcc_lo
	v_add_co_u32 v10, vcc_lo, v10, 2
	v_add3_u32 v9, v9, v15, v12
	s_wait_alu 0xfffd
	v_add_co_ci_u32_e64 v11, null, 0, v11, vcc_lo
	v_lshlrev_b64_e32 v[4:5], 3, v[6:7]
	v_mul_lo_u32 v12, s7, v10
	v_lshlrev_b64_e32 v[6:7], 3, v[8:9]
	s_delay_alu instid0(VALU_DEP_4)
	v_mul_lo_u32 v11, s6, v11
	v_mad_co_u64_u32 v[8:9], null, s6, v10, 0
	v_add_co_u32 v66, vcc_lo, s8, v4
	s_wait_alu 0xfffd
	v_add_co_ci_u32_e64 v67, null, s9, v5, vcc_lo
	v_add_co_u32 v68, vcc_lo, s10, v4
	s_wait_alu 0xfffd
	v_add_co_ci_u32_e64 v69, null, s11, v5, vcc_lo
	;; [unrolled: 3-line block ×3, first 2 shown]
	v_add3_u32 v9, v9, v11, v12
	v_add_co_u32 v72, vcc_lo, s10, v6
	s_wait_alu 0xfffd
	v_add_co_ci_u32_e64 v73, null, s11, v7, vcc_lo
	v_add_co_u32 v2, vcc_lo, v2, s6
	s_wait_alu 0xfffd
	v_add_co_ci_u32_e64 v3, null, s7, v3, vcc_lo
	v_lshlrev_b64_e32 v[4:5], 3, v[8:9]
	s_add_nc_u64 s[20:21], s[0:1], 64
	s_lshl_b64 s[24:25], s[24:25], 3
	s_delay_alu instid0(VALU_DEP_2)
	v_lshlrev_b64_e32 v[2:3], 3, v[2:3]
	s_mov_b64 s[26:27], 7
	s_mov_b64 s[28:29], s[16:17]
	v_add_co_u32 v74, vcc_lo, s8, v4
	s_wait_alu 0xfffd
	v_add_co_ci_u32_e64 v75, null, s9, v5, vcc_lo
	v_add_co_u32 v76, vcc_lo, s10, v4
	s_wait_alu 0xfffd
	v_add_co_ci_u32_e64 v77, null, s11, v5, vcc_lo
	;; [unrolled: 3-line block ×4, first 2 shown]
	s_branch .LBB40_5
.LBB40_3:                               ;   in Loop: Header=BB40_5 Depth=1
	s_wait_alu 0xfffe
	s_or_b32 exec_lo, exec_lo, s3
	s_wait_loadcnt 0x1
	ds_bpermute_b32 v40, v1, v42
	ds_bpermute_b32 v41, v1, v43
	s_wait_loadcnt 0x0
	ds_bpermute_b32 v82, v1, v44
	ds_bpermute_b32 v83, v1, v45
	s_wait_dscnt 0x2
	v_add_f64_e64 v[18:19], v[18:19], -v[40:41]
	ds_bpermute_b32 v40, v1, v42 offset:4
	ds_bpermute_b32 v41, v1, v43 offset:4
	s_wait_dscnt 0x0
	v_add_f64_e64 v[20:21], v[20:21], -v[40:41]
	ds_bpermute_b32 v40, v1, v42 offset:8
	ds_bpermute_b32 v41, v1, v43 offset:8
	v_mul_f64_e32 v[18:19], v[2:3], v[18:19]
	v_add_f64_e32 v[2:3], v[34:35], v[2:3]
	ds_bpermute_b32 v34, v1, v42 offset:12
	ds_bpermute_b32 v35, v1, v43 offset:12
	s_wait_dscnt 0x2
	v_add_f64_e64 v[22:23], v[22:23], -v[40:41]
	v_mul_f64_e32 v[20:21], v[4:5], v[20:21]
	s_wait_dscnt 0x0
	v_add_f64_e64 v[24:25], v[24:25], -v[34:35]
	v_fma_f64 v[18:19], v[18:19], v[82:83], v[36:37]
	ds_bpermute_b32 v36, v1, v44 offset:4
	ds_bpermute_b32 v37, v1, v45 offset:4
	v_add_f64_e32 v[2:3], v[4:5], v[2:3]
	ds_bpermute_b32 v4, v1, v42 offset:16
	ds_bpermute_b32 v5, v1, v43 offset:16
	v_mul_f64_e32 v[22:23], v[6:7], v[22:23]
	v_mul_f64_e32 v[24:25], v[8:9], v[24:25]
	s_wait_dscnt 0x0
	v_add_f64_e64 v[4:5], v[26:27], -v[4:5]
	v_fma_f64 v[18:19], v[20:21], v[36:37], v[18:19]
	ds_bpermute_b32 v20, v1, v44 offset:8
	ds_bpermute_b32 v21, v1, v45 offset:8
	v_add_f64_e32 v[2:3], v[6:7], v[2:3]
	ds_bpermute_b32 v6, v1, v42 offset:20
	ds_bpermute_b32 v7, v1, v43 offset:20
	s_wait_dscnt 0x0
	v_add_f64_e64 v[6:7], v[28:29], -v[6:7]
	v_mul_f64_e32 v[4:5], v[10:11], v[4:5]
	v_fma_f64 v[18:19], v[22:23], v[20:21], v[18:19]
	ds_bpermute_b32 v20, v1, v44 offset:12
	ds_bpermute_b32 v21, v1, v45 offset:12
	v_add_f64_e32 v[2:3], v[8:9], v[2:3]
	ds_bpermute_b32 v8, v1, v42 offset:24
	ds_bpermute_b32 v9, v1, v43 offset:24
	s_wait_dscnt 0x0
	v_add_f64_e64 v[8:9], v[30:31], -v[8:9]
	v_mul_f64_e32 v[6:7], v[12:13], v[6:7]
	v_fma_f64 v[18:19], v[24:25], v[20:21], v[18:19]
	ds_bpermute_b32 v20, v1, v44 offset:16
	ds_bpermute_b32 v21, v1, v45 offset:16
	v_add_f64_e32 v[2:3], v[10:11], v[2:3]
	ds_bpermute_b32 v10, v1, v44 offset:20
	ds_bpermute_b32 v11, v1, v45 offset:20
	v_mul_f64_e32 v[8:9], v[14:15], v[8:9]
	s_wait_dscnt 0x2
	v_fma_f64 v[4:5], v[4:5], v[20:21], v[18:19]
	s_wait_dscnt 0x0
	s_delay_alu instid0(VALU_DEP_1)
	v_fma_f64 v[4:5], v[6:7], v[10:11], v[4:5]
	v_add_f64_e32 v[6:7], v[12:13], v[2:3]
	ds_bpermute_b32 v2, v1, v44 offset:24
	ds_bpermute_b32 v3, v1, v45 offset:24
	;; [unrolled: 1-line block ×4, first 2 shown]
	s_wait_dscnt 0x2
	v_fma_f64 v[2:3], v[8:9], v[2:3], v[4:5]
	v_add_f64_e32 v[4:5], v[14:15], v[6:7]
	ds_bpermute_b32 v6, v1, v42 offset:28
	ds_bpermute_b32 v7, v1, v43 offset:28
.LBB40_4:                               ;   in Loop: Header=BB40_5 Depth=1
	s_wait_dscnt 0x0
	v_add_f64_e64 v[6:7], v[32:33], -v[6:7]
	v_add_f64_e32 v[34:35], v[4:5], v[16:17]
	v_add_co_u32 v50, vcc_lo, v50, s24
	s_wait_alu 0xfffd
	v_add_co_ci_u32_e64 v51, null, s25, v51, vcc_lo
	v_add_co_u32 v52, vcc_lo, v52, s24
	s_wait_alu 0xfffd
	v_add_co_ci_u32_e64 v53, null, s25, v53, vcc_lo
	;; [unrolled: 3-line block ×9, first 2 shown]
	v_mul_f64_e32 v[4:5], v[16:17], v[6:7]
	v_add_co_u32 v68, vcc_lo, v68, s24
	s_wait_alu 0xfffd
	v_add_co_ci_u32_e64 v69, null, s25, v69, vcc_lo
	v_add_co_u32 v70, vcc_lo, v70, s24
	s_wait_alu 0xfffd
	v_add_co_ci_u32_e64 v71, null, s25, v71, vcc_lo
	;; [unrolled: 3-line block ×5, first 2 shown]
	v_add_co_u32 v78, vcc_lo, v78, s24
	s_add_nc_u64 s[28:29], s[28:29], s[22:23]
	s_wait_alu 0xfffd
	v_add_co_ci_u32_e64 v79, null, s25, v79, vcc_lo
	v_add_co_u32 v80, vcc_lo, v80, s24
	s_wait_alu 0xfffe
	v_cmp_lt_i64_e64 s3, s[28:29], s[4:5]
	s_wait_alu 0xfffd
	v_add_co_ci_u32_e64 v81, null, s25, v81, vcc_lo
	v_add_co_u32 v47, vcc_lo, v47, s22
	s_wait_alu 0xfffd
	v_add_co_ci_u32_e64 v49, null, 0, v49, vcc_lo
	s_and_b32 vcc_lo, exec_lo, s3
	s_add_nc_u64 s[26:27], s[26:27], s[22:23]
	v_fma_f64 v[36:37], v[4:5], v[44:45], v[2:3]
	s_wait_alu 0xfffe
	s_cbranch_vccz .LBB40_49
.LBB40_5:                               ; =>This Inner Loop Header: Depth=1
	s_add_nc_u64 s[34:35], s[16:17], s[26:27]
	v_add_co_u32 v40, vcc_lo, s16, v47
	s_wait_alu 0xfffe
	v_cmp_ge_i64_e64 s3, s[34:35], s[4:5]
	s_wait_alu 0xfffd
	v_add_co_ci_u32_e64 v41, null, 0, v49, vcc_lo
                                        ; implicit-def: $vgpr2_vgpr3_vgpr4_vgpr5_vgpr6_vgpr7_vgpr8_vgpr9_vgpr10_vgpr11_vgpr12_vgpr13_vgpr14_vgpr15_vgpr16_vgpr17
                                        ; implicit-def: $vgpr44_vgpr45
                                        ; implicit-def: $vgpr18_vgpr19_vgpr20_vgpr21_vgpr22_vgpr23_vgpr24_vgpr25_vgpr26_vgpr27_vgpr28_vgpr29_vgpr30_vgpr31_vgpr32_vgpr33
                                        ; implicit-def: $vgpr6
                                        ; implicit-def: $vgpr4_vgpr5
                                        ; implicit-def: $vgpr2_vgpr3
	s_and_b32 vcc_lo, exec_lo, s3
	s_mov_b32 s3, -1
	s_wait_alu 0xfffe
	s_cbranch_vccz .LBB40_27
; %bb.6:                                ;   in Loop: Header=BB40_5 Depth=1
	s_load_b32 s3, s[20:21], 0xc
	v_mov_b32_e32 v44, 0
	v_mov_b32_e32 v42, 0
	;; [unrolled: 1-line block ×4, first 2 shown]
	s_wait_kmcnt 0x0
	s_and_b32 s3, s3, 0xffff
	s_wait_alu 0xfffe
	v_mad_u32_u24 v2, v46, s3, v48
	s_mov_b32 s3, exec_lo
	s_delay_alu instid0(VALU_DEP_1) | instskip(NEXT) | instid1(VALU_DEP_1)
	v_and_b32_e32 v2, 31, v2
	v_cmpx_gt_u32_e32 8, v2
	s_cbranch_execz .LBB40_10
; %bb.7:                                ;   in Loop: Header=BB40_5 Depth=1
	v_add_co_u32 v2, vcc_lo, v40, v2
	v_mov_b32_e32 v42, 0
	v_dual_mov_b32 v43, 0 :: v_dual_mov_b32 v44, 0
	s_wait_alu 0xfffd
	v_add_co_ci_u32_e64 v3, null, 0, v41, vcc_lo
	v_mov_b32_e32 v45, 0
	s_mov_b32 s18, exec_lo
	s_delay_alu instid0(VALU_DEP_2)
	v_cmpx_gt_i64_e64 s[4:5], v[2:3]
	s_cbranch_execz .LBB40_9
; %bb.8:                                ;   in Loop: Header=BB40_5 Depth=1
	v_lshlrev_b64_e32 v[2:3], 3, v[2:3]
	s_delay_alu instid0(VALU_DEP_1) | instskip(SKIP_1) | instid1(VALU_DEP_2)
	v_add_co_u32 v4, vcc_lo, s12, v2
	s_wait_alu 0xfffd
	v_add_co_ci_u32_e64 v5, null, s13, v3, vcc_lo
	v_add_co_u32 v2, vcc_lo, s14, v2
	s_wait_alu 0xfffd
	v_add_co_ci_u32_e64 v3, null, s15, v3, vcc_lo
	global_load_b64 v[42:43], v[4:5], off
	global_load_b64 v[44:45], v[2:3], off
.LBB40_9:                               ;   in Loop: Header=BB40_5 Depth=1
	s_or_b32 exec_lo, exec_lo, s18
.LBB40_10:                              ;   in Loop: Header=BB40_5 Depth=1
	s_wait_alu 0xfffe
	s_or_b32 exec_lo, exec_lo, s3
	v_mov_b32_e32 v16, v1
	v_dual_mov_b32 v2, v1 :: v_dual_mov_b32 v3, v1
	v_dual_mov_b32 v4, v1 :: v_dual_mov_b32 v5, v1
	;; [unrolled: 1-line block ×7, first 2 shown]
	v_cmp_gt_i64_e32 vcc_lo, s[4:5], v[40:41]
	s_delay_alu instid0(VALU_DEP_3) | instskip(NEXT) | instid1(VALU_DEP_3)
	v_dual_mov_b32 v33, v16 :: v_dual_mov_b32 v30, v13
	v_dual_mov_b32 v31, v14 :: v_dual_mov_b32 v32, v15
	;; [unrolled: 1-line block ×8, first 2 shown]
	v_mov_b32_e32 v17, v16
	v_mov_b32_e32 v16, v15
	;; [unrolled: 1-line block ×16, first 2 shown]
	s_and_b32 s18, s2, vcc_lo
	s_delay_alu instid0(SALU_CYCLE_1)
	s_and_saveexec_b32 s3, s18
	s_cbranch_execz .LBB40_12
; %bb.11:                               ;   in Loop: Header=BB40_5 Depth=1
	v_add_co_u32 v2, vcc_lo, v50, v38
	s_wait_alu 0xfffd
	v_add_co_ci_u32_e64 v3, null, v51, v39, vcc_lo
	v_add_co_u32 v4, vcc_lo, v52, v38
	s_wait_alu 0xfffd
	v_add_co_ci_u32_e64 v5, null, v53, v39, vcc_lo
	global_load_b64 v[2:3], v[2:3], off
	global_load_b64 v[18:19], v[4:5], off
	v_dual_mov_b32 v4, v1 :: v_dual_mov_b32 v5, v1
	v_dual_mov_b32 v6, v1 :: v_dual_mov_b32 v7, v1
	;; [unrolled: 1-line block ×14, first 2 shown]
.LBB40_12:                              ;   in Loop: Header=BB40_5 Depth=1
	s_wait_alu 0xfffe
	s_or_b32 exec_lo, exec_lo, s3
	v_add_co_u32 v82, vcc_lo, v40, 1
	s_wait_alu 0xfffd
	v_add_co_ci_u32_e64 v83, null, 0, v41, vcc_lo
	s_delay_alu instid0(VALU_DEP_1) | instskip(SKIP_1) | instid1(SALU_CYCLE_1)
	v_cmp_gt_i64_e32 vcc_lo, s[4:5], v[82:83]
	s_and_b32 s18, s2, vcc_lo
	s_and_saveexec_b32 s3, s18
	s_cbranch_execz .LBB40_14
; %bb.13:                               ;   in Loop: Header=BB40_5 Depth=1
	v_add_co_u32 v4, vcc_lo, v78, v38
	s_wait_alu 0xfffd
	v_add_co_ci_u32_e64 v5, null, v79, v39, vcc_lo
	v_add_co_u32 v20, vcc_lo, v80, v38
	s_wait_alu 0xfffd
	v_add_co_ci_u32_e64 v21, null, v81, v39, vcc_lo
	global_load_b64 v[4:5], v[4:5], off
	global_load_b64 v[20:21], v[20:21], off
.LBB40_14:                              ;   in Loop: Header=BB40_5 Depth=1
	s_wait_alu 0xfffe
	s_or_b32 exec_lo, exec_lo, s3
	v_add_co_u32 v82, vcc_lo, v40, 2
	s_wait_alu 0xfffd
	v_add_co_ci_u32_e64 v83, null, 0, v41, vcc_lo
	s_delay_alu instid0(VALU_DEP_1) | instskip(SKIP_1) | instid1(SALU_CYCLE_1)
	v_cmp_gt_i64_e32 vcc_lo, s[4:5], v[82:83]
	s_and_b32 s18, s2, vcc_lo
	s_and_saveexec_b32 s3, s18
	s_cbranch_execz .LBB40_16
; %bb.15:                               ;   in Loop: Header=BB40_5 Depth=1
	v_add_co_u32 v6, vcc_lo, v74, v38
	s_wait_alu 0xfffd
	v_add_co_ci_u32_e64 v7, null, v75, v39, vcc_lo
	v_add_co_u32 v22, vcc_lo, v76, v38
	s_wait_alu 0xfffd
	v_add_co_ci_u32_e64 v23, null, v77, v39, vcc_lo
	global_load_b64 v[6:7], v[6:7], off
	global_load_b64 v[22:23], v[22:23], off
.LBB40_16:                              ;   in Loop: Header=BB40_5 Depth=1
	;; [unrolled: 20-line block ×7, first 2 shown]
	s_wait_alu 0xfffe
	s_or_b32 exec_lo, exec_lo, s3
	s_wait_loadcnt 0x1
	ds_bpermute_b32 v82, v1, v42
	ds_bpermute_b32 v83, v1, v43
	s_wait_loadcnt 0x0
	ds_bpermute_b32 v84, v1, v44
	ds_bpermute_b32 v85, v1, v45
	s_mov_b32 s3, 0
	s_wait_dscnt 0x2
	v_add_f64_e64 v[18:19], v[18:19], -v[82:83]
	ds_bpermute_b32 v82, v1, v42 offset:4
	ds_bpermute_b32 v83, v1, v43 offset:4
	s_wait_dscnt 0x0
	v_add_f64_e64 v[20:21], v[20:21], -v[82:83]
	ds_bpermute_b32 v82, v1, v42 offset:8
	ds_bpermute_b32 v83, v1, v43 offset:8
	v_mul_f64_e32 v[18:19], v[2:3], v[18:19]
	v_add_f64_e32 v[2:3], v[34:35], v[2:3]
	s_wait_dscnt 0x0
	v_add_f64_e64 v[22:23], v[22:23], -v[82:83]
	ds_bpermute_b32 v82, v1, v42 offset:12
	ds_bpermute_b32 v83, v1, v43 offset:12
	v_mul_f64_e32 v[20:21], v[4:5], v[20:21]
	s_wait_dscnt 0x0
	v_add_f64_e64 v[24:25], v[24:25], -v[82:83]
	v_fma_f64 v[18:19], v[18:19], v[84:85], v[36:37]
	ds_bpermute_b32 v84, v1, v44 offset:4
	ds_bpermute_b32 v85, v1, v45 offset:4
	v_add_f64_e32 v[2:3], v[4:5], v[2:3]
	ds_bpermute_b32 v4, v1, v42 offset:16
	ds_bpermute_b32 v5, v1, v43 offset:16
	v_mul_f64_e32 v[22:23], v[6:7], v[22:23]
	s_wait_dscnt 0x0
	v_add_f64_e64 v[4:5], v[26:27], -v[4:5]
	v_mul_f64_e32 v[24:25], v[8:9], v[24:25]
	v_fma_f64 v[18:19], v[20:21], v[84:85], v[18:19]
	ds_bpermute_b32 v20, v1, v44 offset:8
	ds_bpermute_b32 v21, v1, v45 offset:8
	v_add_f64_e32 v[2:3], v[6:7], v[2:3]
	ds_bpermute_b32 v6, v1, v42 offset:20
	ds_bpermute_b32 v7, v1, v43 offset:20
	s_wait_dscnt 0x0
	v_add_f64_e64 v[6:7], v[28:29], -v[6:7]
	v_mul_f64_e32 v[4:5], v[10:11], v[4:5]
	v_fma_f64 v[18:19], v[22:23], v[20:21], v[18:19]
	ds_bpermute_b32 v20, v1, v44 offset:12
	ds_bpermute_b32 v21, v1, v45 offset:12
	v_add_f64_e32 v[2:3], v[8:9], v[2:3]
	ds_bpermute_b32 v8, v1, v42 offset:24
	ds_bpermute_b32 v9, v1, v43 offset:24
	;; [unrolled: 9-line block ×3, first 2 shown]
	v_mul_f64_e32 v[8:9], v[14:15], v[8:9]
	s_wait_dscnt 0x2
	v_fma_f64 v[4:5], v[4:5], v[20:21], v[18:19]
	s_wait_dscnt 0x0
	s_delay_alu instid0(VALU_DEP_1)
	v_fma_f64 v[4:5], v[6:7], v[10:11], v[4:5]
	v_add_f64_e32 v[6:7], v[12:13], v[2:3]
	ds_bpermute_b32 v2, v1, v44 offset:24
	ds_bpermute_b32 v3, v1, v45 offset:24
	;; [unrolled: 1-line block ×4, first 2 shown]
	s_wait_dscnt 0x2
	v_fma_f64 v[2:3], v[8:9], v[2:3], v[4:5]
	v_add_f64_e32 v[4:5], v[14:15], v[6:7]
	ds_bpermute_b32 v6, v1, v42 offset:28
	ds_bpermute_b32 v7, v1, v43 offset:28
.LBB40_27:                              ;   in Loop: Header=BB40_5 Depth=1
	s_wait_alu 0xfffe
	s_and_b32 vcc_lo, exec_lo, s3
	s_wait_alu 0xfffe
	s_cbranch_vccz .LBB40_4
; %bb.28:                               ;   in Loop: Header=BB40_5 Depth=1
	s_load_b32 s3, s[20:21], 0x0
	s_wait_dscnt 0x2
	v_mov_b32_e32 v44, 0
	v_mov_b32_e32 v42, 0
	;; [unrolled: 1-line block ×4, first 2 shown]
	s_wait_kmcnt 0x0
	s_cmp_lt_u32 ttmp9, s3
	s_cselect_b32 s18, 12, 18
	s_delay_alu instid0(SALU_CYCLE_1) | instskip(SKIP_4) | instid1(VALU_DEP_1)
	s_add_nc_u64 s[34:35], s[20:21], s[18:19]
	s_load_u16 s3, s[34:35], 0x0
	s_wait_kmcnt 0x0
	v_mad_u32_u24 v2, v46, s3, v48
	s_mov_b32 s3, exec_lo
	v_and_b32_e32 v2, 31, v2
	s_delay_alu instid0(VALU_DEP_1)
	v_cmpx_gt_u32_e32 8, v2
	s_cbranch_execz .LBB40_32
; %bb.29:                               ;   in Loop: Header=BB40_5 Depth=1
	v_add_co_u32 v2, vcc_lo, v40, v2
	v_mov_b32_e32 v42, 0
	v_dual_mov_b32 v43, 0 :: v_dual_mov_b32 v44, 0
	s_wait_alu 0xfffd
	v_add_co_ci_u32_e64 v3, null, 0, v41, vcc_lo
	v_mov_b32_e32 v45, 0
	s_mov_b32 s18, exec_lo
	s_delay_alu instid0(VALU_DEP_2)
	v_cmpx_gt_i64_e64 s[4:5], v[2:3]
	s_cbranch_execz .LBB40_31
; %bb.30:                               ;   in Loop: Header=BB40_5 Depth=1
	v_lshlrev_b64_e32 v[2:3], 3, v[2:3]
	s_delay_alu instid0(VALU_DEP_1) | instskip(SKIP_1) | instid1(VALU_DEP_2)
	v_add_co_u32 v4, vcc_lo, s12, v2
	s_wait_alu 0xfffd
	v_add_co_ci_u32_e64 v5, null, s13, v3, vcc_lo
	v_add_co_u32 v2, vcc_lo, s14, v2
	s_wait_alu 0xfffd
	v_add_co_ci_u32_e64 v3, null, s15, v3, vcc_lo
	global_load_b64 v[42:43], v[4:5], off
	global_load_b64 v[44:45], v[2:3], off
.LBB40_31:                              ;   in Loop: Header=BB40_5 Depth=1
	s_or_b32 exec_lo, exec_lo, s18
.LBB40_32:                              ;   in Loop: Header=BB40_5 Depth=1
	s_wait_alu 0xfffe
	s_or_b32 exec_lo, exec_lo, s3
	v_mov_b32_e32 v16, v1
	v_dual_mov_b32 v2, v1 :: v_dual_mov_b32 v3, v1
	v_dual_mov_b32 v4, v1 :: v_dual_mov_b32 v5, v1
	s_wait_dscnt 0x0
	v_dual_mov_b32 v6, v1 :: v_dual_mov_b32 v7, v1
	v_dual_mov_b32 v8, v1 :: v_dual_mov_b32 v9, v1
	;; [unrolled: 1-line block ×5, first 2 shown]
	v_mov_b32_e32 v33, v16
	s_delay_alu instid0(VALU_DEP_3) | instskip(NEXT) | instid1(VALU_DEP_3)
	v_dual_mov_b32 v29, v12 :: v_dual_mov_b32 v28, v11
	v_dual_mov_b32 v31, v14 :: v_dual_mov_b32 v30, v13
	s_delay_alu instid0(VALU_DEP_4)
	v_dual_mov_b32 v32, v15 :: v_dual_mov_b32 v27, v10
	v_dual_mov_b32 v26, v9 :: v_dual_mov_b32 v25, v8
	;; [unrolled: 1-line block ×6, first 2 shown]
	v_mov_b32_e32 v16, v15
	v_mov_b32_e32 v15, v14
	;; [unrolled: 1-line block ×15, first 2 shown]
	s_and_saveexec_b32 s3, s2
	s_cbranch_execnz .LBB40_40
; %bb.33:                               ;   in Loop: Header=BB40_5 Depth=1
	s_wait_alu 0xfffe
	s_or_b32 exec_lo, exec_lo, s3
	s_and_saveexec_b32 s3, s2
	s_cbranch_execnz .LBB40_41
.LBB40_34:                              ;   in Loop: Header=BB40_5 Depth=1
	s_wait_alu 0xfffe
	s_or_b32 exec_lo, exec_lo, s3
	s_and_saveexec_b32 s3, s2
	s_cbranch_execnz .LBB40_42
.LBB40_35:                              ;   in Loop: Header=BB40_5 Depth=1
	s_wait_alu 0xfffe
	s_or_b32 exec_lo, exec_lo, s3
	s_and_saveexec_b32 s3, s2
	s_cbranch_execnz .LBB40_43
.LBB40_36:                              ;   in Loop: Header=BB40_5 Depth=1
	s_wait_alu 0xfffe
	s_or_b32 exec_lo, exec_lo, s3
	s_and_saveexec_b32 s3, s2
	s_cbranch_execnz .LBB40_44
.LBB40_37:                              ;   in Loop: Header=BB40_5 Depth=1
	s_wait_alu 0xfffe
	s_or_b32 exec_lo, exec_lo, s3
	s_and_saveexec_b32 s3, s2
	s_cbranch_execnz .LBB40_45
.LBB40_38:                              ;   in Loop: Header=BB40_5 Depth=1
	s_wait_alu 0xfffe
	s_or_b32 exec_lo, exec_lo, s3
	s_and_saveexec_b32 s3, s2
	s_cbranch_execnz .LBB40_46
.LBB40_39:                              ;   in Loop: Header=BB40_5 Depth=1
	s_wait_alu 0xfffe
	s_or_b32 exec_lo, exec_lo, s3
	s_and_saveexec_b32 s3, s2
	s_cbranch_execz .LBB40_3
	s_branch .LBB40_47
.LBB40_40:                              ;   in Loop: Header=BB40_5 Depth=1
	v_add_co_u32 v2, vcc_lo, v50, v38
	s_wait_alu 0xfffd
	v_add_co_ci_u32_e64 v3, null, v51, v39, vcc_lo
	v_add_co_u32 v4, vcc_lo, v52, v38
	s_wait_alu 0xfffd
	v_add_co_ci_u32_e64 v5, null, v53, v39, vcc_lo
	global_load_b64 v[2:3], v[2:3], off
	global_load_b64 v[18:19], v[4:5], off
	v_dual_mov_b32 v4, v1 :: v_dual_mov_b32 v5, v1
	v_dual_mov_b32 v6, v1 :: v_dual_mov_b32 v7, v1
	;; [unrolled: 1-line block ×14, first 2 shown]
	s_wait_alu 0xfffe
	s_or_b32 exec_lo, exec_lo, s3
	s_and_saveexec_b32 s3, s2
	s_cbranch_execz .LBB40_34
.LBB40_41:                              ;   in Loop: Header=BB40_5 Depth=1
	v_add_co_u32 v4, vcc_lo, v78, v38
	s_wait_alu 0xfffd
	v_add_co_ci_u32_e64 v5, null, v79, v39, vcc_lo
	v_add_co_u32 v20, vcc_lo, v80, v38
	s_wait_alu 0xfffd
	v_add_co_ci_u32_e64 v21, null, v81, v39, vcc_lo
	global_load_b64 v[4:5], v[4:5], off
	global_load_b64 v[20:21], v[20:21], off
	s_wait_alu 0xfffe
	s_or_b32 exec_lo, exec_lo, s3
	s_and_saveexec_b32 s3, s2
	s_cbranch_execz .LBB40_35
.LBB40_42:                              ;   in Loop: Header=BB40_5 Depth=1
	v_add_co_u32 v6, vcc_lo, v74, v38
	s_wait_alu 0xfffd
	v_add_co_ci_u32_e64 v7, null, v75, v39, vcc_lo
	v_add_co_u32 v22, vcc_lo, v76, v38
	s_wait_alu 0xfffd
	v_add_co_ci_u32_e64 v23, null, v77, v39, vcc_lo
	global_load_b64 v[6:7], v[6:7], off
	global_load_b64 v[22:23], v[22:23], off
	s_wait_alu 0xfffe
	s_or_b32 exec_lo, exec_lo, s3
	s_and_saveexec_b32 s3, s2
	s_cbranch_execz .LBB40_36
.LBB40_43:                              ;   in Loop: Header=BB40_5 Depth=1
	v_add_co_u32 v8, vcc_lo, v70, v38
	s_wait_alu 0xfffd
	v_add_co_ci_u32_e64 v9, null, v71, v39, vcc_lo
	v_add_co_u32 v24, vcc_lo, v72, v38
	s_wait_alu 0xfffd
	v_add_co_ci_u32_e64 v25, null, v73, v39, vcc_lo
	global_load_b64 v[8:9], v[8:9], off
	global_load_b64 v[24:25], v[24:25], off
	s_wait_alu 0xfffe
	s_or_b32 exec_lo, exec_lo, s3
	s_and_saveexec_b32 s3, s2
	s_cbranch_execz .LBB40_37
.LBB40_44:                              ;   in Loop: Header=BB40_5 Depth=1
	v_add_co_u32 v10, vcc_lo, v66, v38
	s_wait_alu 0xfffd
	v_add_co_ci_u32_e64 v11, null, v67, v39, vcc_lo
	v_add_co_u32 v26, vcc_lo, v68, v38
	s_wait_alu 0xfffd
	v_add_co_ci_u32_e64 v27, null, v69, v39, vcc_lo
	global_load_b64 v[10:11], v[10:11], off
	global_load_b64 v[26:27], v[26:27], off
	s_wait_alu 0xfffe
	s_or_b32 exec_lo, exec_lo, s3
	s_and_saveexec_b32 s3, s2
	s_cbranch_execz .LBB40_38
.LBB40_45:                              ;   in Loop: Header=BB40_5 Depth=1
	v_add_co_u32 v12, vcc_lo, v62, v38
	s_wait_alu 0xfffd
	v_add_co_ci_u32_e64 v13, null, v63, v39, vcc_lo
	v_add_co_u32 v28, vcc_lo, v64, v38
	s_wait_alu 0xfffd
	v_add_co_ci_u32_e64 v29, null, v65, v39, vcc_lo
	global_load_b64 v[12:13], v[12:13], off
	global_load_b64 v[28:29], v[28:29], off
	s_wait_alu 0xfffe
	s_or_b32 exec_lo, exec_lo, s3
	s_and_saveexec_b32 s3, s2
	s_cbranch_execz .LBB40_39
.LBB40_46:                              ;   in Loop: Header=BB40_5 Depth=1
	v_add_co_u32 v14, vcc_lo, v58, v38
	s_wait_alu 0xfffd
	v_add_co_ci_u32_e64 v15, null, v59, v39, vcc_lo
	v_add_co_u32 v30, vcc_lo, v60, v38
	s_wait_alu 0xfffd
	v_add_co_ci_u32_e64 v31, null, v61, v39, vcc_lo
	global_load_b64 v[14:15], v[14:15], off
	global_load_b64 v[30:31], v[30:31], off
	s_wait_alu 0xfffe
	s_or_b32 exec_lo, exec_lo, s3
	s_and_saveexec_b32 s3, s2
	s_cbranch_execz .LBB40_3
.LBB40_47:                              ;   in Loop: Header=BB40_5 Depth=1
	v_add_co_u32 v16, vcc_lo, v54, v38
	s_wait_alu 0xfffd
	v_add_co_ci_u32_e64 v17, null, v55, v39, vcc_lo
	v_add_co_u32 v32, vcc_lo, v56, v38
	s_wait_alu 0xfffd
	v_add_co_ci_u32_e64 v33, null, v57, v39, vcc_lo
	global_load_b64 v[16:17], v[16:17], off
	global_load_b64 v[32:33], v[32:33], off
	s_branch .LBB40_3
.LBB40_48:
                                        ; implicit-def: $vgpr34_vgpr35
                                        ; implicit-def: $vgpr36_vgpr37
	s_branch .LBB40_50
.LBB40_49:
	s_cbranch_execnz .LBB40_81
.LBB40_50:
	v_mov_b32_e32 v34, 0
	v_dual_mov_b32 v35, 0 :: v_dual_mov_b32 v36, 0
	v_mov_b32_e32 v37, 0
	s_and_not1_b32 vcc_lo, exec_lo, s31
	s_wait_alu 0xfffe
	s_cbranch_vccnz .LBB40_81
; %bb.51:
	v_bfe_u32 v74, v0, 10, 10
	v_dual_mov_b32 v1, 0 :: v_dual_and_b32 v76, 0x3ff, v0
	s_lshl_b64 s[22:23], s[16:17], 3
	s_mov_b32 s3, 0
	s_delay_alu instid0(VALU_DEP_2) | instskip(NEXT) | instid1(VALU_DEP_2)
	v_dual_mov_b32 v36, 0 :: v_dual_lshlrev_b32 v75, 3, v74
	v_dual_mov_b32 v77, v1 :: v_dual_lshlrev_b32 v8, 6, v74
	v_dual_mov_b32 v5, v1 :: v_dual_add_nc_u32 v4, s30, v76
	s_delay_alu instid0(VALU_DEP_3) | instskip(SKIP_2) | instid1(VALU_DEP_3)
	v_add_co_u32 v10, s2, v75, s16
	s_wait_alu 0xf1ff
	v_add_co_ci_u32_e64 v11, null, 0, 0, s2
	v_lshlrev_b64_e32 v[38:39], 3, v[4:5]
	s_delay_alu instid0(VALU_DEP_3) | instskip(SKIP_1) | instid1(VALU_DEP_4)
	v_mul_lo_u32 v6, s7, v10
	v_mad_co_u64_u32 v[2:3], null, s6, v10, 0
	v_mul_lo_u32 v7, s6, v11
	s_load_b32 s2, s[0:1], 0x44
	s_mov_b32 s21, s3
	v_dual_mov_b32 v37, 0 :: v_dual_mov_b32 v34, 0
	v_mov_b32_e32 v35, 0
	s_add_nc_u64 s[18:19], s[0:1], 64
	s_delay_alu instid0(VALU_DEP_3) | instskip(SKIP_1) | instid1(VALU_DEP_1)
	v_add3_u32 v3, v3, v7, v6
	v_add_co_u32 v6, s20, v8, s22
	v_add_co_ci_u32_e64 v7, null, 0, s23, s20
	s_delay_alu instid0(VALU_DEP_3) | instskip(NEXT) | instid1(VALU_DEP_3)
	v_lshlrev_b64_e32 v[4:5], 3, v[2:3]
	v_add_co_u32 v8, vcc_lo, v6, 8
	s_wait_alu 0xfffd
	s_delay_alu instid0(VALU_DEP_3) | instskip(NEXT) | instid1(VALU_DEP_3)
	v_add_co_ci_u32_e64 v9, null, 0, v7, vcc_lo
	v_add_co_u32 v78, vcc_lo, s8, v4
	s_wait_alu 0xfffd
	v_add_co_ci_u32_e64 v79, null, s9, v5, vcc_lo
	v_add_co_u32 v80, vcc_lo, s10, v4
	s_wait_alu 0xfffd
	v_add_co_ci_u32_e64 v81, null, s11, v5, vcc_lo
	v_add_co_u32 v4, vcc_lo, v6, 16
	s_wait_alu 0xfffd
	v_add_co_ci_u32_e64 v5, null, 0, v7, vcc_lo
	v_add_co_u32 v13, vcc_lo, v6, 24
	s_wait_alu 0xfffd
	v_add_co_ci_u32_e64 v14, null, 0, v7, vcc_lo
	v_add_co_u32 v16, vcc_lo, v6, 32
	s_wait_alu 0xfffd
	v_add_co_ci_u32_e64 v18, null, 0, v7, vcc_lo
	v_add_co_u32 v19, vcc_lo, v6, 40
	v_mad_co_u64_u32 v[42:43], null, s6, v4, s[8:9]
	v_mul_lo_u32 v5, s6, v5
	v_mul_lo_u32 v15, s7, v4
	v_mad_co_u64_u32 v[56:57], null, s6, v4, s[10:11]
	s_wait_alu 0xfffd
	v_add_co_ci_u32_e64 v20, null, 0, v7, vcc_lo
	v_add_co_u32 v22, vcc_lo, v6, 48
	s_wait_alu 0xfffd
	v_add_co_ci_u32_e64 v24, null, 0, v7, vcc_lo
	v_add_co_u32 v6, vcc_lo, v6, 56
	v_mad_co_u64_u32 v[40:41], null, s6, v8, s[8:9]
	v_mul_lo_u32 v9, s6, v9
	v_mul_lo_u32 v12, s7, v8
	v_mad_co_u64_u32 v[54:55], null, s6, v8, s[10:11]
	s_wait_alu 0xfffd
	v_add_co_ci_u32_e64 v7, null, 0, v7, vcc_lo
	v_add_co_u32 v4, vcc_lo, v10, 7
	v_add3_u32 v43, v15, v43, v5
	v_add3_u32 v57, v15, v57, v5
	s_wait_alu 0xfffd
	v_add_co_ci_u32_e64 v5, null, 0, v11, vcc_lo
	v_mul_lo_u32 v26, s6, v7
	v_add_co_u32 v7, vcc_lo, v10, 6
	v_add3_u32 v41, v12, v41, v9
	v_add3_u32 v55, v12, v55, v9
	s_wait_alu 0xfffd
	v_add_co_ci_u32_e64 v12, null, 0, v11, vcc_lo
	v_mul_lo_u32 v8, s7, v4
	v_mul_lo_u32 v9, s6, v5
	v_mad_co_u64_u32 v[4:5], null, s6, v4, 0
	v_mad_co_u64_u32 v[44:45], null, s6, v13, s[8:9]
	v_mul_lo_u32 v17, s7, v13
	v_mad_co_u64_u32 v[52:53], null, s6, v6, s[8:9]
	v_mul_lo_u32 v27, s7, v6
	v_mad_co_u64_u32 v[58:59], null, s6, v13, s[10:11]
	v_mad_co_u64_u32 v[66:67], null, s6, v6, s[10:11]
	v_mul_lo_u32 v13, s7, v7
	v_mul_lo_u32 v12, s6, v12
	v_mad_co_u64_u32 v[6:7], null, s6, v7, 0
	v_add3_u32 v5, v5, v9, v8
	v_add_co_u32 v8, vcc_lo, v10, 5
	s_wait_alu 0xfffd
	v_add_co_ci_u32_e64 v9, null, 0, v11, vcc_lo
	s_delay_alu instid0(VALU_DEP_3) | instskip(SKIP_2) | instid1(VALU_DEP_4)
	v_lshlrev_b64_e32 v[4:5], 3, v[4:5]
	v_add3_u32 v7, v7, v12, v13
	v_mul_lo_u32 v12, s7, v8
	v_mul_lo_u32 v13, s6, v9
	v_mad_co_u64_u32 v[8:9], null, s6, v8, 0
	s_delay_alu instid0(VALU_DEP_4)
	v_lshlrev_b64_e32 v[6:7], 3, v[6:7]
	v_add_co_u32 v82, vcc_lo, s8, v4
	s_wait_alu 0xfffd
	v_add_co_ci_u32_e64 v83, null, s9, v5, vcc_lo
	v_add_co_u32 v84, vcc_lo, s10, v4
	s_wait_alu 0xfffd
	v_add_co_ci_u32_e64 v85, null, s11, v5, vcc_lo
	v_add_co_u32 v86, vcc_lo, s8, v6
	v_mul_lo_u32 v14, s6, v14
	v_add3_u32 v9, v9, v13, v12
	s_wait_alu 0xfffd
	v_add_co_ci_u32_e64 v87, null, s9, v7, vcc_lo
	v_add_co_u32 v12, vcc_lo, v10, 4
	s_wait_kmcnt 0x0
	s_lshl_b32 s20, s2, 3
	v_add_co_u32 v88, s2, s10, v6
	s_wait_alu 0xfffd
	v_add_co_ci_u32_e64 v6, null, 0, v11, vcc_lo
	v_lshlrev_b64_e32 v[4:5], 3, v[8:9]
	v_add_co_u32 v8, vcc_lo, v10, 3
	s_wait_alu 0xfffd
	v_add_co_ci_u32_e64 v9, null, 0, v11, vcc_lo
	v_add3_u32 v45, v17, v45, v14
	v_add3_u32 v59, v17, v59, v14
	s_wait_alu 0xf1ff
	v_add_co_ci_u32_e64 v89, null, s11, v7, s2
	v_mul_lo_u32 v13, s7, v12
	v_mul_lo_u32 v14, s6, v6
	v_mad_co_u64_u32 v[6:7], null, s6, v12, 0
	v_mul_lo_u32 v12, s7, v8
	v_mul_lo_u32 v15, s6, v9
	v_mad_co_u64_u32 v[8:9], null, s6, v8, 0
	v_add_co_u32 v90, vcc_lo, s8, v4
	s_wait_alu 0xfffd
	v_add_co_ci_u32_e64 v91, null, s9, v5, vcc_lo
	v_add3_u32 v7, v7, v14, v13
	v_add_co_u32 v92, vcc_lo, s10, v4
	s_wait_alu 0xfffd
	v_add_co_ci_u32_e64 v93, null, s11, v5, vcc_lo
	v_add_co_u32 v10, vcc_lo, v10, 2
	v_add3_u32 v9, v9, v15, v12
	s_wait_alu 0xfffd
	v_add_co_ci_u32_e64 v11, null, 0, v11, vcc_lo
	v_lshlrev_b64_e32 v[4:5], 3, v[6:7]
	v_mul_lo_u32 v12, s7, v10
	v_lshlrev_b64_e32 v[6:7], 3, v[8:9]
	s_delay_alu instid0(VALU_DEP_4)
	v_mul_lo_u32 v11, s6, v11
	v_mad_co_u64_u32 v[8:9], null, s6, v10, 0
	v_add_co_u32 v94, vcc_lo, s8, v4
	s_wait_alu 0xfffd
	v_add_co_ci_u32_e64 v95, null, s9, v5, vcc_lo
	v_add_co_u32 v96, vcc_lo, s10, v4
	s_wait_alu 0xfffd
	v_add_co_ci_u32_e64 v97, null, s11, v5, vcc_lo
	;; [unrolled: 3-line block ×3, first 2 shown]
	v_add3_u32 v9, v9, v11, v12
	v_add_co_u32 v100, vcc_lo, s10, v6
	s_wait_alu 0xfffd
	v_add_co_ci_u32_e64 v101, null, s11, v7, vcc_lo
	v_add_co_u32 v2, vcc_lo, v2, s6
	s_wait_alu 0xfffd
	v_add_co_ci_u32_e64 v3, null, s7, v3, vcc_lo
	v_lshlrev_b64_e32 v[4:5], 3, v[8:9]
	v_mad_co_u64_u32 v[46:47], null, s6, v16, s[8:9]
	s_delay_alu instid0(VALU_DEP_3)
	v_lshlrev_b64_e32 v[2:3], 3, v[2:3]
	v_mul_lo_u32 v18, s6, v18
	v_mul_lo_u32 v21, s7, v16
	v_mad_co_u64_u32 v[48:49], null, s6, v19, s[8:9]
	v_mul_lo_u32 v20, s6, v20
	v_mul_lo_u32 v23, s7, v19
	v_mad_co_u64_u32 v[50:51], null, s6, v22, s[8:9]
	;; [unrolled: 3-line block ×3, first 2 shown]
	v_mad_co_u64_u32 v[62:63], null, s6, v19, s[10:11]
	v_mad_co_u64_u32 v[64:65], null, s6, v22, s[10:11]
	v_add_co_u32 v102, vcc_lo, s8, v4
	s_wait_alu 0xfffd
	v_add_co_ci_u32_e64 v103, null, s9, v5, vcc_lo
	v_add_co_u32 v104, vcc_lo, s10, v4
	s_wait_alu 0xfffd
	v_add_co_ci_u32_e64 v105, null, s11, v5, vcc_lo
	;; [unrolled: 3-line block ×3, first 2 shown]
	v_add_co_u32 v108, vcc_lo, s10, v2
	v_add3_u32 v47, v21, v47, v18
	v_add3_u32 v49, v23, v49, v20
	;; [unrolled: 1-line block ×8, first 2 shown]
	s_wait_alu 0xfffd
	v_add_co_ci_u32_e64 v109, null, s11, v3, vcc_lo
	s_wait_alu 0xfffe
	s_mul_u64 s[22:23], s[6:7], s[20:21]
	s_mov_b64 s[10:11], 7
	s_wait_alu 0xfffe
	s_lshl_b64 s[8:9], s[22:23], 3
	s_mov_b64 s[22:23], s[16:17]
	s_branch .LBB40_55
.LBB40_52:                              ;   in Loop: Header=BB40_55 Depth=1
	s_wait_alu 0xfffe
	s_or_b32 exec_lo, exec_lo, s24
.LBB40_53:                              ;   in Loop: Header=BB40_55 Depth=1
	s_wait_alu 0xfffe
	s_or_b32 exec_lo, exec_lo, s2
	v_add_co_u32 v6, vcc_lo, v80, v38
	s_wait_alu 0xfffd
	v_add_co_ci_u32_e64 v7, null, v81, v39, vcc_lo
	v_add_co_u32 v8, vcc_lo, v54, v38
	s_wait_alu 0xfffd
	v_add_co_ci_u32_e64 v9, null, v55, v39, vcc_lo
	global_load_b64 v[6:7], v[6:7], off
	v_add_co_u32 v10, vcc_lo, v78, v38
	s_wait_alu 0xfffd
	v_add_co_ci_u32_e64 v11, null, v79, v39, vcc_lo
	global_load_b64 v[8:9], v[8:9], off
	global_load_b64 v[10:11], v[10:11], off
	v_add_co_u32 v12, vcc_lo, v56, v38
	s_wait_alu 0xfffd
	v_add_co_ci_u32_e64 v13, null, v57, v39, vcc_lo
	v_add_co_u32 v14, vcc_lo, v40, v38
	s_wait_alu 0xfffd
	v_add_co_ci_u32_e64 v15, null, v41, v39, vcc_lo
	global_load_b64 v[12:13], v[12:13], off
	global_load_b64 v[14:15], v[14:15], off
	v_add_co_u32 v16, vcc_lo, v58, v38
	s_wait_alu 0xfffd
	v_add_co_ci_u32_e64 v17, null, v59, v39, vcc_lo
	;; [unrolled: 8-line block ×5, first 2 shown]
	v_add_co_u32 v30, vcc_lo, v64, v38
	s_wait_alu 0xfffd
	v_add_co_ci_u32_e64 v31, null, v65, v39, vcc_lo
	v_add_co_u32 v32, vcc_lo, v66, v38
	s_wait_alu 0xfffd
	v_add_co_ci_u32_e64 v33, null, v67, v39, vcc_lo
	global_load_b64 v[30:31], v[30:31], off
	global_load_b64 v[68:69], v[16:17], off
	;; [unrolled: 1-line block ×3, first 2 shown]
	v_add_co_u32 v16, vcc_lo, v50, v38
	s_wait_alu 0xfffd
	v_add_co_ci_u32_e64 v17, null, v51, v39, vcc_lo
	v_add_co_u32 v70, vcc_lo, v52, v38
	s_wait_alu 0xfffd
	v_add_co_ci_u32_e64 v71, null, v53, v39, vcc_lo
	global_load_b64 v[72:73], v[16:17], off
	global_load_b64 v[16:17], v[70:71], off
	s_wait_loadcnt 0x11
	ds_bpermute_b32 v70, v1, v4
	ds_bpermute_b32 v71, v1, v5
	s_wait_loadcnt 0x10
	ds_bpermute_b32 v110, v1, v2
	ds_bpermute_b32 v111, v1, v3
	s_wait_loadcnt_dscnt 0xf02
	v_add_f64_e64 v[6:7], v[6:7], -v[70:71]
	ds_bpermute_b32 v70, v1, v4 offset:4
	ds_bpermute_b32 v71, v1, v5 offset:4
	s_wait_loadcnt_dscnt 0xe00
	v_add_f64_e64 v[8:9], v[8:9], -v[70:71]
	ds_bpermute_b32 v70, v1, v4 offset:8
	ds_bpermute_b32 v71, v1, v5 offset:8
	s_wait_loadcnt 0xd
	v_mul_f64_e32 v[6:7], v[10:11], v[6:7]
	v_add_f64_e32 v[10:11], v[34:35], v[10:11]
	ds_bpermute_b32 v34, v1, v4 offset:12
	ds_bpermute_b32 v35, v1, v5 offset:12
	s_wait_loadcnt_dscnt 0xc02
	v_add_f64_e64 v[12:13], v[12:13], -v[70:71]
	s_wait_loadcnt 0xb
	v_mul_f64_e32 v[8:9], v[14:15], v[8:9]
	s_wait_loadcnt_dscnt 0xa00
	v_add_f64_e64 v[20:21], v[20:21], -v[34:35]
	v_fma_f64 v[6:7], v[6:7], v[110:111], v[36:37]
	ds_bpermute_b32 v36, v1, v2 offset:4
	ds_bpermute_b32 v37, v1, v3 offset:4
	v_add_f64_e32 v[10:11], v[10:11], v[14:15]
	ds_bpermute_b32 v14, v1, v2 offset:8
	ds_bpermute_b32 v15, v1, v3 offset:8
	s_wait_loadcnt 0x9
	v_mul_f64_e32 v[12:13], v[18:19], v[12:13]
	s_wait_loadcnt 0x7
	v_mul_f64_e32 v[20:21], v[22:23], v[20:21]
	s_wait_dscnt 0x2
	v_fma_f64 v[6:7], v[8:9], v[36:37], v[6:7]
	ds_bpermute_b32 v8, v1, v4 offset:16
	ds_bpermute_b32 v9, v1, v5 offset:16
	v_add_f64_e32 v[10:11], v[10:11], v[18:19]
	ds_bpermute_b32 v18, v1, v2 offset:16
	ds_bpermute_b32 v19, v1, v3 offset:16
	s_wait_dscnt 0x2
	v_add_f64_e64 v[8:9], v[24:25], -v[8:9]
	v_fma_f64 v[6:7], v[12:13], v[14:15], v[6:7]
	ds_bpermute_b32 v12, v1, v4 offset:20
	ds_bpermute_b32 v13, v1, v5 offset:20
	;; [unrolled: 1-line block ×4, first 2 shown]
	v_add_f64_e32 v[10:11], v[10:11], v[22:23]
	s_wait_loadcnt_dscnt 0x602
	v_add_f64_e64 v[12:13], v[28:29], -v[12:13]
	s_wait_loadcnt 0x5
	v_mul_f64_e32 v[8:9], v[26:27], v[8:9]
	s_wait_dscnt 0x0
	v_fma_f64 v[6:7], v[20:21], v[14:15], v[6:7]
	ds_bpermute_b32 v14, v1, v4 offset:24
	ds_bpermute_b32 v15, v1, v5 offset:24
	;; [unrolled: 1-line block ×4, first 2 shown]
	v_add_f64_e32 v[10:11], v[10:11], v[26:27]
	s_wait_loadcnt_dscnt 0x402
	v_add_f64_e64 v[14:15], v[30:31], -v[14:15]
	s_wait_loadcnt 0x3
	v_mul_f64_e32 v[12:13], v[68:69], v[12:13]
	s_wait_loadcnt_dscnt 0x200
	v_add_f64_e64 v[4:5], v[32:33], -v[4:5]
	v_fma_f64 v[6:7], v[8:9], v[18:19], v[6:7]
	ds_bpermute_b32 v8, v1, v2 offset:20
	ds_bpermute_b32 v9, v1, v3 offset:20
	v_add_f64_e32 v[10:11], v[10:11], v[68:69]
	s_wait_loadcnt 0x1
	v_mul_f64_e32 v[14:15], v[72:73], v[14:15]
	s_wait_loadcnt 0x0
	v_mul_f64_e32 v[4:5], v[16:17], v[4:5]
	s_wait_dscnt 0x0
	v_fma_f64 v[6:7], v[12:13], v[8:9], v[6:7]
	ds_bpermute_b32 v8, v1, v2 offset:24
	ds_bpermute_b32 v9, v1, v3 offset:24
	;; [unrolled: 1-line block ×4, first 2 shown]
	v_add_f64_e32 v[2:3], v[10:11], v[72:73]
	s_wait_dscnt 0x0
	v_mul_f64_e32 v[4:5], v[4:5], v[12:13]
	v_fma_f64 v[6:7], v[14:15], v[8:9], v[6:7]
.LBB40_54:                              ;   in Loop: Header=BB40_55 Depth=1
	v_add_co_u32 v78, vcc_lo, v78, s8
	s_wait_alu 0xfffd
	v_add_co_ci_u32_e64 v79, null, s9, v79, vcc_lo
	v_add_co_u32 v80, vcc_lo, v80, s8
	s_wait_alu 0xfffd
	v_add_co_ci_u32_e64 v81, null, s9, v81, vcc_lo
	;; [unrolled: 3-line block ×14, first 2 shown]
	v_add_co_u32 v62, vcc_lo, v62, s8
	v_add_f64_e32 v[36:37], v[6:7], v[4:5]
	v_add_f64_e32 v[34:35], v[2:3], v[16:17]
	s_wait_alu 0xfffd
	v_add_co_ci_u32_e64 v63, null, s9, v63, vcc_lo
	v_add_co_u32 v64, vcc_lo, v64, s8
	s_wait_alu 0xfffd
	v_add_co_ci_u32_e64 v65, null, s9, v65, vcc_lo
	v_add_co_u32 v66, vcc_lo, v66, s8
	;; [unrolled: 3-line block ×14, first 2 shown]
	s_add_nc_u64 s[22:23], s[22:23], s[20:21]
	s_wait_alu 0xfffd
	v_add_co_ci_u32_e64 v105, null, s9, v105, vcc_lo
	v_add_co_u32 v106, vcc_lo, v106, s8
	s_wait_alu 0xfffe
	v_cmp_ge_i64_e64 s2, s[22:23], s[4:5]
	s_wait_alu 0xfffd
	v_add_co_ci_u32_e64 v107, null, s9, v107, vcc_lo
	v_add_co_u32 v108, vcc_lo, v108, s8
	s_wait_alu 0xfffd
	v_add_co_ci_u32_e64 v109, null, s9, v109, vcc_lo
	s_and_b32 vcc_lo, exec_lo, s2
	s_add_nc_u64 s[10:11], s[10:11], s[20:21]
	s_wait_alu 0xfffe
	s_cbranch_vccnz .LBB40_81
.LBB40_55:                              ; =>This Inner Loop Header: Depth=1
	s_add_nc_u64 s[24:25], s[16:17], s[10:11]
	v_add_co_u32 v68, vcc_lo, s16, v75
	s_wait_alu 0xfffe
	v_cmp_ge_i64_e64 s2, s[24:25], s[4:5]
	s_wait_alu 0xfffd
	v_add_co_ci_u32_e64 v69, null, 0, v77, vcc_lo
                                        ; implicit-def: $vgpr16_vgpr17
                                        ; implicit-def: $vgpr4_vgpr5
                                        ; implicit-def: $vgpr2_vgpr3
                                        ; implicit-def: $vgpr6_vgpr7
	s_and_b32 vcc_lo, exec_lo, s2
	s_mov_b32 s2, -1
	s_wait_alu 0xfffe
	s_cbranch_vccz .LBB40_77
; %bb.56:                               ;   in Loop: Header=BB40_55 Depth=1
	s_load_b32 s2, s[18:19], 0xc
	v_mov_b32_e32 v70, 0
	v_mov_b32_e32 v72, 0
	;; [unrolled: 1-line block ×4, first 2 shown]
	s_wait_kmcnt 0x0
	s_and_b32 s2, s2, 0xffff
	s_wait_alu 0xfffe
	v_mad_u32_u24 v2, v74, s2, v76
	s_mov_b32 s2, exec_lo
	s_delay_alu instid0(VALU_DEP_1) | instskip(NEXT) | instid1(VALU_DEP_1)
	v_and_b32_e32 v2, 31, v2
	v_cmpx_gt_u32_e32 8, v2
	s_cbranch_execz .LBB40_60
; %bb.57:                               ;   in Loop: Header=BB40_55 Depth=1
	v_add_co_u32 v2, vcc_lo, v68, v2
	v_mov_b32_e32 v72, 0
	v_dual_mov_b32 v73, 0 :: v_dual_mov_b32 v70, 0
	s_wait_alu 0xfffd
	v_add_co_ci_u32_e64 v3, null, 0, v69, vcc_lo
	v_mov_b32_e32 v71, 0
	s_mov_b32 s24, exec_lo
	s_delay_alu instid0(VALU_DEP_2)
	v_cmpx_gt_i64_e64 s[4:5], v[2:3]
	s_cbranch_execz .LBB40_59
; %bb.58:                               ;   in Loop: Header=BB40_55 Depth=1
	v_lshlrev_b64_e32 v[2:3], 3, v[2:3]
	s_delay_alu instid0(VALU_DEP_1) | instskip(SKIP_1) | instid1(VALU_DEP_2)
	v_add_co_u32 v4, vcc_lo, s12, v2
	s_wait_alu 0xfffd
	v_add_co_ci_u32_e64 v5, null, s13, v3, vcc_lo
	v_add_co_u32 v2, vcc_lo, s14, v2
	s_wait_alu 0xfffd
	v_add_co_ci_u32_e64 v3, null, s15, v3, vcc_lo
	global_load_b64 v[72:73], v[4:5], off
	global_load_b64 v[70:71], v[2:3], off
.LBB40_59:                              ;   in Loop: Header=BB40_55 Depth=1
	s_wait_alu 0xfffe
	s_or_b32 exec_lo, exec_lo, s24
.LBB40_60:                              ;   in Loop: Header=BB40_55 Depth=1
	s_wait_alu 0xfffe
	s_or_b32 exec_lo, exec_lo, s2
	v_mov_b32_e32 v16, v1
	v_dual_mov_b32 v2, v1 :: v_dual_mov_b32 v3, v1
	v_dual_mov_b32 v4, v1 :: v_dual_mov_b32 v5, v1
	v_dual_mov_b32 v6, v1 :: v_dual_mov_b32 v7, v1
	v_dual_mov_b32 v8, v1 :: v_dual_mov_b32 v9, v1
	v_dual_mov_b32 v10, v1 :: v_dual_mov_b32 v11, v1
	v_dual_mov_b32 v12, v1 :: v_dual_mov_b32 v13, v1
	v_dual_mov_b32 v14, v1 :: v_dual_mov_b32 v15, v1
	v_mov_b32_e32 v33, v16
	s_delay_alu instid0(VALU_DEP_3) | instskip(NEXT) | instid1(VALU_DEP_3)
	v_dual_mov_b32 v29, v12 :: v_dual_mov_b32 v28, v11
	v_dual_mov_b32 v31, v14 :: v_dual_mov_b32 v30, v13
	s_delay_alu instid0(VALU_DEP_4)
	v_dual_mov_b32 v32, v15 :: v_dual_mov_b32 v27, v10
	v_dual_mov_b32 v26, v9 :: v_dual_mov_b32 v25, v8
	;; [unrolled: 1-line block ×6, first 2 shown]
	v_mov_b32_e32 v16, v15
	v_mov_b32_e32 v15, v14
	;; [unrolled: 1-line block ×15, first 2 shown]
	s_mov_b32 s2, exec_lo
	v_cmpx_gt_i64_e64 s[4:5], v[68:69]
	s_cbranch_execz .LBB40_62
; %bb.61:                               ;   in Loop: Header=BB40_55 Depth=1
	v_add_co_u32 v2, vcc_lo, v78, v38
	s_wait_alu 0xfffd
	v_add_co_ci_u32_e64 v3, null, v79, v39, vcc_lo
	v_add_co_u32 v4, vcc_lo, v80, v38
	s_wait_alu 0xfffd
	v_add_co_ci_u32_e64 v5, null, v81, v39, vcc_lo
	global_load_b64 v[2:3], v[2:3], off
	global_load_b64 v[18:19], v[4:5], off
	v_dual_mov_b32 v4, v1 :: v_dual_mov_b32 v5, v1
	v_dual_mov_b32 v6, v1 :: v_dual_mov_b32 v7, v1
	;; [unrolled: 1-line block ×14, first 2 shown]
.LBB40_62:                              ;   in Loop: Header=BB40_55 Depth=1
	s_wait_alu 0xfffe
	s_or_b32 exec_lo, exec_lo, s2
	v_add_co_u32 v110, vcc_lo, v68, 1
	s_wait_alu 0xfffd
	v_add_co_ci_u32_e64 v111, null, 0, v69, vcc_lo
	s_mov_b32 s2, exec_lo
	v_cmpx_gt_i64_e64 s[4:5], v[110:111]
	s_cbranch_execz .LBB40_64
; %bb.63:                               ;   in Loop: Header=BB40_55 Depth=1
	v_add_co_u32 v4, vcc_lo, v106, v38
	s_wait_alu 0xfffd
	v_add_co_ci_u32_e64 v5, null, v107, v39, vcc_lo
	v_add_co_u32 v20, vcc_lo, v108, v38
	s_wait_alu 0xfffd
	v_add_co_ci_u32_e64 v21, null, v109, v39, vcc_lo
	global_load_b64 v[4:5], v[4:5], off
	global_load_b64 v[20:21], v[20:21], off
.LBB40_64:                              ;   in Loop: Header=BB40_55 Depth=1
	s_wait_alu 0xfffe
	s_or_b32 exec_lo, exec_lo, s2
	v_add_co_u32 v110, vcc_lo, v68, 2
	s_wait_alu 0xfffd
	v_add_co_ci_u32_e64 v111, null, 0, v69, vcc_lo
	s_mov_b32 s2, exec_lo
	v_cmpx_gt_i64_e64 s[4:5], v[110:111]
	s_cbranch_execz .LBB40_66
; %bb.65:                               ;   in Loop: Header=BB40_55 Depth=1
	v_add_co_u32 v6, vcc_lo, v102, v38
	s_wait_alu 0xfffd
	v_add_co_ci_u32_e64 v7, null, v103, v39, vcc_lo
	v_add_co_u32 v22, vcc_lo, v104, v38
	s_wait_alu 0xfffd
	v_add_co_ci_u32_e64 v23, null, v105, v39, vcc_lo
	global_load_b64 v[6:7], v[6:7], off
	global_load_b64 v[22:23], v[22:23], off
.LBB40_66:                              ;   in Loop: Header=BB40_55 Depth=1
	;; [unrolled: 18-line block ×7, first 2 shown]
	s_wait_alu 0xfffe
	s_or_b32 exec_lo, exec_lo, s2
	s_wait_loadcnt 0x1
	ds_bpermute_b32 v110, v1, v72
	ds_bpermute_b32 v111, v1, v73
	s_wait_loadcnt 0x0
	ds_bpermute_b32 v112, v1, v70
	ds_bpermute_b32 v113, v1, v71
	s_mov_b32 s2, 0
	s_wait_dscnt 0x2
	v_add_f64_e64 v[18:19], v[18:19], -v[110:111]
	ds_bpermute_b32 v110, v1, v72 offset:4
	ds_bpermute_b32 v111, v1, v73 offset:4
	s_wait_dscnt 0x0
	v_add_f64_e64 v[20:21], v[20:21], -v[110:111]
	ds_bpermute_b32 v110, v1, v72 offset:8
	ds_bpermute_b32 v111, v1, v73 offset:8
	v_mul_f64_e32 v[18:19], v[2:3], v[18:19]
	v_add_f64_e32 v[2:3], v[34:35], v[2:3]
	s_wait_dscnt 0x0
	v_add_f64_e64 v[22:23], v[22:23], -v[110:111]
	ds_bpermute_b32 v110, v1, v72 offset:12
	ds_bpermute_b32 v111, v1, v73 offset:12
	v_mul_f64_e32 v[20:21], v[4:5], v[20:21]
	s_wait_dscnt 0x0
	v_add_f64_e64 v[24:25], v[24:25], -v[110:111]
	v_fma_f64 v[18:19], v[18:19], v[112:113], v[36:37]
	ds_bpermute_b32 v112, v1, v70 offset:4
	ds_bpermute_b32 v113, v1, v71 offset:4
	v_add_f64_e32 v[2:3], v[4:5], v[2:3]
	v_mul_f64_e32 v[4:5], v[6:7], v[22:23]
	ds_bpermute_b32 v22, v1, v70 offset:8
	ds_bpermute_b32 v23, v1, v71 offset:8
	v_mul_f64_e32 v[24:25], v[8:9], v[24:25]
	s_wait_dscnt 0x2
	v_fma_f64 v[18:19], v[20:21], v[112:113], v[18:19]
	ds_bpermute_b32 v20, v1, v72 offset:16
	ds_bpermute_b32 v21, v1, v73 offset:16
	v_add_f64_e32 v[2:3], v[6:7], v[2:3]
	ds_bpermute_b32 v6, v1, v72 offset:20
	ds_bpermute_b32 v7, v1, v73 offset:20
	s_wait_dscnt 0x2
	v_add_f64_e64 v[20:21], v[26:27], -v[20:21]
	s_wait_dscnt 0x0
	v_add_f64_e64 v[6:7], v[28:29], -v[6:7]
	v_fma_f64 v[4:5], v[4:5], v[22:23], v[18:19]
	ds_bpermute_b32 v18, v1, v70 offset:12
	ds_bpermute_b32 v19, v1, v71 offset:12
	v_add_f64_e32 v[2:3], v[8:9], v[2:3]
	ds_bpermute_b32 v8, v1, v72 offset:24
	ds_bpermute_b32 v9, v1, v73 offset:24
	;; [unrolled: 1-line block ×4, first 2 shown]
	v_mul_f64_e32 v[20:21], v[10:11], v[20:21]
	s_wait_dscnt 0x2
	v_add_f64_e64 v[8:9], v[30:31], -v[8:9]
	v_mul_f64_e32 v[6:7], v[12:13], v[6:7]
	v_fma_f64 v[4:5], v[24:25], v[18:19], v[4:5]
	ds_bpermute_b32 v18, v1, v70 offset:16
	ds_bpermute_b32 v19, v1, v71 offset:16
	v_add_f64_e32 v[2:3], v[10:11], v[2:3]
	s_wait_dscnt 0x2
	v_add_f64_e64 v[10:11], v[32:33], -v[22:23]
	v_mul_f64_e32 v[8:9], v[14:15], v[8:9]
	s_wait_dscnt 0x0
	v_fma_f64 v[4:5], v[20:21], v[18:19], v[4:5]
	ds_bpermute_b32 v18, v1, v70 offset:20
	ds_bpermute_b32 v19, v1, v71 offset:20
	v_add_f64_e32 v[2:3], v[12:13], v[2:3]
	v_mul_f64_e32 v[10:11], v[16:17], v[10:11]
	ds_bpermute_b32 v12, v1, v70 offset:28
	ds_bpermute_b32 v13, v1, v71 offset:28
	s_wait_dscnt 0x2
	v_fma_f64 v[4:5], v[6:7], v[18:19], v[4:5]
	ds_bpermute_b32 v6, v1, v70 offset:24
	ds_bpermute_b32 v7, v1, v71 offset:24
	v_add_f64_e32 v[2:3], v[14:15], v[2:3]
	s_wait_dscnt 0x0
	v_fma_f64 v[6:7], v[8:9], v[6:7], v[4:5]
	v_mul_f64_e32 v[4:5], v[10:11], v[12:13]
.LBB40_77:                              ;   in Loop: Header=BB40_55 Depth=1
	s_wait_alu 0xfffe
	s_and_b32 vcc_lo, exec_lo, s2
	s_wait_alu 0xfffe
	s_cbranch_vccz .LBB40_54
; %bb.78:                               ;   in Loop: Header=BB40_55 Depth=1
	s_load_b32 s2, s[18:19], 0x0
	v_mov_b32_e32 v4, 0
	v_mov_b32_e32 v5, 0
	s_wait_kmcnt 0x0
	s_cmp_lt_u32 ttmp9, s2
	s_cselect_b32 s2, 12, 18
	s_wait_alu 0xfffe
	s_add_nc_u64 s[24:25], s[18:19], s[2:3]
	s_load_u16 s2, s[24:25], 0x0
	s_wait_kmcnt 0x0
	v_mad_u32_u24 v2, v74, s2, v76
	s_mov_b32 s2, exec_lo
	s_delay_alu instid0(VALU_DEP_1) | instskip(SKIP_2) | instid1(VALU_DEP_3)
	v_and_b32_e32 v6, 31, v2
	v_mov_b32_e32 v2, 0
	v_mov_b32_e32 v3, 0
	v_cmpx_gt_u32_e32 8, v6
	s_cbranch_execz .LBB40_53
; %bb.79:                               ;   in Loop: Header=BB40_55 Depth=1
	v_add_co_u32 v6, vcc_lo, v68, v6
	v_mov_b32_e32 v4, 0
	v_dual_mov_b32 v5, 0 :: v_dual_mov_b32 v2, 0
	s_wait_alu 0xfffd
	v_add_co_ci_u32_e64 v7, null, 0, v69, vcc_lo
	v_mov_b32_e32 v3, 0
	s_mov_b32 s24, exec_lo
	s_delay_alu instid0(VALU_DEP_2)
	v_cmpx_gt_i64_e64 s[4:5], v[6:7]
	s_cbranch_execz .LBB40_52
; %bb.80:                               ;   in Loop: Header=BB40_55 Depth=1
	v_lshlrev_b64_e32 v[2:3], 3, v[6:7]
	s_delay_alu instid0(VALU_DEP_1) | instskip(SKIP_1) | instid1(VALU_DEP_2)
	v_add_co_u32 v4, vcc_lo, s12, v2
	s_wait_alu 0xfffd
	v_add_co_ci_u32_e64 v5, null, s13, v3, vcc_lo
	v_add_co_u32 v2, vcc_lo, s14, v2
	s_wait_alu 0xfffd
	v_add_co_ci_u32_e64 v3, null, s15, v3, vcc_lo
	global_load_b64 v[4:5], v[4:5], off
	global_load_b64 v[2:3], v[2:3], off
	s_branch .LBB40_52
.LBB40_81:
	s_mov_b32 s2, ttmp9
	s_mov_b32 s3, 0
	s_wait_alu 0xfffe
	s_lshl_b64 s[2:3], s[2:3], 5
	s_wait_alu 0xfffe
	v_and_or_b32 v4, 0x3ff, v0, s2
	v_mov_b32_e32 v5, s3
	s_mov_b32 s2, exec_lo
	s_delay_alu instid0(VALU_DEP_1)
	v_cmpx_gt_i64_e64 s[6:7], v[4:5]
	s_cbranch_execz .LBB40_86
; %bb.82:
	s_clause 0x1
	s_load_u16 s4, s[0:1], 0x4e
	s_load_b128 s[0:3], s[0:1], 0x30
	v_bfe_u32 v0, v0, 10, 10
	v_mov_b32_e32 v1, 0
	s_wait_kmcnt 0x0
	s_delay_alu instid0(VALU_DEP_1) | instskip(SKIP_2) | instid1(VALU_DEP_2)
	v_mad_co_u64_u32 v[2:3], null, s4, ttmp7, v[0:1]
	v_lshlrev_b64_e32 v[0:1], 3, v[4:5]
	s_cmp_eq_u64 s[0:1], 0
	v_mul_lo_u32 v3, v3, s6
	s_delay_alu instid0(VALU_DEP_3)
	v_mul_lo_u32 v6, v2, s7
	s_cbranch_scc1 .LBB40_84
; %bb.83:
	v_mad_co_u64_u32 v[4:5], null, v2, s6, 0
	s_delay_alu instid0(VALU_DEP_1) | instskip(NEXT) | instid1(VALU_DEP_1)
	v_add3_u32 v5, v5, v6, v3
	v_lshlrev_b64_e32 v[4:5], 3, v[4:5]
	s_delay_alu instid0(VALU_DEP_1) | instskip(SKIP_1) | instid1(VALU_DEP_2)
	v_add_co_u32 v4, vcc_lo, s0, v4
	s_wait_alu 0xfffd
	v_add_co_ci_u32_e64 v5, null, s1, v5, vcc_lo
	s_delay_alu instid0(VALU_DEP_2) | instskip(SKIP_1) | instid1(VALU_DEP_2)
	v_add_co_u32 v4, vcc_lo, v4, v0
	s_wait_alu 0xfffd
	v_add_co_ci_u32_e64 v5, null, v5, v1, vcc_lo
	global_store_b64 v[4:5], v[36:37], off
.LBB40_84:
	s_cmp_eq_u64 s[2:3], 0
	s_cbranch_scc1 .LBB40_86
; %bb.85:
	v_mad_co_u64_u32 v[4:5], null, v2, s6, 0
	s_delay_alu instid0(VALU_DEP_1) | instskip(NEXT) | instid1(VALU_DEP_1)
	v_add3_u32 v5, v5, v6, v3
	v_lshlrev_b64_e32 v[2:3], 3, v[4:5]
	s_delay_alu instid0(VALU_DEP_1) | instskip(SKIP_1) | instid1(VALU_DEP_2)
	v_add_co_u32 v2, vcc_lo, s2, v2
	s_wait_alu 0xfffd
	v_add_co_ci_u32_e64 v3, null, s3, v3, vcc_lo
	s_delay_alu instid0(VALU_DEP_2) | instskip(SKIP_1) | instid1(VALU_DEP_2)
	v_add_co_u32 v0, vcc_lo, v2, v0
	s_wait_alu 0xfffd
	v_add_co_ci_u32_e64 v1, null, v3, v1, vcc_lo
	global_store_b64 v[0:1], v[34:35], off
.LBB40_86:
	s_nop 0
	s_sendmsg sendmsg(MSG_DEALLOC_VGPRS)
	s_endpgm
	.section	.rodata,"a",@progbits
	.p2align	6, 0x0
	.amdhsa_kernel _ZN2at6native12_GLOBAL__N_135GammaBetaBackwardCUDAKernelTemplateIddLj32ELj1ELj8ELb1ELb0ELb0EEEvllPKT_S5_PKT0_S8_PS3_S9_
		.amdhsa_group_segment_fixed_size 0
		.amdhsa_private_segment_fixed_size 0
		.amdhsa_kernarg_size 320
		.amdhsa_user_sgpr_count 2
		.amdhsa_user_sgpr_dispatch_ptr 0
		.amdhsa_user_sgpr_queue_ptr 0
		.amdhsa_user_sgpr_kernarg_segment_ptr 1
		.amdhsa_user_sgpr_dispatch_id 0
		.amdhsa_user_sgpr_private_segment_size 0
		.amdhsa_wavefront_size32 1
		.amdhsa_uses_dynamic_stack 0
		.amdhsa_enable_private_segment 0
		.amdhsa_system_sgpr_workgroup_id_x 1
		.amdhsa_system_sgpr_workgroup_id_y 1
		.amdhsa_system_sgpr_workgroup_id_z 0
		.amdhsa_system_sgpr_workgroup_info 0
		.amdhsa_system_vgpr_workitem_id 1
		.amdhsa_next_free_vgpr 114
		.amdhsa_next_free_sgpr 36
		.amdhsa_reserve_vcc 1
		.amdhsa_float_round_mode_32 0
		.amdhsa_float_round_mode_16_64 0
		.amdhsa_float_denorm_mode_32 3
		.amdhsa_float_denorm_mode_16_64 3
		.amdhsa_fp16_overflow 0
		.amdhsa_workgroup_processor_mode 1
		.amdhsa_memory_ordered 1
		.amdhsa_forward_progress 1
		.amdhsa_inst_pref_size 84
		.amdhsa_round_robin_scheduling 0
		.amdhsa_exception_fp_ieee_invalid_op 0
		.amdhsa_exception_fp_denorm_src 0
		.amdhsa_exception_fp_ieee_div_zero 0
		.amdhsa_exception_fp_ieee_overflow 0
		.amdhsa_exception_fp_ieee_underflow 0
		.amdhsa_exception_fp_ieee_inexact 0
		.amdhsa_exception_int_div_zero 0
	.end_amdhsa_kernel
	.section	.text._ZN2at6native12_GLOBAL__N_135GammaBetaBackwardCUDAKernelTemplateIddLj32ELj1ELj8ELb1ELb0ELb0EEEvllPKT_S5_PKT0_S8_PS3_S9_,"axG",@progbits,_ZN2at6native12_GLOBAL__N_135GammaBetaBackwardCUDAKernelTemplateIddLj32ELj1ELj8ELb1ELb0ELb0EEEvllPKT_S5_PKT0_S8_PS3_S9_,comdat
.Lfunc_end40:
	.size	_ZN2at6native12_GLOBAL__N_135GammaBetaBackwardCUDAKernelTemplateIddLj32ELj1ELj8ELb1ELb0ELb0EEEvllPKT_S5_PKT0_S8_PS3_S9_, .Lfunc_end40-_ZN2at6native12_GLOBAL__N_135GammaBetaBackwardCUDAKernelTemplateIddLj32ELj1ELj8ELb1ELb0ELb0EEEvllPKT_S5_PKT0_S8_PS3_S9_
                                        ; -- End function
	.set _ZN2at6native12_GLOBAL__N_135GammaBetaBackwardCUDAKernelTemplateIddLj32ELj1ELj8ELb1ELb0ELb0EEEvllPKT_S5_PKT0_S8_PS3_S9_.num_vgpr, 114
	.set _ZN2at6native12_GLOBAL__N_135GammaBetaBackwardCUDAKernelTemplateIddLj32ELj1ELj8ELb1ELb0ELb0EEEvllPKT_S5_PKT0_S8_PS3_S9_.num_agpr, 0
	.set _ZN2at6native12_GLOBAL__N_135GammaBetaBackwardCUDAKernelTemplateIddLj32ELj1ELj8ELb1ELb0ELb0EEEvllPKT_S5_PKT0_S8_PS3_S9_.numbered_sgpr, 36
	.set _ZN2at6native12_GLOBAL__N_135GammaBetaBackwardCUDAKernelTemplateIddLj32ELj1ELj8ELb1ELb0ELb0EEEvllPKT_S5_PKT0_S8_PS3_S9_.num_named_barrier, 0
	.set _ZN2at6native12_GLOBAL__N_135GammaBetaBackwardCUDAKernelTemplateIddLj32ELj1ELj8ELb1ELb0ELb0EEEvllPKT_S5_PKT0_S8_PS3_S9_.private_seg_size, 0
	.set _ZN2at6native12_GLOBAL__N_135GammaBetaBackwardCUDAKernelTemplateIddLj32ELj1ELj8ELb1ELb0ELb0EEEvllPKT_S5_PKT0_S8_PS3_S9_.uses_vcc, 1
	.set _ZN2at6native12_GLOBAL__N_135GammaBetaBackwardCUDAKernelTemplateIddLj32ELj1ELj8ELb1ELb0ELb0EEEvllPKT_S5_PKT0_S8_PS3_S9_.uses_flat_scratch, 0
	.set _ZN2at6native12_GLOBAL__N_135GammaBetaBackwardCUDAKernelTemplateIddLj32ELj1ELj8ELb1ELb0ELb0EEEvllPKT_S5_PKT0_S8_PS3_S9_.has_dyn_sized_stack, 0
	.set _ZN2at6native12_GLOBAL__N_135GammaBetaBackwardCUDAKernelTemplateIddLj32ELj1ELj8ELb1ELb0ELb0EEEvllPKT_S5_PKT0_S8_PS3_S9_.has_recursion, 0
	.set _ZN2at6native12_GLOBAL__N_135GammaBetaBackwardCUDAKernelTemplateIddLj32ELj1ELj8ELb1ELb0ELb0EEEvllPKT_S5_PKT0_S8_PS3_S9_.has_indirect_call, 0
	.section	.AMDGPU.csdata,"",@progbits
; Kernel info:
; codeLenInByte = 10708
; TotalNumSgprs: 38
; NumVgprs: 114
; ScratchSize: 0
; MemoryBound: 1
; FloatMode: 240
; IeeeMode: 1
; LDSByteSize: 0 bytes/workgroup (compile time only)
; SGPRBlocks: 0
; VGPRBlocks: 14
; NumSGPRsForWavesPerEU: 38
; NumVGPRsForWavesPerEU: 114
; Occupancy: 12
; WaveLimiterHint : 0
; COMPUTE_PGM_RSRC2:SCRATCH_EN: 0
; COMPUTE_PGM_RSRC2:USER_SGPR: 2
; COMPUTE_PGM_RSRC2:TRAP_HANDLER: 0
; COMPUTE_PGM_RSRC2:TGID_X_EN: 1
; COMPUTE_PGM_RSRC2:TGID_Y_EN: 1
; COMPUTE_PGM_RSRC2:TGID_Z_EN: 0
; COMPUTE_PGM_RSRC2:TIDIG_COMP_CNT: 1
	.section	.text._ZN2at6native12_GLOBAL__N_135GammaBetaBackwardCUDAKernelTemplateIddLj32ELj8ELj64ELb0ELb1ELb0EEEvllPKT_S5_PKT0_S8_PS3_S9_,"axG",@progbits,_ZN2at6native12_GLOBAL__N_135GammaBetaBackwardCUDAKernelTemplateIddLj32ELj8ELj64ELb0ELb1ELb0EEEvllPKT_S5_PKT0_S8_PS3_S9_,comdat
	.globl	_ZN2at6native12_GLOBAL__N_135GammaBetaBackwardCUDAKernelTemplateIddLj32ELj8ELj64ELb0ELb1ELb0EEEvllPKT_S5_PKT0_S8_PS3_S9_ ; -- Begin function _ZN2at6native12_GLOBAL__N_135GammaBetaBackwardCUDAKernelTemplateIddLj32ELj8ELj64ELb0ELb1ELb0EEEvllPKT_S5_PKT0_S8_PS3_S9_
	.p2align	8
	.type	_ZN2at6native12_GLOBAL__N_135GammaBetaBackwardCUDAKernelTemplateIddLj32ELj8ELj64ELb0ELb1ELb0EEEvllPKT_S5_PKT0_S8_PS3_S9_,@function
_ZN2at6native12_GLOBAL__N_135GammaBetaBackwardCUDAKernelTemplateIddLj32ELj8ELj64ELb0ELb1ELb0EEEvllPKT_S5_PKT0_S8_PS3_S9_: ; @_ZN2at6native12_GLOBAL__N_135GammaBetaBackwardCUDAKernelTemplateIddLj32ELj8ELj64ELb0ELb1ELb0EEEvllPKT_S5_PKT0_S8_PS3_S9_
; %bb.0:
	s_load_b128 s[16:19], s[0:1], 0x0
	s_lshl_b32 s2, ttmp7, 6
	s_mov_b32 s3, 0
	v_bfe_u32 v15, v0, 10, 10
	s_wait_kmcnt 0x0
	v_cmp_gt_i64_e64 s4, s[16:17], s[2:3]
	s_and_b32 vcc_lo, exec_lo, s4
	s_cbranch_vccnz .LBB41_2
; %bb.1:
	v_bfe_u32 v1, v0, 10, 10
	s_mov_b32 s4, s3
	s_branch .LBB41_3
.LBB41_2:
	s_mov_b32 s4, -1
                                        ; implicit-def: $vgpr1
.LBB41_3:
	s_load_b128 s[12:15], s[0:1], 0x30
	v_mov_b32_e32 v8, 0
	v_dual_mov_b32 v9, 0 :: v_dual_mov_b32 v6, 0
	v_dual_mov_b32 v7, 0 :: v_dual_and_b32 v14, 0x3ff, v0
	s_and_not1_b32 vcc_lo, exec_lo, s4
	s_cbranch_vccnz .LBB41_11
; %bb.4:
	s_load_b32 s20, s[0:1], 0x4c
	v_dual_mov_b32 v1, 0 :: v_dual_lshlrev_b32 v0, 3, v15
	s_clause 0x1
	s_load_b32 s22, s[0:1], 0x44
	s_load_b256 s[4:11], s[0:1], 0x10
	s_mov_b32 s21, 0
	v_dual_mov_b32 v16, 8 :: v_dual_mov_b32 v17, 4
	v_add_co_u32 v2, s0, v0, s2
	s_delay_alu instid0(VALU_DEP_1) | instskip(SKIP_1) | instid1(VALU_DEP_3)
	v_add_co_ci_u32_e64 v3, null, 0, 0, s0
	v_lshl_add_u32 v0, ttmp9, 5, v14
	v_mul_lo_u32 v8, s19, v2
	v_mad_co_u64_u32 v[4:5], null, s18, v2, 0
	s_delay_alu instid0(VALU_DEP_4)
	v_mul_lo_u32 v9, s18, v3
	v_dual_mov_b32 v18, 12 :: v_dual_mov_b32 v19, 16
	v_dual_mov_b32 v20, 20 :: v_dual_mov_b32 v21, 24
	s_wait_kmcnt 0x0
	s_and_b32 s0, s20, 0xffff
	s_lshl_b32 s20, s22, 6
	s_wait_alu 0xfffe
	v_mad_u32_u24 v6, v15, s0, v14
	v_add3_u32 v5, v5, v9, v8
	s_mul_u64 s[24:25], s[18:19], s[20:21]
	s_lshl_b64 s[22:23], s[20:21], 3
	s_lshl_b64 s[24:25], s[24:25], 3
	v_and_b32_e32 v10, 31, v6
	v_lshlrev_b64_e32 v[6:7], 3, v[0:1]
	v_lshlrev_b64_e32 v[8:9], 3, v[4:5]
	v_mov_b32_e32 v0, 28
	s_lshl_b64 s[18:19], s[18:19], 3
	v_add_co_u32 v2, vcc_lo, v2, v10
	s_delay_alu instid0(VALU_DEP_1) | instskip(NEXT) | instid1(VALU_DEP_4)
	v_add_co_ci_u32_e64 v3, null, 0, v3, vcc_lo
	v_add_co_u32 v22, vcc_lo, v8, v6
	s_wait_alu 0xfffd
	v_add_co_ci_u32_e64 v23, null, v9, v7, vcc_lo
	s_delay_alu instid0(VALU_DEP_3)
	v_lshlrev_b64_e32 v[4:5], 3, v[2:3]
	v_mov_b32_e32 v6, 0
	v_dual_mov_b32 v8, 0 :: v_dual_mov_b32 v7, 0
	v_cmp_gt_u32_e64 s0, 8, v10
	v_mov_b32_e32 v9, 0
	s_branch .LBB41_7
.LBB41_5:                               ;   in Loop: Header=BB41_7 Depth=1
	s_or_b32 exec_lo, exec_lo, s26
.LBB41_6:                               ;   in Loop: Header=BB41_7 Depth=1
	s_wait_alu 0xfffe
	s_or_b32 exec_lo, exec_lo, s1
	v_add_co_u32 v24, vcc_lo, s6, v22
	s_wait_alu 0xfffd
	v_add_co_ci_u32_e64 v25, null, s7, v23, vcc_lo
	s_wait_loadcnt 0x1
	ds_bpermute_b32 v56, v1, v12
	ds_bpermute_b32 v57, v1, v13
	s_wait_loadcnt 0x0
	ds_bpermute_b32 v58, v1, v10
	global_load_b64 v[26:27], v[24:25], off
	v_add_co_u32 v24, vcc_lo, v24, s18
	s_wait_alu 0xfffd
	v_add_co_ci_u32_e64 v25, null, s19, v25, vcc_lo
	v_add_co_u32 v28, vcc_lo, s4, v22
	s_wait_alu 0xfffd
	v_add_co_ci_u32_e64 v29, null, s5, v23, vcc_lo
	global_load_b64 v[30:31], v[24:25], off
	global_load_b64 v[32:33], v[28:29], off
	v_add_co_u32 v24, vcc_lo, v24, s18
	s_wait_alu 0xfffd
	v_add_co_ci_u32_e64 v25, null, s19, v25, vcc_lo
	v_add_co_u32 v28, vcc_lo, v28, s18
	s_wait_alu 0xfffd
	v_add_co_ci_u32_e64 v29, null, s19, v29, vcc_lo
	global_load_b64 v[34:35], v[24:25], off
	;; [unrolled: 8-line block ×7, first 2 shown]
	global_load_b64 v[54:55], v[28:29], off
	v_add_co_u32 v28, vcc_lo, v28, s18
	s_wait_alu 0xfffd
	v_add_co_ci_u32_e64 v29, null, s19, v29, vcc_lo
	ds_bpermute_b32 v59, v1, v11
	v_add_co_u32 v4, vcc_lo, v4, s22
	global_load_b64 v[28:29], v[28:29], off
	s_add_nc_u64 s[2:3], s[2:3], s[20:21]
	s_wait_alu 0xfffd
	v_add_co_ci_u32_e64 v5, null, s23, v5, vcc_lo
	v_add_co_u32 v2, vcc_lo, v2, s20
	s_wait_alu 0xfffe
	v_cmp_lt_i64_e64 s1, s[2:3], s[16:17]
	s_wait_alu 0xfffd
	v_add_co_ci_u32_e64 v3, null, 0, v3, vcc_lo
	v_add_co_u32 v22, vcc_lo, v22, s24
	s_wait_alu 0xfffd
	v_add_co_ci_u32_e64 v23, null, s25, v23, vcc_lo
	s_and_b32 vcc_lo, exec_lo, s1
	s_wait_loadcnt_dscnt 0xf02
	v_add_f64_e64 v[26:27], v[26:27], -v[56:57]
	ds_bpermute_b32 v56, v17, v12
	ds_bpermute_b32 v57, v17, v13
	s_wait_loadcnt 0xd
	v_add_f64_e32 v[8:9], v[8:9], v[32:33]
	s_wait_dscnt 0x0
	v_add_f64_e64 v[30:31], v[30:31], -v[56:57]
	ds_bpermute_b32 v56, v16, v12
	ds_bpermute_b32 v57, v16, v13
	v_mul_f64_e32 v[26:27], v[32:33], v[26:27]
	ds_bpermute_b32 v32, v17, v10
	ds_bpermute_b32 v33, v17, v11
	s_wait_loadcnt_dscnt 0xc02
	v_add_f64_e64 v[34:35], v[34:35], -v[56:57]
	s_wait_loadcnt 0xb
	v_add_f64_e32 v[8:9], v[8:9], v[36:37]
	v_mul_f64_e32 v[30:31], v[36:37], v[30:31]
	v_fma_f64 v[6:7], v[26:27], v[58:59], v[6:7]
	ds_bpermute_b32 v26, v18, v12
	ds_bpermute_b32 v27, v18, v13
	s_wait_loadcnt 0x9
	v_mul_f64_e32 v[34:35], v[40:41], v[34:35]
	v_add_f64_e32 v[8:9], v[8:9], v[40:41]
	s_wait_dscnt 0x0
	v_add_f64_e64 v[26:27], v[38:39], -v[26:27]
	v_fma_f64 v[6:7], v[30:31], v[32:33], v[6:7]
	ds_bpermute_b32 v30, v19, v12
	ds_bpermute_b32 v31, v19, v13
	;; [unrolled: 1-line block ×4, first 2 shown]
	s_wait_loadcnt 0x7
	v_add_f64_e32 v[8:9], v[8:9], v[44:45]
	s_wait_dscnt 0x2
	v_add_f64_e64 v[30:31], v[42:43], -v[30:31]
	v_mul_f64_e32 v[26:27], v[44:45], v[26:27]
	s_wait_dscnt 0x0
	v_fma_f64 v[6:7], v[34:35], v[32:33], v[6:7]
	ds_bpermute_b32 v32, v20, v12
	ds_bpermute_b32 v33, v20, v13
	;; [unrolled: 1-line block ×4, first 2 shown]
	s_wait_loadcnt 0x5
	v_add_f64_e32 v[8:9], v[8:9], v[48:49]
	s_wait_dscnt 0x2
	v_add_f64_e64 v[32:33], v[46:47], -v[32:33]
	v_mul_f64_e32 v[30:31], v[48:49], v[30:31]
	s_wait_dscnt 0x0
	v_fma_f64 v[6:7], v[26:27], v[34:35], v[6:7]
	ds_bpermute_b32 v26, v21, v12
	ds_bpermute_b32 v27, v21, v13
	;; [unrolled: 1-line block ×6, first 2 shown]
	s_wait_loadcnt 0x3
	v_add_f64_e32 v[8:9], v[8:9], v[52:53]
	s_wait_dscnt 0x4
	v_add_f64_e64 v[26:27], v[50:51], -v[26:27]
	v_mul_f64_e32 v[32:33], v[52:53], v[32:33]
	s_wait_loadcnt_dscnt 0x200
	v_add_f64_e64 v[12:13], v[24:25], -v[12:13]
	v_fma_f64 v[6:7], v[30:31], v[34:35], v[6:7]
	ds_bpermute_b32 v30, v20, v10
	ds_bpermute_b32 v31, v20, v11
	s_wait_loadcnt 0x1
	v_add_f64_e32 v[8:9], v[8:9], v[54:55]
	v_mul_f64_e32 v[24:25], v[54:55], v[26:27]
	ds_bpermute_b32 v26, v21, v10
	ds_bpermute_b32 v27, v21, v11
	;; [unrolled: 1-line block ×3, first 2 shown]
	s_wait_loadcnt 0x0
	v_mul_f64_e32 v[12:13], v[28:29], v[12:13]
	ds_bpermute_b32 v11, v0, v11
	s_wait_dscnt 0x4
	v_fma_f64 v[6:7], v[32:33], v[30:31], v[6:7]
	v_add_f64_e32 v[8:9], v[8:9], v[28:29]
	s_wait_dscnt 0x2
	s_delay_alu instid0(VALU_DEP_2) | instskip(SKIP_1) | instid1(VALU_DEP_1)
	v_fma_f64 v[6:7], v[24:25], v[26:27], v[6:7]
	s_wait_dscnt 0x0
	v_fma_f64 v[6:7], v[12:13], v[10:11], v[6:7]
	s_wait_alu 0xfffe
	s_cbranch_vccz .LBB41_10
.LBB41_7:                               ; =>This Inner Loop Header: Depth=1
	v_mov_b32_e32 v10, 0
	v_dual_mov_b32 v11, 0 :: v_dual_mov_b32 v12, 0
	v_mov_b32_e32 v13, 0
	s_and_saveexec_b32 s1, s0
	s_cbranch_execz .LBB41_6
; %bb.8:                                ;   in Loop: Header=BB41_7 Depth=1
	v_mov_b32_e32 v12, 0
	v_dual_mov_b32 v13, 0 :: v_dual_mov_b32 v10, 0
	v_mov_b32_e32 v11, 0
	s_mov_b32 s26, exec_lo
	v_cmpx_gt_i64_e64 s[16:17], v[2:3]
	s_cbranch_execz .LBB41_5
; %bb.9:                                ;   in Loop: Header=BB41_7 Depth=1
	v_add_co_u32 v10, vcc_lo, s8, v4
	s_wait_alu 0xfffd
	v_add_co_ci_u32_e64 v11, null, s9, v5, vcc_lo
	v_add_co_u32 v24, vcc_lo, s10, v4
	s_wait_alu 0xfffd
	v_add_co_ci_u32_e64 v25, null, s11, v5, vcc_lo
	global_load_b64 v[12:13], v[10:11], off
	global_load_b64 v[10:11], v[24:25], off
	s_branch .LBB41_5
.LBB41_10:
	v_mov_b32_e32 v1, v15
.LBB41_11:
	s_delay_alu instid0(VALU_DEP_1) | instskip(SKIP_2) | instid1(VALU_DEP_2)
	v_mad_u32_u24 v0, v1, 33, v14
	v_lshrrev_b32_e32 v2, 5, v14
	s_mov_b32 s0, exec_lo
	v_lshl_add_u32 v0, v0, 3, 0
	s_delay_alu instid0(VALU_DEP_2)
	v_add_nc_u32_e32 v10, v2, v1
	ds_store_b64 v0, v[6:7]
	ds_store_b64 v0, v[8:9] offset:2112
	s_wait_dscnt 0x0
	s_barrier_signal -1
	s_barrier_wait -1
	global_inv scope:SCOPE_SE
	v_cmpx_gt_u32_e32 32, v10
	s_cbranch_execz .LBB41_43
; %bb.12:
	v_and_b32_e32 v0, 31, v14
                                        ; implicit-def: $vgpr2_vgpr3
	s_delay_alu instid0(VALU_DEP_1)
	v_cmp_gt_u32_e64 s0, 8, v0
	v_mul_u32_u24_e32 v6, 33, v0
                                        ; implicit-def: $vgpr0_vgpr1
	s_wait_alu 0xfffe
	s_and_saveexec_b32 s1, s0
	s_cbranch_execz .LBB41_14
; %bb.13:
	s_delay_alu instid0(VALU_DEP_1) | instskip(NEXT) | instid1(VALU_DEP_1)
	v_add_nc_u32_e32 v0, v10, v6
	v_lshl_add_u32 v0, v0, 3, 0
	ds_load_b64 v[2:3], v0
	ds_load_b64 v[0:1], v0 offset:2112
.LBB41_14:
	s_wait_alu 0xfffe
	s_or_b32 exec_lo, exec_lo, s1
	v_mbcnt_lo_u32_b32 v13, -1, 0
	s_mov_b32 s2, ttmp9
	s_mov_b32 s3, 0
	v_cmp_eq_u32_e64 s1, 0, v14
	s_wait_alu 0xfffe
	s_lshl_b64 s[2:3], s[2:3], 5
	v_xor_b32_e32 v4, 4, v13
	s_wait_kmcnt 0x0
	s_cmp_lg_u64 s[12:13], 0
	s_cselect_b32 s5, -1, 0
	s_cmp_lg_u64 s[14:15], 0
	v_cmp_gt_i32_e32 vcc_lo, 32, v4
	s_cselect_b32 s4, -1, 0
	s_wait_alu 0xfffd
	v_cndmask_b32_e32 v4, v13, v4, vcc_lo
	s_delay_alu instid0(VALU_DEP_1)
	v_lshlrev_b32_e32 v7, 2, v4
	s_wait_dscnt 0x1
	ds_bpermute_b32 v4, v7, v2
	ds_bpermute_b32 v5, v7, v3
	s_wait_dscnt 0x2
	ds_bpermute_b32 v8, v7, v0
	ds_bpermute_b32 v9, v7, v1
	s_wait_dscnt 0x2
	v_add_f64_e32 v[2:3], v[2:3], v[4:5]
	v_xor_b32_e32 v4, 2, v13
	s_wait_dscnt 0x0
	v_add_f64_e32 v[0:1], v[0:1], v[8:9]
	s_delay_alu instid0(VALU_DEP_2) | instskip(SKIP_2) | instid1(VALU_DEP_1)
	v_cmp_gt_i32_e32 vcc_lo, 32, v4
	s_wait_alu 0xfffd
	v_cndmask_b32_e32 v4, v13, v4, vcc_lo
	v_lshlrev_b32_e32 v8, 2, v4
	ds_bpermute_b32 v4, v8, v2
	ds_bpermute_b32 v5, v8, v3
	;; [unrolled: 1-line block ×4, first 2 shown]
	s_wait_dscnt 0x2
	v_add_f64_e32 v[2:3], v[2:3], v[4:5]
	s_wait_dscnt 0x0
	v_add_f64_e32 v[4:5], v[0:1], v[11:12]
	v_xor_b32_e32 v0, 1, v13
	s_delay_alu instid0(VALU_DEP_1) | instskip(SKIP_2) | instid1(VALU_DEP_1)
	v_cmp_gt_i32_e32 vcc_lo, 32, v0
	s_wait_alu 0xfffd
	v_cndmask_b32_e32 v0, v13, v0, vcc_lo
	v_lshlrev_b32_e32 v9, 2, v0
	ds_bpermute_b32 v0, v9, v2
	ds_bpermute_b32 v1, v9, v3
	;; [unrolled: 1-line block ×4, first 2 shown]
	s_wait_dscnt 0x2
	v_add_f64_e32 v[0:1], v[2:3], v[0:1]
	s_wait_dscnt 0x0
	v_add_f64_e32 v[2:3], v[4:5], v[11:12]
	s_and_saveexec_b32 s6, s1
	s_cbranch_execz .LBB41_19
; %bb.15:
	s_wait_alu 0xfffe
	v_mov_b32_e32 v5, s3
	v_or_b32_e32 v4, s2, v10
	s_and_not1_b32 vcc_lo, exec_lo, s5
	s_delay_alu instid0(VALU_DEP_1)
	v_lshlrev_b64_e32 v[4:5], 3, v[4:5]
	s_wait_alu 0xfffe
	s_cbranch_vccnz .LBB41_17
; %bb.16:
	s_delay_alu instid0(VALU_DEP_1) | instskip(SKIP_1) | instid1(VALU_DEP_2)
	v_add_co_u32 v11, vcc_lo, s12, v4
	s_wait_alu 0xfffd
	v_add_co_ci_u32_e64 v12, null, s13, v5, vcc_lo
	global_store_b64 v[11:12], v[0:1], off
.LBB41_17:
	s_and_not1_b32 vcc_lo, exec_lo, s4
	s_wait_alu 0xfffe
	s_cbranch_vccnz .LBB41_19
; %bb.18:
	v_add_co_u32 v4, vcc_lo, s14, v4
	s_wait_alu 0xfffd
	v_add_co_ci_u32_e64 v5, null, s15, v5, vcc_lo
	global_store_b64 v[4:5], v[2:3], off
.LBB41_19:
	s_wait_alu 0xfffe
	s_or_b32 exec_lo, exec_lo, s6
	v_cmp_gt_u32_e32 vcc_lo, 24, v10
	s_and_b32 exec_lo, exec_lo, vcc_lo
	s_cbranch_execz .LBB41_43
; %bb.20:
	s_and_saveexec_b32 s6, s0
	s_cbranch_execz .LBB41_22
; %bb.21:
	v_add_nc_u32_e32 v0, v10, v6
	s_delay_alu instid0(VALU_DEP_1)
	v_lshl_add_u32 v2, v0, 3, 0
	ds_load_b64 v[0:1], v2 offset:64
	ds_load_b64 v[2:3], v2 offset:2176
.LBB41_22:
	s_wait_alu 0xfffe
	s_or_b32 exec_lo, exec_lo, s6
	s_wait_dscnt 0x1
	ds_bpermute_b32 v4, v7, v0
	ds_bpermute_b32 v5, v7, v1
	s_wait_dscnt 0x2
	ds_bpermute_b32 v11, v7, v2
	ds_bpermute_b32 v12, v7, v3
	s_wait_dscnt 0x2
	v_add_f64_e32 v[0:1], v[0:1], v[4:5]
	s_wait_dscnt 0x0
	v_add_f64_e32 v[2:3], v[2:3], v[11:12]
	ds_bpermute_b32 v4, v8, v0
	ds_bpermute_b32 v5, v8, v1
	;; [unrolled: 1-line block ×4, first 2 shown]
	s_wait_dscnt 0x2
	v_add_f64_e32 v[0:1], v[0:1], v[4:5]
	s_wait_dscnt 0x0
	v_add_f64_e32 v[2:3], v[2:3], v[11:12]
	ds_bpermute_b32 v4, v9, v0
	ds_bpermute_b32 v5, v9, v1
	;; [unrolled: 1-line block ×4, first 2 shown]
	s_wait_dscnt 0x2
	v_add_f64_e32 v[0:1], v[0:1], v[4:5]
	s_wait_dscnt 0x0
	v_add_f64_e32 v[2:3], v[2:3], v[11:12]
	s_and_saveexec_b32 s6, s1
	s_cbranch_execz .LBB41_27
; %bb.23:
	s_and_not1_b32 vcc_lo, exec_lo, s5
	s_wait_alu 0xfffe
	s_cbranch_vccnz .LBB41_25
; %bb.24:
	v_add_co_u32 v4, s7, s2, v10
	s_wait_alu 0xf1ff
	v_add_co_ci_u32_e64 v5, null, s3, 0, s7
	s_delay_alu instid0(VALU_DEP_1) | instskip(NEXT) | instid1(VALU_DEP_1)
	v_lshlrev_b64_e32 v[4:5], 3, v[4:5]
	v_add_co_u32 v4, vcc_lo, s12, v4
	s_wait_alu 0xfffd
	s_delay_alu instid0(VALU_DEP_2)
	v_add_co_ci_u32_e64 v5, null, s13, v5, vcc_lo
	global_store_b64 v[4:5], v[0:1], off offset:64
.LBB41_25:
	s_and_not1_b32 vcc_lo, exec_lo, s4
	s_wait_alu 0xfffe
	s_cbranch_vccnz .LBB41_27
; %bb.26:
	v_add_co_u32 v4, s7, s2, v10
	s_wait_alu 0xf1ff
	v_add_co_ci_u32_e64 v5, null, s3, 0, s7
	s_delay_alu instid0(VALU_DEP_1) | instskip(NEXT) | instid1(VALU_DEP_1)
	v_lshlrev_b64_e32 v[4:5], 3, v[4:5]
	v_add_co_u32 v4, vcc_lo, s14, v4
	s_wait_alu 0xfffd
	s_delay_alu instid0(VALU_DEP_2)
	v_add_co_ci_u32_e64 v5, null, s15, v5, vcc_lo
	global_store_b64 v[4:5], v[2:3], off offset:64
.LBB41_27:
	s_wait_alu 0xfffe
	s_or_b32 exec_lo, exec_lo, s6
	v_cmp_gt_u32_e32 vcc_lo, 16, v10
	s_and_b32 exec_lo, exec_lo, vcc_lo
	s_cbranch_execz .LBB41_43
; %bb.28:
	s_and_saveexec_b32 s6, s0
	s_cbranch_execz .LBB41_30
; %bb.29:
	v_add_nc_u32_e32 v0, v10, v6
	s_delay_alu instid0(VALU_DEP_1)
	v_lshl_add_u32 v2, v0, 3, 0
	ds_load_b64 v[0:1], v2 offset:128
	ds_load_b64 v[2:3], v2 offset:2240
.LBB41_30:
	s_wait_alu 0xfffe
	s_or_b32 exec_lo, exec_lo, s6
	s_wait_dscnt 0x1
	ds_bpermute_b32 v4, v7, v0
	ds_bpermute_b32 v5, v7, v1
	s_wait_dscnt 0x2
	ds_bpermute_b32 v11, v7, v2
	ds_bpermute_b32 v12, v7, v3
	s_wait_dscnt 0x2
	v_add_f64_e32 v[0:1], v[0:1], v[4:5]
	s_wait_dscnt 0x0
	v_add_f64_e32 v[2:3], v[2:3], v[11:12]
	ds_bpermute_b32 v4, v8, v0
	ds_bpermute_b32 v5, v8, v1
	;; [unrolled: 1-line block ×4, first 2 shown]
	s_wait_dscnt 0x2
	v_add_f64_e32 v[0:1], v[0:1], v[4:5]
	s_wait_dscnt 0x0
	v_add_f64_e32 v[2:3], v[2:3], v[11:12]
	ds_bpermute_b32 v4, v9, v0
	ds_bpermute_b32 v5, v9, v1
	;; [unrolled: 1-line block ×4, first 2 shown]
	s_wait_dscnt 0x2
	v_add_f64_e32 v[0:1], v[0:1], v[4:5]
	s_wait_dscnt 0x0
	v_add_f64_e32 v[2:3], v[2:3], v[11:12]
	s_and_saveexec_b32 s6, s1
	s_cbranch_execz .LBB41_35
; %bb.31:
	s_and_not1_b32 vcc_lo, exec_lo, s5
	s_wait_alu 0xfffe
	s_cbranch_vccnz .LBB41_33
; %bb.32:
	v_add_co_u32 v4, s7, s2, v10
	s_wait_alu 0xf1ff
	v_add_co_ci_u32_e64 v5, null, s3, 0, s7
	s_delay_alu instid0(VALU_DEP_1) | instskip(NEXT) | instid1(VALU_DEP_1)
	v_lshlrev_b64_e32 v[4:5], 3, v[4:5]
	v_add_co_u32 v4, vcc_lo, s12, v4
	s_wait_alu 0xfffd
	s_delay_alu instid0(VALU_DEP_2)
	v_add_co_ci_u32_e64 v5, null, s13, v5, vcc_lo
	global_store_b64 v[4:5], v[0:1], off offset:128
.LBB41_33:
	s_and_not1_b32 vcc_lo, exec_lo, s4
	s_wait_alu 0xfffe
	s_cbranch_vccnz .LBB41_35
; %bb.34:
	v_add_co_u32 v4, s7, s2, v10
	s_wait_alu 0xf1ff
	v_add_co_ci_u32_e64 v5, null, s3, 0, s7
	s_delay_alu instid0(VALU_DEP_1) | instskip(NEXT) | instid1(VALU_DEP_1)
	v_lshlrev_b64_e32 v[4:5], 3, v[4:5]
	v_add_co_u32 v4, vcc_lo, s14, v4
	s_wait_alu 0xfffd
	s_delay_alu instid0(VALU_DEP_2)
	v_add_co_ci_u32_e64 v5, null, s15, v5, vcc_lo
	global_store_b64 v[4:5], v[2:3], off offset:128
.LBB41_35:
	s_wait_alu 0xfffe
	s_or_b32 exec_lo, exec_lo, s6
	v_cmp_gt_u32_e32 vcc_lo, 8, v10
	s_and_b32 exec_lo, exec_lo, vcc_lo
	s_cbranch_execz .LBB41_43
; %bb.36:
	s_and_saveexec_b32 s6, s0
	s_cbranch_execz .LBB41_38
; %bb.37:
	v_add_nc_u32_e32 v0, v10, v6
	s_delay_alu instid0(VALU_DEP_1)
	v_lshl_add_u32 v2, v0, 3, 0
	ds_load_b64 v[0:1], v2 offset:192
	ds_load_b64 v[2:3], v2 offset:2304
.LBB41_38:
	s_wait_alu 0xfffe
	s_or_b32 exec_lo, exec_lo, s6
	s_wait_dscnt 0x1
	ds_bpermute_b32 v4, v7, v0
	ds_bpermute_b32 v5, v7, v1
	s_wait_dscnt 0x2
	ds_bpermute_b32 v6, v7, v2
	ds_bpermute_b32 v7, v7, v3
	s_wait_dscnt 0x2
	v_add_f64_e32 v[0:1], v[0:1], v[4:5]
	s_wait_dscnt 0x0
	v_add_f64_e32 v[2:3], v[2:3], v[6:7]
	ds_bpermute_b32 v4, v8, v0
	ds_bpermute_b32 v5, v8, v1
	;; [unrolled: 1-line block ×4, first 2 shown]
	s_wait_dscnt 0x2
	v_add_f64_e32 v[4:5], v[0:1], v[4:5]
	s_wait_dscnt 0x0
	v_add_f64_e32 v[0:1], v[2:3], v[6:7]
	ds_bpermute_b32 v6, v9, v4
	ds_bpermute_b32 v7, v9, v5
	;; [unrolled: 1-line block ×4, first 2 shown]
	s_and_b32 exec_lo, exec_lo, s1
	s_cbranch_execz .LBB41_43
; %bb.39:
	s_and_not1_b32 vcc_lo, exec_lo, s5
	s_wait_alu 0xfffe
	s_cbranch_vccnz .LBB41_41
; %bb.40:
	s_wait_dscnt 0x2
	v_add_f64_e32 v[4:5], v[4:5], v[6:7]
	v_add_co_u32 v6, s0, s2, v10
	s_wait_alu 0xf1ff
	v_add_co_ci_u32_e64 v7, null, s3, 0, s0
	s_delay_alu instid0(VALU_DEP_1) | instskip(NEXT) | instid1(VALU_DEP_1)
	v_lshlrev_b64_e32 v[6:7], 3, v[6:7]
	v_add_co_u32 v6, vcc_lo, s12, v6
	s_wait_alu 0xfffd
	s_delay_alu instid0(VALU_DEP_2)
	v_add_co_ci_u32_e64 v7, null, s13, v7, vcc_lo
	global_store_b64 v[6:7], v[4:5], off offset:192
.LBB41_41:
	s_and_not1_b32 vcc_lo, exec_lo, s4
	s_wait_alu 0xfffe
	s_cbranch_vccnz .LBB41_43
; %bb.42:
	s_wait_dscnt 0x0
	v_add_f64_e32 v[0:1], v[0:1], v[2:3]
	v_add_co_u32 v2, s0, s2, v10
	s_wait_alu 0xf1ff
	v_add_co_ci_u32_e64 v3, null, s3, 0, s0
	s_delay_alu instid0(VALU_DEP_1) | instskip(NEXT) | instid1(VALU_DEP_1)
	v_lshlrev_b64_e32 v[2:3], 3, v[2:3]
	v_add_co_u32 v2, vcc_lo, s14, v2
	s_wait_alu 0xfffd
	s_delay_alu instid0(VALU_DEP_2)
	v_add_co_ci_u32_e64 v3, null, s15, v3, vcc_lo
	global_store_b64 v[2:3], v[0:1], off offset:192
.LBB41_43:
	s_endpgm
	.section	.rodata,"a",@progbits
	.p2align	6, 0x0
	.amdhsa_kernel _ZN2at6native12_GLOBAL__N_135GammaBetaBackwardCUDAKernelTemplateIddLj32ELj8ELj64ELb0ELb1ELb0EEEvllPKT_S5_PKT0_S8_PS3_S9_
		.amdhsa_group_segment_fixed_size 0
		.amdhsa_private_segment_fixed_size 0
		.amdhsa_kernarg_size 320
		.amdhsa_user_sgpr_count 2
		.amdhsa_user_sgpr_dispatch_ptr 0
		.amdhsa_user_sgpr_queue_ptr 0
		.amdhsa_user_sgpr_kernarg_segment_ptr 1
		.amdhsa_user_sgpr_dispatch_id 0
		.amdhsa_user_sgpr_private_segment_size 0
		.amdhsa_wavefront_size32 1
		.amdhsa_uses_dynamic_stack 0
		.amdhsa_enable_private_segment 0
		.amdhsa_system_sgpr_workgroup_id_x 1
		.amdhsa_system_sgpr_workgroup_id_y 1
		.amdhsa_system_sgpr_workgroup_id_z 0
		.amdhsa_system_sgpr_workgroup_info 0
		.amdhsa_system_vgpr_workitem_id 1
		.amdhsa_next_free_vgpr 60
		.amdhsa_next_free_sgpr 27
		.amdhsa_reserve_vcc 1
		.amdhsa_float_round_mode_32 0
		.amdhsa_float_round_mode_16_64 0
		.amdhsa_float_denorm_mode_32 3
		.amdhsa_float_denorm_mode_16_64 3
		.amdhsa_fp16_overflow 0
		.amdhsa_workgroup_processor_mode 1
		.amdhsa_memory_ordered 1
		.amdhsa_forward_progress 1
		.amdhsa_inst_pref_size 27
		.amdhsa_round_robin_scheduling 0
		.amdhsa_exception_fp_ieee_invalid_op 0
		.amdhsa_exception_fp_denorm_src 0
		.amdhsa_exception_fp_ieee_div_zero 0
		.amdhsa_exception_fp_ieee_overflow 0
		.amdhsa_exception_fp_ieee_underflow 0
		.amdhsa_exception_fp_ieee_inexact 0
		.amdhsa_exception_int_div_zero 0
	.end_amdhsa_kernel
	.section	.text._ZN2at6native12_GLOBAL__N_135GammaBetaBackwardCUDAKernelTemplateIddLj32ELj8ELj64ELb0ELb1ELb0EEEvllPKT_S5_PKT0_S8_PS3_S9_,"axG",@progbits,_ZN2at6native12_GLOBAL__N_135GammaBetaBackwardCUDAKernelTemplateIddLj32ELj8ELj64ELb0ELb1ELb0EEEvllPKT_S5_PKT0_S8_PS3_S9_,comdat
.Lfunc_end41:
	.size	_ZN2at6native12_GLOBAL__N_135GammaBetaBackwardCUDAKernelTemplateIddLj32ELj8ELj64ELb0ELb1ELb0EEEvllPKT_S5_PKT0_S8_PS3_S9_, .Lfunc_end41-_ZN2at6native12_GLOBAL__N_135GammaBetaBackwardCUDAKernelTemplateIddLj32ELj8ELj64ELb0ELb1ELb0EEEvllPKT_S5_PKT0_S8_PS3_S9_
                                        ; -- End function
	.set _ZN2at6native12_GLOBAL__N_135GammaBetaBackwardCUDAKernelTemplateIddLj32ELj8ELj64ELb0ELb1ELb0EEEvllPKT_S5_PKT0_S8_PS3_S9_.num_vgpr, 60
	.set _ZN2at6native12_GLOBAL__N_135GammaBetaBackwardCUDAKernelTemplateIddLj32ELj8ELj64ELb0ELb1ELb0EEEvllPKT_S5_PKT0_S8_PS3_S9_.num_agpr, 0
	.set _ZN2at6native12_GLOBAL__N_135GammaBetaBackwardCUDAKernelTemplateIddLj32ELj8ELj64ELb0ELb1ELb0EEEvllPKT_S5_PKT0_S8_PS3_S9_.numbered_sgpr, 27
	.set _ZN2at6native12_GLOBAL__N_135GammaBetaBackwardCUDAKernelTemplateIddLj32ELj8ELj64ELb0ELb1ELb0EEEvllPKT_S5_PKT0_S8_PS3_S9_.num_named_barrier, 0
	.set _ZN2at6native12_GLOBAL__N_135GammaBetaBackwardCUDAKernelTemplateIddLj32ELj8ELj64ELb0ELb1ELb0EEEvllPKT_S5_PKT0_S8_PS3_S9_.private_seg_size, 0
	.set _ZN2at6native12_GLOBAL__N_135GammaBetaBackwardCUDAKernelTemplateIddLj32ELj8ELj64ELb0ELb1ELb0EEEvllPKT_S5_PKT0_S8_PS3_S9_.uses_vcc, 1
	.set _ZN2at6native12_GLOBAL__N_135GammaBetaBackwardCUDAKernelTemplateIddLj32ELj8ELj64ELb0ELb1ELb0EEEvllPKT_S5_PKT0_S8_PS3_S9_.uses_flat_scratch, 0
	.set _ZN2at6native12_GLOBAL__N_135GammaBetaBackwardCUDAKernelTemplateIddLj32ELj8ELj64ELb0ELb1ELb0EEEvllPKT_S5_PKT0_S8_PS3_S9_.has_dyn_sized_stack, 0
	.set _ZN2at6native12_GLOBAL__N_135GammaBetaBackwardCUDAKernelTemplateIddLj32ELj8ELj64ELb0ELb1ELb0EEEvllPKT_S5_PKT0_S8_PS3_S9_.has_recursion, 0
	.set _ZN2at6native12_GLOBAL__N_135GammaBetaBackwardCUDAKernelTemplateIddLj32ELj8ELj64ELb0ELb1ELb0EEEvllPKT_S5_PKT0_S8_PS3_S9_.has_indirect_call, 0
	.section	.AMDGPU.csdata,"",@progbits
; Kernel info:
; codeLenInByte = 3348
; TotalNumSgprs: 29
; NumVgprs: 60
; ScratchSize: 0
; MemoryBound: 0
; FloatMode: 240
; IeeeMode: 1
; LDSByteSize: 0 bytes/workgroup (compile time only)
; SGPRBlocks: 0
; VGPRBlocks: 7
; NumSGPRsForWavesPerEU: 29
; NumVGPRsForWavesPerEU: 60
; Occupancy: 16
; WaveLimiterHint : 0
; COMPUTE_PGM_RSRC2:SCRATCH_EN: 0
; COMPUTE_PGM_RSRC2:USER_SGPR: 2
; COMPUTE_PGM_RSRC2:TRAP_HANDLER: 0
; COMPUTE_PGM_RSRC2:TGID_X_EN: 1
; COMPUTE_PGM_RSRC2:TGID_Y_EN: 1
; COMPUTE_PGM_RSRC2:TGID_Z_EN: 0
; COMPUTE_PGM_RSRC2:TIDIG_COMP_CNT: 1
	.section	.text._ZN2at6native12_GLOBAL__N_135GammaBetaBackwardCUDAKernelTemplateIddLj32ELj8ELj64ELb0ELb0ELb0EEEvllPKT_S5_PKT0_S8_PS3_S9_,"axG",@progbits,_ZN2at6native12_GLOBAL__N_135GammaBetaBackwardCUDAKernelTemplateIddLj32ELj8ELj64ELb0ELb0ELb0EEEvllPKT_S5_PKT0_S8_PS3_S9_,comdat
	.globl	_ZN2at6native12_GLOBAL__N_135GammaBetaBackwardCUDAKernelTemplateIddLj32ELj8ELj64ELb0ELb0ELb0EEEvllPKT_S5_PKT0_S8_PS3_S9_ ; -- Begin function _ZN2at6native12_GLOBAL__N_135GammaBetaBackwardCUDAKernelTemplateIddLj32ELj8ELj64ELb0ELb0ELb0EEEvllPKT_S5_PKT0_S8_PS3_S9_
	.p2align	8
	.type	_ZN2at6native12_GLOBAL__N_135GammaBetaBackwardCUDAKernelTemplateIddLj32ELj8ELj64ELb0ELb0ELb0EEEvllPKT_S5_PKT0_S8_PS3_S9_,@function
_ZN2at6native12_GLOBAL__N_135GammaBetaBackwardCUDAKernelTemplateIddLj32ELj8ELj64ELb0ELb0ELb0EEEvllPKT_S5_PKT0_S8_PS3_S9_: ; @_ZN2at6native12_GLOBAL__N_135GammaBetaBackwardCUDAKernelTemplateIddLj32ELj8ELj64ELb0ELb0ELb0EEEvllPKT_S5_PKT0_S8_PS3_S9_
; %bb.0:
	s_clause 0x1
	s_load_b256 s[4:11], s[0:1], 0x0
	s_load_b128 s[12:15], s[0:1], 0x20
	s_lshl_b32 s30, ttmp9, 5
	s_mov_b32 s17, 0
	s_or_b32 s16, s30, 31
	s_wait_kmcnt 0x0
	v_cmp_le_i64_e64 s2, s[6:7], s[16:17]
	s_lshl_b32 s16, ttmp7, 6
	s_wait_alu 0xfffe
	v_cmp_gt_i64_e64 s31, s[4:5], s[16:17]
	s_and_b32 vcc_lo, exec_lo, s2
	v_cndmask_b32_e64 v1, 0, 1, s31
	s_delay_alu instid0(VALU_DEP_1)
	v_cmp_ne_u32_e64 s2, 1, v1
	s_cbranch_vccz .LBB42_48
; %bb.1:
	v_mov_b32_e32 v36, 0
	v_dual_mov_b32 v37, 0 :: v_dual_mov_b32 v34, 0
	v_mov_b32_e32 v35, 0
	s_and_b32 vcc_lo, exec_lo, s2
	s_cbranch_vccnz .LBB42_49
; %bb.2:
	v_bfe_u32 v44, v0, 10, 10
	v_dual_mov_b32 v1, 0 :: v_dual_and_b32 v46, 0x3ff, v0
	s_load_b32 s3, s[0:1], 0x44
	s_mov_b32 s19, 0
	s_delay_alu instid0(VALU_DEP_2) | instskip(NEXT) | instid1(VALU_DEP_2)
	v_dual_mov_b32 v34, 0 :: v_dual_lshlrev_b32 v45, 3, v44
	v_dual_mov_b32 v3, v1 :: v_dual_add_nc_u32 v2, s30, v46
	s_mov_b32 s23, s19
	s_delay_alu instid0(VALU_DEP_2) | instskip(NEXT) | instid1(VALU_DEP_1)
	v_add_co_u32 v10, s2, v45, s16
	v_add_co_ci_u32_e64 v11, null, 0, 0, s2
	s_delay_alu instid0(VALU_DEP_3) | instskip(NEXT) | instid1(VALU_DEP_3)
	v_cmp_gt_i64_e64 s2, s[6:7], v[2:3]
	v_mul_lo_u32 v6, s7, v10
	v_mad_co_u64_u32 v[4:5], null, s6, v10, 0
	s_delay_alu instid0(VALU_DEP_4) | instskip(SKIP_1) | instid1(VALU_DEP_1)
	v_mul_lo_u32 v7, s6, v11
	v_add_co_u32 v8, vcc_lo, v10, 7
	v_add_co_ci_u32_e64 v9, null, 0, v11, vcc_lo
	v_lshlrev_b64_e32 v[38:39], 3, v[2:3]
	s_delay_alu instid0(VALU_DEP_3)
	v_mul_lo_u32 v12, s7, v8
	s_wait_kmcnt 0x0
	s_lshl_b32 s22, s3, 6
	v_add3_u32 v5, v5, v7, v6
	v_mad_co_u64_u32 v[6:7], null, s6, v8, 0
	v_add_co_u32 v8, vcc_lo, v10, 6
	v_mul_lo_u32 v13, s6, v9
	s_wait_alu 0xfffd
	v_add_co_ci_u32_e64 v9, null, 0, v11, vcc_lo
	v_lshlrev_b64_e32 v[2:3], 3, v[4:5]
	v_mul_lo_u32 v14, s7, v8
	v_dual_mov_b32 v35, 0 :: v_dual_mov_b32 v36, 0
	s_delay_alu instid0(VALU_DEP_4)
	v_mul_lo_u32 v15, s6, v9
	v_mad_co_u64_u32 v[8:9], null, s6, v8, 0
	v_add_co_u32 v47, vcc_lo, s8, v2
	s_wait_alu 0xfffd
	v_add_co_ci_u32_e64 v48, null, s9, v3, vcc_lo
	v_add_co_u32 v49, vcc_lo, s10, v2
	v_add3_u32 v7, v7, v13, v12
	s_wait_alu 0xfffd
	v_add_co_ci_u32_e64 v50, null, s11, v3, vcc_lo
	v_add_co_u32 v12, vcc_lo, v10, 5
	v_add3_u32 v9, v9, v15, v14
	s_wait_alu 0xfffd
	v_add_co_ci_u32_e64 v13, null, 0, v11, vcc_lo
	v_lshlrev_b64_e32 v[2:3], 3, v[6:7]
	v_mul_lo_u32 v14, s7, v12
	v_lshlrev_b64_e32 v[6:7], 3, v[8:9]
	s_delay_alu instid0(VALU_DEP_4)
	v_mul_lo_u32 v13, s6, v13
	v_mad_co_u64_u32 v[8:9], null, s6, v12, 0
	v_add_co_u32 v51, vcc_lo, s8, v2
	s_wait_alu 0xfffd
	v_add_co_ci_u32_e64 v52, null, s9, v3, vcc_lo
	v_add_co_u32 v53, vcc_lo, s10, v2
	s_wait_alu 0xfffd
	v_add_co_ci_u32_e64 v54, null, s11, v3, vcc_lo
	v_add_co_u32 v55, vcc_lo, s8, v6
	v_add3_u32 v9, v9, v13, v14
	s_wait_alu 0xfffd
	v_add_co_ci_u32_e64 v56, null, s9, v7, vcc_lo
	v_add_co_u32 v12, vcc_lo, v10, 4
	v_add_co_u32 v57, s3, s10, v6
	s_wait_alu 0xfffd
	v_add_co_ci_u32_e64 v6, null, 0, v11, vcc_lo
	v_lshlrev_b64_e32 v[2:3], 3, v[8:9]
	v_add_co_u32 v8, vcc_lo, v10, 3
	s_wait_alu 0xfffd
	v_add_co_ci_u32_e64 v9, null, 0, v11, vcc_lo
	s_wait_alu 0xf1ff
	v_add_co_ci_u32_e64 v58, null, s11, v7, s3
	v_mul_lo_u32 v13, s7, v12
	v_mul_lo_u32 v14, s6, v6
	v_mad_co_u64_u32 v[6:7], null, s6, v12, 0
	v_mul_lo_u32 v12, s7, v8
	v_mul_lo_u32 v15, s6, v9
	v_mad_co_u64_u32 v[8:9], null, s6, v8, 0
	v_add_co_u32 v59, vcc_lo, s8, v2
	s_wait_alu 0xfffd
	v_add_co_ci_u32_e64 v60, null, s9, v3, vcc_lo
	v_add3_u32 v7, v7, v14, v13
	v_add_co_u32 v61, vcc_lo, s10, v2
	s_wait_alu 0xfffd
	v_add_co_ci_u32_e64 v62, null, s11, v3, vcc_lo
	v_add_co_u32 v10, vcc_lo, v10, 2
	v_add3_u32 v9, v9, v15, v12
	s_wait_alu 0xfffd
	v_add_co_ci_u32_e64 v11, null, 0, v11, vcc_lo
	v_lshlrev_b64_e32 v[2:3], 3, v[6:7]
	v_mul_lo_u32 v12, s7, v10
	v_lshlrev_b64_e32 v[6:7], 3, v[8:9]
	s_delay_alu instid0(VALU_DEP_4)
	v_mul_lo_u32 v11, s6, v11
	v_mad_co_u64_u32 v[8:9], null, s6, v10, 0
	v_add_co_u32 v63, vcc_lo, s8, v2
	s_wait_alu 0xfffd
	v_add_co_ci_u32_e64 v64, null, s9, v3, vcc_lo
	v_add_co_u32 v65, vcc_lo, s10, v2
	s_wait_alu 0xfffd
	v_add_co_ci_u32_e64 v66, null, s11, v3, vcc_lo
	;; [unrolled: 3-line block ×3, first 2 shown]
	v_add3_u32 v9, v9, v11, v12
	v_add_co_u32 v69, vcc_lo, s10, v6
	s_wait_alu 0xfffd
	v_add_co_ci_u32_e64 v70, null, s11, v7, vcc_lo
	v_add_co_u32 v4, vcc_lo, v4, s6
	s_wait_alu 0xfffd
	v_add_co_ci_u32_e64 v5, null, s7, v5, vcc_lo
	v_lshlrev_b64_e32 v[2:3], 3, v[8:9]
	v_mov_b32_e32 v37, 0
	s_mul_u64 s[24:25], s[6:7], s[22:23]
	s_delay_alu instid0(VALU_DEP_3)
	v_lshlrev_b64_e32 v[4:5], 3, v[4:5]
	s_add_nc_u64 s[20:21], s[0:1], 64
	s_lshl_b64 s[24:25], s[24:25], 3
	v_add_co_u32 v71, vcc_lo, s8, v2
	s_wait_alu 0xfffd
	v_add_co_ci_u32_e64 v72, null, s9, v3, vcc_lo
	v_add_co_u32 v73, vcc_lo, s10, v2
	s_wait_alu 0xfffd
	v_add_co_ci_u32_e64 v74, null, s11, v3, vcc_lo
	;; [unrolled: 3-line block ×4, first 2 shown]
	s_add_nc_u64 s[26:27], s[16:17], 63
	s_mov_b64 s[28:29], s[16:17]
	s_branch .LBB42_5
.LBB42_3:                               ;   in Loop: Header=BB42_5 Depth=1
	s_wait_alu 0xfffe
	s_or_b32 exec_lo, exec_lo, s3
	s_wait_loadcnt 0x1
	ds_bpermute_b32 v79, v1, v40
	ds_bpermute_b32 v80, v1, v41
	s_wait_loadcnt 0x0
	ds_bpermute_b32 v81, v1, v42
	ds_bpermute_b32 v82, v1, v43
	s_wait_dscnt 0x2
	v_add_f64_e64 v[18:19], v[18:19], -v[79:80]
	ds_bpermute_b32 v79, v1, v40 offset:4
	ds_bpermute_b32 v80, v1, v41 offset:4
	s_wait_dscnt 0x0
	v_add_f64_e64 v[20:21], v[20:21], -v[79:80]
	ds_bpermute_b32 v79, v1, v40 offset:8
	ds_bpermute_b32 v80, v1, v41 offset:8
	v_mul_f64_e32 v[18:19], v[2:3], v[18:19]
	v_add_f64_e32 v[2:3], v[36:37], v[2:3]
	ds_bpermute_b32 v36, v1, v42 offset:4
	ds_bpermute_b32 v37, v1, v43 offset:4
	s_wait_dscnt 0x2
	v_add_f64_e64 v[22:23], v[22:23], -v[79:80]
	v_mul_f64_e32 v[20:21], v[4:5], v[20:21]
	v_fma_f64 v[18:19], v[18:19], v[81:82], v[34:35]
	ds_bpermute_b32 v34, v1, v40 offset:12
	ds_bpermute_b32 v35, v1, v41 offset:12
	v_add_f64_e32 v[2:3], v[4:5], v[2:3]
	ds_bpermute_b32 v4, v1, v40 offset:16
	ds_bpermute_b32 v5, v1, v41 offset:16
	v_mul_f64_e32 v[22:23], v[6:7], v[22:23]
	s_wait_dscnt 0x2
	v_add_f64_e64 v[24:25], v[24:25], -v[34:35]
	s_wait_dscnt 0x0
	v_add_f64_e64 v[4:5], v[26:27], -v[4:5]
	v_fma_f64 v[18:19], v[20:21], v[36:37], v[18:19]
	ds_bpermute_b32 v20, v1, v42 offset:8
	ds_bpermute_b32 v21, v1, v43 offset:8
	v_add_f64_e32 v[2:3], v[6:7], v[2:3]
	ds_bpermute_b32 v6, v1, v40 offset:20
	ds_bpermute_b32 v7, v1, v41 offset:20
	v_mul_f64_e32 v[24:25], v[8:9], v[24:25]
	s_wait_dscnt 0x0
	v_add_f64_e64 v[6:7], v[28:29], -v[6:7]
	v_mul_f64_e32 v[4:5], v[10:11], v[4:5]
	v_fma_f64 v[18:19], v[22:23], v[20:21], v[18:19]
	ds_bpermute_b32 v20, v1, v42 offset:12
	ds_bpermute_b32 v21, v1, v43 offset:12
	v_add_f64_e32 v[2:3], v[8:9], v[2:3]
	ds_bpermute_b32 v8, v1, v40 offset:24
	ds_bpermute_b32 v9, v1, v41 offset:24
	s_wait_dscnt 0x0
	v_add_f64_e64 v[8:9], v[30:31], -v[8:9]
	v_mul_f64_e32 v[6:7], v[12:13], v[6:7]
	v_fma_f64 v[18:19], v[24:25], v[20:21], v[18:19]
	ds_bpermute_b32 v20, v1, v42 offset:16
	ds_bpermute_b32 v21, v1, v43 offset:16
	v_add_f64_e32 v[2:3], v[10:11], v[2:3]
	ds_bpermute_b32 v10, v1, v42 offset:20
	ds_bpermute_b32 v11, v1, v43 offset:20
	v_mul_f64_e32 v[8:9], v[14:15], v[8:9]
	s_wait_dscnt 0x2
	v_fma_f64 v[4:5], v[4:5], v[20:21], v[18:19]
	s_wait_dscnt 0x0
	s_delay_alu instid0(VALU_DEP_1)
	v_fma_f64 v[4:5], v[6:7], v[10:11], v[4:5]
	v_add_f64_e32 v[6:7], v[12:13], v[2:3]
	ds_bpermute_b32 v2, v1, v42 offset:24
	ds_bpermute_b32 v3, v1, v43 offset:24
	;; [unrolled: 1-line block ×4, first 2 shown]
	s_wait_dscnt 0x2
	v_fma_f64 v[2:3], v[8:9], v[2:3], v[4:5]
	v_add_f64_e32 v[4:5], v[14:15], v[6:7]
	ds_bpermute_b32 v6, v1, v40 offset:28
	ds_bpermute_b32 v7, v1, v41 offset:28
.LBB42_4:                               ;   in Loop: Header=BB42_5 Depth=1
	s_wait_dscnt 0x0
	v_add_f64_e64 v[6:7], v[32:33], -v[6:7]
	v_add_f64_e32 v[36:37], v[4:5], v[16:17]
	v_add_co_u32 v47, vcc_lo, v47, s24
	s_wait_alu 0xfffd
	v_add_co_ci_u32_e64 v48, null, s25, v48, vcc_lo
	v_add_co_u32 v49, vcc_lo, v49, s24
	s_wait_alu 0xfffd
	v_add_co_ci_u32_e64 v50, null, s25, v50, vcc_lo
	v_add_co_u32 v51, vcc_lo, v51, s24
	s_wait_alu 0xfffd
	v_add_co_ci_u32_e64 v52, null, s25, v52, vcc_lo
	v_add_co_u32 v53, vcc_lo, v53, s24
	s_wait_alu 0xfffd
	v_add_co_ci_u32_e64 v54, null, s25, v54, vcc_lo
	v_add_co_u32 v55, vcc_lo, v55, s24
	s_wait_alu 0xfffd
	v_add_co_ci_u32_e64 v56, null, s25, v56, vcc_lo
	v_add_co_u32 v57, vcc_lo, v57, s24
	s_wait_alu 0xfffd
	v_add_co_ci_u32_e64 v58, null, s25, v58, vcc_lo
	v_add_co_u32 v59, vcc_lo, v59, s24
	s_wait_alu 0xfffd
	v_add_co_ci_u32_e64 v60, null, s25, v60, vcc_lo
	v_add_co_u32 v61, vcc_lo, v61, s24
	s_wait_alu 0xfffd
	v_add_co_ci_u32_e64 v62, null, s25, v62, vcc_lo
	v_add_co_u32 v63, vcc_lo, v63, s24
	s_wait_alu 0xfffd
	v_add_co_ci_u32_e64 v64, null, s25, v64, vcc_lo
	v_mul_f64_e32 v[6:7], v[16:17], v[6:7]
	v_add_co_u32 v65, vcc_lo, v65, s24
	s_wait_alu 0xfffd
	v_add_co_ci_u32_e64 v66, null, s25, v66, vcc_lo
	v_add_co_u32 v67, vcc_lo, v67, s24
	s_wait_alu 0xfffd
	v_add_co_ci_u32_e64 v68, null, s25, v68, vcc_lo
	;; [unrolled: 3-line block ×4, first 2 shown]
	v_add_co_u32 v73, vcc_lo, v73, s24
	s_add_nc_u64 s[28:29], s[28:29], s[22:23]
	s_wait_alu 0xfffd
	v_add_co_ci_u32_e64 v74, null, s25, v74, vcc_lo
	v_add_co_u32 v75, vcc_lo, v75, s24
	s_wait_alu 0xfffe
	v_cmp_lt_i64_e64 s3, s[28:29], s[4:5]
	s_wait_alu 0xfffd
	v_add_co_ci_u32_e64 v76, null, s25, v76, vcc_lo
	v_add_co_u32 v77, vcc_lo, v77, s24
	s_wait_alu 0xfffd
	v_add_co_ci_u32_e64 v78, null, s25, v78, vcc_lo
	s_and_b32 vcc_lo, exec_lo, s3
	s_add_nc_u64 s[26:27], s[26:27], s[22:23]
	v_fma_f64 v[34:35], v[6:7], v[42:43], v[2:3]
	s_wait_alu 0xfffe
	s_cbranch_vccz .LBB42_49
.LBB42_5:                               ; =>This Inner Loop Header: Depth=1
	v_cmp_ge_i64_e64 s3, s[26:27], s[4:5]
	v_add_co_u32 v79, s18, v45, s26
	s_wait_alu 0xf1ff
	v_add_co_ci_u32_e64 v80, null, 0, s27, s18
                                        ; implicit-def: $vgpr2_vgpr3_vgpr4_vgpr5_vgpr6_vgpr7_vgpr8_vgpr9_vgpr10_vgpr11_vgpr12_vgpr13_vgpr14_vgpr15_vgpr16_vgpr17
                                        ; implicit-def: $vgpr42_vgpr43
                                        ; implicit-def: $vgpr18_vgpr19_vgpr20_vgpr21_vgpr22_vgpr23_vgpr24_vgpr25_vgpr26_vgpr27_vgpr28_vgpr29_vgpr30_vgpr31_vgpr32_vgpr33
                                        ; implicit-def: $vgpr6
	s_and_b32 vcc_lo, exec_lo, s3
	s_mov_b32 s3, -1
                                        ; implicit-def: $vgpr4_vgpr5
                                        ; implicit-def: $vgpr2_vgpr3
	s_wait_alu 0xfffe
	s_cbranch_vccz .LBB42_27
; %bb.6:                                ;   in Loop: Header=BB42_5 Depth=1
	s_load_b32 s3, s[20:21], 0xc
	v_mov_b32_e32 v42, 0
	v_mov_b32_e32 v40, 0
	;; [unrolled: 1-line block ×4, first 2 shown]
	s_wait_kmcnt 0x0
	s_and_b32 s3, s3, 0xffff
	s_wait_alu 0xfffe
	v_mad_u32_u24 v2, v44, s3, v46
	s_mov_b32 s3, exec_lo
	s_delay_alu instid0(VALU_DEP_1) | instskip(NEXT) | instid1(VALU_DEP_1)
	v_and_b32_e32 v2, 31, v2
	v_cmpx_gt_u32_e32 8, v2
	s_cbranch_execz .LBB42_10
; %bb.7:                                ;   in Loop: Header=BB42_5 Depth=1
	v_add_co_u32 v2, vcc_lo, v79, v2
	s_wait_alu 0xfffd
	v_add_co_ci_u32_e64 v3, null, 0, v80, vcc_lo
	v_mov_b32_e32 v40, 0
	s_delay_alu instid0(VALU_DEP_3)
	v_add_co_u32 v2, vcc_lo, 0xffffffc1, v2
	v_dual_mov_b32 v41, 0 :: v_dual_mov_b32 v42, 0
	s_wait_alu 0xfffd
	v_add_co_ci_u32_e64 v3, null, -1, v3, vcc_lo
	v_mov_b32_e32 v43, 0
	s_mov_b32 s18, exec_lo
	s_delay_alu instid0(VALU_DEP_2)
	v_cmpx_gt_i64_e64 s[4:5], v[2:3]
	s_cbranch_execz .LBB42_9
; %bb.8:                                ;   in Loop: Header=BB42_5 Depth=1
	v_lshlrev_b64_e32 v[2:3], 3, v[2:3]
	s_delay_alu instid0(VALU_DEP_1) | instskip(SKIP_1) | instid1(VALU_DEP_2)
	v_add_co_u32 v4, vcc_lo, s12, v2
	s_wait_alu 0xfffd
	v_add_co_ci_u32_e64 v5, null, s13, v3, vcc_lo
	v_add_co_u32 v2, vcc_lo, s14, v2
	s_wait_alu 0xfffd
	v_add_co_ci_u32_e64 v3, null, s15, v3, vcc_lo
	global_load_b64 v[40:41], v[4:5], off
	global_load_b64 v[42:43], v[2:3], off
.LBB42_9:                               ;   in Loop: Header=BB42_5 Depth=1
	s_wait_alu 0xfffe
	s_or_b32 exec_lo, exec_lo, s18
.LBB42_10:                              ;   in Loop: Header=BB42_5 Depth=1
	s_wait_alu 0xfffe
	s_or_b32 exec_lo, exec_lo, s3
	v_add_co_u32 v17, vcc_lo, 0xffffffc1, v79
	s_wait_alu 0xfffd
	v_add_co_ci_u32_e64 v18, null, -1, v80, vcc_lo
	v_mov_b32_e32 v16, v1
	v_dual_mov_b32 v2, v1 :: v_dual_mov_b32 v3, v1
	v_dual_mov_b32 v4, v1 :: v_dual_mov_b32 v5, v1
	;; [unrolled: 1-line block ×7, first 2 shown]
	v_cmp_gt_i64_e32 vcc_lo, s[4:5], v[17:18]
	s_delay_alu instid0(VALU_DEP_3) | instskip(NEXT) | instid1(VALU_DEP_3)
	v_dual_mov_b32 v33, v16 :: v_dual_mov_b32 v30, v13
	v_dual_mov_b32 v31, v14 :: v_dual_mov_b32 v32, v15
	;; [unrolled: 1-line block ×8, first 2 shown]
	v_mov_b32_e32 v17, v16
	v_mov_b32_e32 v16, v15
	;; [unrolled: 1-line block ×16, first 2 shown]
	s_and_b32 s18, s2, vcc_lo
	s_wait_alu 0xfffe
	s_and_saveexec_b32 s3, s18
	s_cbranch_execz .LBB42_12
; %bb.11:                               ;   in Loop: Header=BB42_5 Depth=1
	v_add_co_u32 v2, vcc_lo, v47, v38
	s_wait_alu 0xfffd
	v_add_co_ci_u32_e64 v3, null, v48, v39, vcc_lo
	v_add_co_u32 v4, vcc_lo, v49, v38
	s_wait_alu 0xfffd
	v_add_co_ci_u32_e64 v5, null, v50, v39, vcc_lo
	global_load_b64 v[2:3], v[2:3], off
	global_load_b64 v[18:19], v[4:5], off
	v_dual_mov_b32 v4, v1 :: v_dual_mov_b32 v5, v1
	v_dual_mov_b32 v6, v1 :: v_dual_mov_b32 v7, v1
	;; [unrolled: 1-line block ×14, first 2 shown]
.LBB42_12:                              ;   in Loop: Header=BB42_5 Depth=1
	s_wait_alu 0xfffe
	s_or_b32 exec_lo, exec_lo, s3
	v_add_co_u32 v81, vcc_lo, 0xffffffc2, v79
	s_wait_alu 0xfffd
	v_add_co_ci_u32_e64 v82, null, -1, v80, vcc_lo
	s_delay_alu instid0(VALU_DEP_1)
	v_cmp_gt_i64_e32 vcc_lo, s[4:5], v[81:82]
	s_and_b32 s18, s2, vcc_lo
	s_wait_alu 0xfffe
	s_and_saveexec_b32 s3, s18
	s_cbranch_execz .LBB42_14
; %bb.13:                               ;   in Loop: Header=BB42_5 Depth=1
	v_add_co_u32 v4, vcc_lo, v75, v38
	s_wait_alu 0xfffd
	v_add_co_ci_u32_e64 v5, null, v76, v39, vcc_lo
	v_add_co_u32 v20, vcc_lo, v77, v38
	s_wait_alu 0xfffd
	v_add_co_ci_u32_e64 v21, null, v78, v39, vcc_lo
	global_load_b64 v[4:5], v[4:5], off
	global_load_b64 v[20:21], v[20:21], off
.LBB42_14:                              ;   in Loop: Header=BB42_5 Depth=1
	s_wait_alu 0xfffe
	s_or_b32 exec_lo, exec_lo, s3
	v_add_co_u32 v81, vcc_lo, 0xffffffc3, v79
	s_wait_alu 0xfffd
	v_add_co_ci_u32_e64 v82, null, -1, v80, vcc_lo
	s_delay_alu instid0(VALU_DEP_1)
	v_cmp_gt_i64_e32 vcc_lo, s[4:5], v[81:82]
	s_and_b32 s18, s2, vcc_lo
	s_wait_alu 0xfffe
	s_and_saveexec_b32 s3, s18
	s_cbranch_execz .LBB42_16
; %bb.15:                               ;   in Loop: Header=BB42_5 Depth=1
	v_add_co_u32 v6, vcc_lo, v71, v38
	s_wait_alu 0xfffd
	v_add_co_ci_u32_e64 v7, null, v72, v39, vcc_lo
	v_add_co_u32 v22, vcc_lo, v73, v38
	s_wait_alu 0xfffd
	v_add_co_ci_u32_e64 v23, null, v74, v39, vcc_lo
	global_load_b64 v[6:7], v[6:7], off
	global_load_b64 v[22:23], v[22:23], off
.LBB42_16:                              ;   in Loop: Header=BB42_5 Depth=1
	;; [unrolled: 21-line block ×7, first 2 shown]
	s_wait_alu 0xfffe
	s_or_b32 exec_lo, exec_lo, s3
	s_wait_loadcnt 0x1
	ds_bpermute_b32 v81, v1, v40
	ds_bpermute_b32 v82, v1, v41
	s_wait_loadcnt 0x0
	ds_bpermute_b32 v83, v1, v42
	ds_bpermute_b32 v84, v1, v43
	s_mov_b32 s3, 0
	s_wait_dscnt 0x2
	v_add_f64_e64 v[18:19], v[18:19], -v[81:82]
	ds_bpermute_b32 v81, v1, v40 offset:4
	ds_bpermute_b32 v82, v1, v41 offset:4
	s_wait_dscnt 0x0
	v_add_f64_e64 v[20:21], v[20:21], -v[81:82]
	ds_bpermute_b32 v81, v1, v40 offset:8
	ds_bpermute_b32 v82, v1, v41 offset:8
	v_mul_f64_e32 v[18:19], v[2:3], v[18:19]
	v_add_f64_e32 v[2:3], v[36:37], v[2:3]
	s_wait_dscnt 0x0
	v_add_f64_e64 v[22:23], v[22:23], -v[81:82]
	ds_bpermute_b32 v81, v1, v40 offset:12
	ds_bpermute_b32 v82, v1, v41 offset:12
	v_mul_f64_e32 v[20:21], v[4:5], v[20:21]
	s_wait_dscnt 0x0
	v_add_f64_e64 v[24:25], v[24:25], -v[81:82]
	v_fma_f64 v[18:19], v[18:19], v[83:84], v[34:35]
	ds_bpermute_b32 v83, v1, v42 offset:4
	ds_bpermute_b32 v84, v1, v43 offset:4
	v_add_f64_e32 v[2:3], v[4:5], v[2:3]
	ds_bpermute_b32 v4, v1, v40 offset:16
	ds_bpermute_b32 v5, v1, v41 offset:16
	v_mul_f64_e32 v[22:23], v[6:7], v[22:23]
	s_wait_dscnt 0x0
	v_add_f64_e64 v[4:5], v[26:27], -v[4:5]
	v_mul_f64_e32 v[24:25], v[8:9], v[24:25]
	v_fma_f64 v[18:19], v[20:21], v[83:84], v[18:19]
	ds_bpermute_b32 v20, v1, v42 offset:8
	ds_bpermute_b32 v21, v1, v43 offset:8
	v_add_f64_e32 v[2:3], v[6:7], v[2:3]
	ds_bpermute_b32 v6, v1, v40 offset:20
	ds_bpermute_b32 v7, v1, v41 offset:20
	s_wait_dscnt 0x0
	v_add_f64_e64 v[6:7], v[28:29], -v[6:7]
	v_mul_f64_e32 v[4:5], v[10:11], v[4:5]
	v_fma_f64 v[18:19], v[22:23], v[20:21], v[18:19]
	ds_bpermute_b32 v20, v1, v42 offset:12
	ds_bpermute_b32 v21, v1, v43 offset:12
	v_add_f64_e32 v[2:3], v[8:9], v[2:3]
	ds_bpermute_b32 v8, v1, v40 offset:24
	ds_bpermute_b32 v9, v1, v41 offset:24
	;; [unrolled: 9-line block ×3, first 2 shown]
	v_mul_f64_e32 v[8:9], v[14:15], v[8:9]
	s_wait_dscnt 0x2
	v_fma_f64 v[4:5], v[4:5], v[20:21], v[18:19]
	s_wait_dscnt 0x0
	s_delay_alu instid0(VALU_DEP_1)
	v_fma_f64 v[4:5], v[6:7], v[10:11], v[4:5]
	v_add_f64_e32 v[6:7], v[12:13], v[2:3]
	ds_bpermute_b32 v2, v1, v42 offset:24
	ds_bpermute_b32 v3, v1, v43 offset:24
	;; [unrolled: 1-line block ×4, first 2 shown]
	s_wait_dscnt 0x2
	v_fma_f64 v[2:3], v[8:9], v[2:3], v[4:5]
	v_add_f64_e32 v[4:5], v[14:15], v[6:7]
	ds_bpermute_b32 v6, v1, v40 offset:28
	ds_bpermute_b32 v7, v1, v41 offset:28
.LBB42_27:                              ;   in Loop: Header=BB42_5 Depth=1
	s_wait_alu 0xfffe
	s_and_b32 vcc_lo, exec_lo, s3
	s_wait_alu 0xfffe
	s_cbranch_vccz .LBB42_4
; %bb.28:                               ;   in Loop: Header=BB42_5 Depth=1
	s_load_b32 s3, s[20:21], 0x0
	s_wait_dscnt 0x2
	v_mov_b32_e32 v42, 0
	v_mov_b32_e32 v40, 0
	;; [unrolled: 1-line block ×4, first 2 shown]
	s_wait_kmcnt 0x0
	s_cmp_lt_u32 ttmp9, s3
	s_cselect_b32 s18, 12, 18
	s_wait_alu 0xfffe
	s_add_nc_u64 s[34:35], s[20:21], s[18:19]
	s_load_u16 s3, s[34:35], 0x0
	s_wait_kmcnt 0x0
	v_mad_u32_u24 v2, v44, s3, v46
	s_mov_b32 s3, exec_lo
	s_delay_alu instid0(VALU_DEP_1) | instskip(NEXT) | instid1(VALU_DEP_1)
	v_and_b32_e32 v2, 31, v2
	v_cmpx_gt_u32_e32 8, v2
	s_cbranch_execz .LBB42_32
; %bb.29:                               ;   in Loop: Header=BB42_5 Depth=1
	v_add_co_u32 v2, vcc_lo, v79, v2
	s_wait_alu 0xfffd
	v_add_co_ci_u32_e64 v3, null, 0, v80, vcc_lo
	v_mov_b32_e32 v40, 0
	s_delay_alu instid0(VALU_DEP_3)
	v_add_co_u32 v2, vcc_lo, 0xffffffc1, v2
	v_dual_mov_b32 v41, 0 :: v_dual_mov_b32 v42, 0
	s_wait_alu 0xfffd
	v_add_co_ci_u32_e64 v3, null, -1, v3, vcc_lo
	v_mov_b32_e32 v43, 0
	s_mov_b32 s18, exec_lo
	s_delay_alu instid0(VALU_DEP_2)
	v_cmpx_gt_i64_e64 s[4:5], v[2:3]
	s_cbranch_execz .LBB42_31
; %bb.30:                               ;   in Loop: Header=BB42_5 Depth=1
	v_lshlrev_b64_e32 v[2:3], 3, v[2:3]
	s_delay_alu instid0(VALU_DEP_1) | instskip(SKIP_1) | instid1(VALU_DEP_2)
	v_add_co_u32 v4, vcc_lo, s12, v2
	s_wait_alu 0xfffd
	v_add_co_ci_u32_e64 v5, null, s13, v3, vcc_lo
	v_add_co_u32 v2, vcc_lo, s14, v2
	s_wait_alu 0xfffd
	v_add_co_ci_u32_e64 v3, null, s15, v3, vcc_lo
	global_load_b64 v[40:41], v[4:5], off
	global_load_b64 v[42:43], v[2:3], off
.LBB42_31:                              ;   in Loop: Header=BB42_5 Depth=1
	s_wait_alu 0xfffe
	s_or_b32 exec_lo, exec_lo, s18
.LBB42_32:                              ;   in Loop: Header=BB42_5 Depth=1
	s_wait_alu 0xfffe
	s_or_b32 exec_lo, exec_lo, s3
	v_mov_b32_e32 v16, v1
	v_dual_mov_b32 v2, v1 :: v_dual_mov_b32 v3, v1
	v_dual_mov_b32 v4, v1 :: v_dual_mov_b32 v5, v1
	s_wait_dscnt 0x0
	v_dual_mov_b32 v6, v1 :: v_dual_mov_b32 v7, v1
	v_dual_mov_b32 v8, v1 :: v_dual_mov_b32 v9, v1
	;; [unrolled: 1-line block ×5, first 2 shown]
	v_mov_b32_e32 v33, v16
	s_delay_alu instid0(VALU_DEP_3) | instskip(NEXT) | instid1(VALU_DEP_3)
	v_dual_mov_b32 v29, v12 :: v_dual_mov_b32 v28, v11
	v_dual_mov_b32 v31, v14 :: v_dual_mov_b32 v30, v13
	s_delay_alu instid0(VALU_DEP_4)
	v_dual_mov_b32 v32, v15 :: v_dual_mov_b32 v27, v10
	v_dual_mov_b32 v26, v9 :: v_dual_mov_b32 v25, v8
	;; [unrolled: 1-line block ×6, first 2 shown]
	v_mov_b32_e32 v16, v15
	v_mov_b32_e32 v15, v14
	;; [unrolled: 1-line block ×15, first 2 shown]
	s_and_saveexec_b32 s3, s2
	s_cbranch_execnz .LBB42_40
; %bb.33:                               ;   in Loop: Header=BB42_5 Depth=1
	s_wait_alu 0xfffe
	s_or_b32 exec_lo, exec_lo, s3
	s_and_saveexec_b32 s3, s2
	s_cbranch_execnz .LBB42_41
.LBB42_34:                              ;   in Loop: Header=BB42_5 Depth=1
	s_wait_alu 0xfffe
	s_or_b32 exec_lo, exec_lo, s3
	s_and_saveexec_b32 s3, s2
	s_cbranch_execnz .LBB42_42
.LBB42_35:                              ;   in Loop: Header=BB42_5 Depth=1
	s_wait_alu 0xfffe
	s_or_b32 exec_lo, exec_lo, s3
	s_and_saveexec_b32 s3, s2
	s_cbranch_execnz .LBB42_43
.LBB42_36:                              ;   in Loop: Header=BB42_5 Depth=1
	s_wait_alu 0xfffe
	s_or_b32 exec_lo, exec_lo, s3
	s_and_saveexec_b32 s3, s2
	s_cbranch_execnz .LBB42_44
.LBB42_37:                              ;   in Loop: Header=BB42_5 Depth=1
	s_wait_alu 0xfffe
	s_or_b32 exec_lo, exec_lo, s3
	s_and_saveexec_b32 s3, s2
	s_cbranch_execnz .LBB42_45
.LBB42_38:                              ;   in Loop: Header=BB42_5 Depth=1
	s_wait_alu 0xfffe
	s_or_b32 exec_lo, exec_lo, s3
	s_and_saveexec_b32 s3, s2
	s_cbranch_execnz .LBB42_46
.LBB42_39:                              ;   in Loop: Header=BB42_5 Depth=1
	s_wait_alu 0xfffe
	s_or_b32 exec_lo, exec_lo, s3
	s_and_saveexec_b32 s3, s2
	s_cbranch_execz .LBB42_3
	s_branch .LBB42_47
.LBB42_40:                              ;   in Loop: Header=BB42_5 Depth=1
	v_add_co_u32 v2, vcc_lo, v47, v38
	s_wait_alu 0xfffd
	v_add_co_ci_u32_e64 v3, null, v48, v39, vcc_lo
	v_add_co_u32 v4, vcc_lo, v49, v38
	s_wait_alu 0xfffd
	v_add_co_ci_u32_e64 v5, null, v50, v39, vcc_lo
	global_load_b64 v[2:3], v[2:3], off
	global_load_b64 v[18:19], v[4:5], off
	v_dual_mov_b32 v4, v1 :: v_dual_mov_b32 v5, v1
	v_dual_mov_b32 v6, v1 :: v_dual_mov_b32 v7, v1
	;; [unrolled: 1-line block ×14, first 2 shown]
	s_wait_alu 0xfffe
	s_or_b32 exec_lo, exec_lo, s3
	s_and_saveexec_b32 s3, s2
	s_cbranch_execz .LBB42_34
.LBB42_41:                              ;   in Loop: Header=BB42_5 Depth=1
	v_add_co_u32 v4, vcc_lo, v75, v38
	s_wait_alu 0xfffd
	v_add_co_ci_u32_e64 v5, null, v76, v39, vcc_lo
	v_add_co_u32 v20, vcc_lo, v77, v38
	s_wait_alu 0xfffd
	v_add_co_ci_u32_e64 v21, null, v78, v39, vcc_lo
	global_load_b64 v[4:5], v[4:5], off
	global_load_b64 v[20:21], v[20:21], off
	s_wait_alu 0xfffe
	s_or_b32 exec_lo, exec_lo, s3
	s_and_saveexec_b32 s3, s2
	s_cbranch_execz .LBB42_35
.LBB42_42:                              ;   in Loop: Header=BB42_5 Depth=1
	v_add_co_u32 v6, vcc_lo, v71, v38
	s_wait_alu 0xfffd
	v_add_co_ci_u32_e64 v7, null, v72, v39, vcc_lo
	v_add_co_u32 v22, vcc_lo, v73, v38
	s_wait_alu 0xfffd
	v_add_co_ci_u32_e64 v23, null, v74, v39, vcc_lo
	global_load_b64 v[6:7], v[6:7], off
	global_load_b64 v[22:23], v[22:23], off
	s_wait_alu 0xfffe
	s_or_b32 exec_lo, exec_lo, s3
	s_and_saveexec_b32 s3, s2
	s_cbranch_execz .LBB42_36
.LBB42_43:                              ;   in Loop: Header=BB42_5 Depth=1
	v_add_co_u32 v8, vcc_lo, v67, v38
	s_wait_alu 0xfffd
	v_add_co_ci_u32_e64 v9, null, v68, v39, vcc_lo
	v_add_co_u32 v24, vcc_lo, v69, v38
	s_wait_alu 0xfffd
	v_add_co_ci_u32_e64 v25, null, v70, v39, vcc_lo
	global_load_b64 v[8:9], v[8:9], off
	global_load_b64 v[24:25], v[24:25], off
	s_wait_alu 0xfffe
	s_or_b32 exec_lo, exec_lo, s3
	s_and_saveexec_b32 s3, s2
	s_cbranch_execz .LBB42_37
.LBB42_44:                              ;   in Loop: Header=BB42_5 Depth=1
	v_add_co_u32 v10, vcc_lo, v63, v38
	s_wait_alu 0xfffd
	v_add_co_ci_u32_e64 v11, null, v64, v39, vcc_lo
	v_add_co_u32 v26, vcc_lo, v65, v38
	s_wait_alu 0xfffd
	v_add_co_ci_u32_e64 v27, null, v66, v39, vcc_lo
	global_load_b64 v[10:11], v[10:11], off
	global_load_b64 v[26:27], v[26:27], off
	s_wait_alu 0xfffe
	s_or_b32 exec_lo, exec_lo, s3
	s_and_saveexec_b32 s3, s2
	s_cbranch_execz .LBB42_38
.LBB42_45:                              ;   in Loop: Header=BB42_5 Depth=1
	v_add_co_u32 v12, vcc_lo, v59, v38
	s_wait_alu 0xfffd
	v_add_co_ci_u32_e64 v13, null, v60, v39, vcc_lo
	v_add_co_u32 v28, vcc_lo, v61, v38
	s_wait_alu 0xfffd
	v_add_co_ci_u32_e64 v29, null, v62, v39, vcc_lo
	global_load_b64 v[12:13], v[12:13], off
	global_load_b64 v[28:29], v[28:29], off
	s_wait_alu 0xfffe
	s_or_b32 exec_lo, exec_lo, s3
	s_and_saveexec_b32 s3, s2
	s_cbranch_execz .LBB42_39
.LBB42_46:                              ;   in Loop: Header=BB42_5 Depth=1
	v_add_co_u32 v14, vcc_lo, v55, v38
	s_wait_alu 0xfffd
	v_add_co_ci_u32_e64 v15, null, v56, v39, vcc_lo
	v_add_co_u32 v30, vcc_lo, v57, v38
	s_wait_alu 0xfffd
	v_add_co_ci_u32_e64 v31, null, v58, v39, vcc_lo
	global_load_b64 v[14:15], v[14:15], off
	global_load_b64 v[30:31], v[30:31], off
	s_wait_alu 0xfffe
	s_or_b32 exec_lo, exec_lo, s3
	s_and_saveexec_b32 s3, s2
	s_cbranch_execz .LBB42_3
.LBB42_47:                              ;   in Loop: Header=BB42_5 Depth=1
	v_add_co_u32 v16, vcc_lo, v51, v38
	s_wait_alu 0xfffd
	v_add_co_ci_u32_e64 v17, null, v52, v39, vcc_lo
	v_add_co_u32 v32, vcc_lo, v53, v38
	s_wait_alu 0xfffd
	v_add_co_ci_u32_e64 v33, null, v54, v39, vcc_lo
	global_load_b64 v[16:17], v[16:17], off
	global_load_b64 v[32:33], v[32:33], off
	s_branch .LBB42_3
.LBB42_48:
                                        ; implicit-def: $vgpr36_vgpr37
                                        ; implicit-def: $vgpr34_vgpr35
	s_branch .LBB42_50
.LBB42_49:
	s_cbranch_execnz .LBB42_81
.LBB42_50:
	v_mov_b32_e32 v36, 0
	v_dual_mov_b32 v37, 0 :: v_dual_mov_b32 v34, 0
	v_mov_b32_e32 v35, 0
	s_and_not1_b32 vcc_lo, exec_lo, s31
	s_wait_alu 0xfffe
	s_cbranch_vccnz .LBB42_81
; %bb.51:
	v_bfe_u32 v72, v0, 10, 10
	v_dual_mov_b32 v1, 0 :: v_dual_and_b32 v74, 0x3ff, v0
	s_lshl_b64 s[20:21], s[16:17], 3
	s_mov_b32 s3, 0
	s_delay_alu instid0(VALU_DEP_2) | instskip(SKIP_2) | instid1(VALU_DEP_3)
	v_dual_mov_b32 v34, 0 :: v_dual_lshlrev_b32 v73, 3, v72
	v_dual_mov_b32 v35, 0 :: v_dual_lshlrev_b32 v8, 6, v72
	v_dual_mov_b32 v5, v1 :: v_dual_add_nc_u32 v4, s30, v74
	v_add_co_u32 v10, s2, v73, s16
	s_wait_alu 0xf1ff
	v_add_co_ci_u32_e64 v11, null, 0, 0, s2
	s_delay_alu instid0(VALU_DEP_3) | instskip(NEXT) | instid1(VALU_DEP_3)
	v_lshlrev_b64_e32 v[38:39], 3, v[4:5]
	v_mul_lo_u32 v6, s7, v10
	v_mad_co_u64_u32 v[2:3], null, s6, v10, 0
	s_delay_alu instid0(VALU_DEP_4) | instskip(SKIP_4) | instid1(VALU_DEP_3)
	v_mul_lo_u32 v7, s6, v11
	s_load_b32 s2, s[0:1], 0x44
	s_mov_b32 s19, s3
	v_mov_b32_e32 v36, 0
	v_mov_b32_e32 v37, 0
	v_add3_u32 v3, v3, v7, v6
	v_add_co_u32 v6, s18, v8, s20
	s_wait_alu 0xf1ff
	v_add_co_ci_u32_e64 v7, null, 0, s21, s18
	s_delay_alu instid0(VALU_DEP_3) | instskip(NEXT) | instid1(VALU_DEP_3)
	v_lshlrev_b64_e32 v[4:5], 3, v[2:3]
	v_add_co_u32 v8, vcc_lo, v6, 8
	s_wait_alu 0xfffd
	s_delay_alu instid0(VALU_DEP_3) | instskip(NEXT) | instid1(VALU_DEP_3)
	v_add_co_ci_u32_e64 v9, null, 0, v7, vcc_lo
	v_add_co_u32 v75, vcc_lo, s8, v4
	s_wait_alu 0xfffd
	v_add_co_ci_u32_e64 v76, null, s9, v5, vcc_lo
	v_add_co_u32 v77, vcc_lo, s10, v4
	s_wait_alu 0xfffd
	;; [unrolled: 3-line block ×5, first 2 shown]
	v_add_co_ci_u32_e64 v18, null, 0, v7, vcc_lo
	v_add_co_u32 v19, vcc_lo, v6, 40
	v_mad_co_u64_u32 v[42:43], null, s6, v4, s[8:9]
	v_mul_lo_u32 v5, s6, v5
	v_mul_lo_u32 v15, s7, v4
	v_mad_co_u64_u32 v[56:57], null, s6, v4, s[10:11]
	s_wait_alu 0xfffd
	v_add_co_ci_u32_e64 v20, null, 0, v7, vcc_lo
	v_add_co_u32 v22, vcc_lo, v6, 48
	s_wait_alu 0xfffd
	v_add_co_ci_u32_e64 v24, null, 0, v7, vcc_lo
	v_add_co_u32 v6, vcc_lo, v6, 56
	v_mad_co_u64_u32 v[40:41], null, s6, v8, s[8:9]
	v_mul_lo_u32 v9, s6, v9
	v_mul_lo_u32 v12, s7, v8
	v_mad_co_u64_u32 v[54:55], null, s6, v8, s[10:11]
	s_wait_alu 0xfffd
	v_add_co_ci_u32_e64 v7, null, 0, v7, vcc_lo
	v_add_co_u32 v4, vcc_lo, v10, 7
	v_add3_u32 v43, v15, v43, v5
	v_add3_u32 v57, v15, v57, v5
	s_wait_alu 0xfffd
	v_add_co_ci_u32_e64 v5, null, 0, v11, vcc_lo
	v_mul_lo_u32 v26, s6, v7
	v_add_co_u32 v7, vcc_lo, v10, 6
	v_add3_u32 v41, v12, v41, v9
	v_add3_u32 v55, v12, v55, v9
	s_wait_alu 0xfffd
	v_add_co_ci_u32_e64 v12, null, 0, v11, vcc_lo
	v_mul_lo_u32 v8, s7, v4
	v_mul_lo_u32 v9, s6, v5
	v_mad_co_u64_u32 v[4:5], null, s6, v4, 0
	v_mad_co_u64_u32 v[44:45], null, s6, v13, s[8:9]
	v_mul_lo_u32 v17, s7, v13
	v_mad_co_u64_u32 v[52:53], null, s6, v6, s[8:9]
	v_mul_lo_u32 v27, s7, v6
	v_mad_co_u64_u32 v[58:59], null, s6, v13, s[10:11]
	v_mad_co_u64_u32 v[66:67], null, s6, v6, s[10:11]
	v_mul_lo_u32 v13, s7, v7
	v_mul_lo_u32 v12, s6, v12
	v_mad_co_u64_u32 v[6:7], null, s6, v7, 0
	v_add3_u32 v5, v5, v9, v8
	v_add_co_u32 v8, vcc_lo, v10, 5
	s_wait_alu 0xfffd
	v_add_co_ci_u32_e64 v9, null, 0, v11, vcc_lo
	s_delay_alu instid0(VALU_DEP_3) | instskip(SKIP_2) | instid1(VALU_DEP_4)
	v_lshlrev_b64_e32 v[4:5], 3, v[4:5]
	v_add3_u32 v7, v7, v12, v13
	v_mul_lo_u32 v12, s7, v8
	v_mul_lo_u32 v13, s6, v9
	v_mad_co_u64_u32 v[8:9], null, s6, v8, 0
	s_delay_alu instid0(VALU_DEP_4)
	v_lshlrev_b64_e32 v[6:7], 3, v[6:7]
	v_add_co_u32 v79, vcc_lo, s8, v4
	s_wait_alu 0xfffd
	v_add_co_ci_u32_e64 v80, null, s9, v5, vcc_lo
	v_add_co_u32 v81, vcc_lo, s10, v4
	s_wait_alu 0xfffd
	v_add_co_ci_u32_e64 v82, null, s11, v5, vcc_lo
	v_add_co_u32 v83, vcc_lo, s8, v6
	v_mul_lo_u32 v14, s6, v14
	v_add3_u32 v9, v9, v13, v12
	s_wait_alu 0xfffd
	v_add_co_ci_u32_e64 v84, null, s9, v7, vcc_lo
	v_add_co_u32 v12, vcc_lo, v10, 4
	s_wait_kmcnt 0x0
	s_lshl_b32 s18, s2, 6
	v_add_co_u32 v85, s2, s10, v6
	s_wait_alu 0xfffd
	v_add_co_ci_u32_e64 v6, null, 0, v11, vcc_lo
	v_lshlrev_b64_e32 v[4:5], 3, v[8:9]
	v_add_co_u32 v8, vcc_lo, v10, 3
	s_wait_alu 0xfffd
	v_add_co_ci_u32_e64 v9, null, 0, v11, vcc_lo
	v_add3_u32 v45, v17, v45, v14
	v_add3_u32 v59, v17, v59, v14
	s_wait_alu 0xf1ff
	v_add_co_ci_u32_e64 v86, null, s11, v7, s2
	v_mul_lo_u32 v13, s7, v12
	v_mul_lo_u32 v14, s6, v6
	v_mad_co_u64_u32 v[6:7], null, s6, v12, 0
	v_mul_lo_u32 v12, s7, v8
	v_mul_lo_u32 v15, s6, v9
	v_mad_co_u64_u32 v[8:9], null, s6, v8, 0
	v_add_co_u32 v87, vcc_lo, s8, v4
	s_wait_alu 0xfffd
	v_add_co_ci_u32_e64 v88, null, s9, v5, vcc_lo
	v_add3_u32 v7, v7, v14, v13
	v_add_co_u32 v89, vcc_lo, s10, v4
	s_wait_alu 0xfffd
	v_add_co_ci_u32_e64 v90, null, s11, v5, vcc_lo
	v_add_co_u32 v10, vcc_lo, v10, 2
	v_add3_u32 v9, v9, v15, v12
	s_wait_alu 0xfffd
	v_add_co_ci_u32_e64 v11, null, 0, v11, vcc_lo
	v_lshlrev_b64_e32 v[4:5], 3, v[6:7]
	v_mul_lo_u32 v12, s7, v10
	v_lshlrev_b64_e32 v[6:7], 3, v[8:9]
	s_delay_alu instid0(VALU_DEP_4)
	v_mul_lo_u32 v11, s6, v11
	v_mad_co_u64_u32 v[8:9], null, s6, v10, 0
	v_add_co_u32 v91, vcc_lo, s8, v4
	s_wait_alu 0xfffd
	v_add_co_ci_u32_e64 v92, null, s9, v5, vcc_lo
	v_add_co_u32 v93, vcc_lo, s10, v4
	s_wait_alu 0xfffd
	v_add_co_ci_u32_e64 v94, null, s11, v5, vcc_lo
	;; [unrolled: 3-line block ×3, first 2 shown]
	v_add3_u32 v9, v9, v11, v12
	v_add_co_u32 v97, vcc_lo, s10, v6
	s_wait_alu 0xfffd
	v_add_co_ci_u32_e64 v98, null, s11, v7, vcc_lo
	v_add_co_u32 v2, vcc_lo, v2, s6
	s_wait_alu 0xfffd
	v_add_co_ci_u32_e64 v3, null, s7, v3, vcc_lo
	v_lshlrev_b64_e32 v[4:5], 3, v[8:9]
	v_mad_co_u64_u32 v[46:47], null, s6, v16, s[8:9]
	s_delay_alu instid0(VALU_DEP_3)
	v_lshlrev_b64_e32 v[2:3], 3, v[2:3]
	v_mul_lo_u32 v18, s6, v18
	v_mul_lo_u32 v21, s7, v16
	v_mad_co_u64_u32 v[48:49], null, s6, v19, s[8:9]
	v_mul_lo_u32 v20, s6, v20
	v_mul_lo_u32 v23, s7, v19
	v_mad_co_u64_u32 v[50:51], null, s6, v22, s[8:9]
	;; [unrolled: 3-line block ×3, first 2 shown]
	v_mad_co_u64_u32 v[62:63], null, s6, v19, s[10:11]
	v_mad_co_u64_u32 v[64:65], null, s6, v22, s[10:11]
	v_add_co_u32 v99, vcc_lo, s8, v4
	s_wait_alu 0xfffd
	v_add_co_ci_u32_e64 v100, null, s9, v5, vcc_lo
	v_add_co_u32 v101, vcc_lo, s10, v4
	s_wait_alu 0xfffd
	v_add_co_ci_u32_e64 v102, null, s11, v5, vcc_lo
	;; [unrolled: 3-line block ×3, first 2 shown]
	v_add_co_u32 v105, vcc_lo, s10, v2
	v_add3_u32 v47, v21, v47, v18
	v_add3_u32 v49, v23, v49, v20
	;; [unrolled: 1-line block ×8, first 2 shown]
	s_wait_alu 0xfffd
	v_add_co_ci_u32_e64 v106, null, s11, v3, vcc_lo
	s_wait_alu 0xfffe
	s_mul_u64 s[20:21], s[6:7], s[18:19]
	s_add_nc_u64 s[8:9], s[0:1], 64
	s_wait_alu 0xfffe
	s_lshl_b64 s[10:11], s[20:21], 3
	s_add_nc_u64 s[20:21], s[16:17], 63
	s_branch .LBB42_55
.LBB42_52:                              ;   in Loop: Header=BB42_55 Depth=1
	s_wait_alu 0xfffe
	s_or_b32 exec_lo, exec_lo, s22
.LBB42_53:                              ;   in Loop: Header=BB42_55 Depth=1
	s_wait_alu 0xfffe
	s_or_b32 exec_lo, exec_lo, s2
	v_add_co_u32 v6, vcc_lo, v77, v38
	s_wait_alu 0xfffd
	v_add_co_ci_u32_e64 v7, null, v78, v39, vcc_lo
	v_add_co_u32 v8, vcc_lo, v54, v38
	s_wait_alu 0xfffd
	v_add_co_ci_u32_e64 v9, null, v55, v39, vcc_lo
	global_load_b64 v[6:7], v[6:7], off
	v_add_co_u32 v10, vcc_lo, v75, v38
	s_wait_alu 0xfffd
	v_add_co_ci_u32_e64 v11, null, v76, v39, vcc_lo
	global_load_b64 v[8:9], v[8:9], off
	global_load_b64 v[10:11], v[10:11], off
	v_add_co_u32 v12, vcc_lo, v56, v38
	s_wait_alu 0xfffd
	v_add_co_ci_u32_e64 v13, null, v57, v39, vcc_lo
	v_add_co_u32 v14, vcc_lo, v40, v38
	s_wait_alu 0xfffd
	v_add_co_ci_u32_e64 v15, null, v41, v39, vcc_lo
	global_load_b64 v[12:13], v[12:13], off
	global_load_b64 v[14:15], v[14:15], off
	v_add_co_u32 v16, vcc_lo, v58, v38
	s_wait_alu 0xfffd
	v_add_co_ci_u32_e64 v17, null, v59, v39, vcc_lo
	;; [unrolled: 8-line block ×5, first 2 shown]
	v_add_co_u32 v30, vcc_lo, v64, v38
	s_wait_alu 0xfffd
	v_add_co_ci_u32_e64 v31, null, v65, v39, vcc_lo
	v_add_co_u32 v32, vcc_lo, v66, v38
	s_wait_alu 0xfffd
	v_add_co_ci_u32_e64 v33, null, v67, v39, vcc_lo
	global_load_b64 v[30:31], v[30:31], off
	global_load_b64 v[68:69], v[16:17], off
	;; [unrolled: 1-line block ×3, first 2 shown]
	v_add_co_u32 v16, vcc_lo, v50, v38
	s_wait_alu 0xfffd
	v_add_co_ci_u32_e64 v17, null, v51, v39, vcc_lo
	v_add_co_u32 v70, vcc_lo, v52, v38
	s_wait_alu 0xfffd
	v_add_co_ci_u32_e64 v71, null, v53, v39, vcc_lo
	global_load_b64 v[107:108], v[16:17], off
	global_load_b64 v[16:17], v[70:71], off
	s_wait_loadcnt 0x11
	ds_bpermute_b32 v70, v1, v4
	ds_bpermute_b32 v71, v1, v5
	s_wait_loadcnt 0x10
	ds_bpermute_b32 v109, v1, v2
	ds_bpermute_b32 v110, v1, v3
	s_wait_loadcnt_dscnt 0xf02
	v_add_f64_e64 v[6:7], v[6:7], -v[70:71]
	ds_bpermute_b32 v70, v1, v4 offset:4
	ds_bpermute_b32 v71, v1, v5 offset:4
	s_wait_loadcnt_dscnt 0xe00
	v_add_f64_e64 v[8:9], v[8:9], -v[70:71]
	ds_bpermute_b32 v70, v1, v4 offset:8
	ds_bpermute_b32 v71, v1, v5 offset:8
	s_wait_loadcnt 0xd
	v_mul_f64_e32 v[6:7], v[10:11], v[6:7]
	v_add_f64_e32 v[10:11], v[36:37], v[10:11]
	ds_bpermute_b32 v36, v1, v2 offset:4
	ds_bpermute_b32 v37, v1, v3 offset:4
	s_wait_loadcnt_dscnt 0xc02
	v_add_f64_e64 v[12:13], v[12:13], -v[70:71]
	s_wait_loadcnt 0xb
	v_mul_f64_e32 v[8:9], v[14:15], v[8:9]
	v_fma_f64 v[6:7], v[6:7], v[109:110], v[34:35]
	ds_bpermute_b32 v34, v1, v4 offset:12
	ds_bpermute_b32 v35, v1, v5 offset:12
	v_add_f64_e32 v[10:11], v[10:11], v[14:15]
	ds_bpermute_b32 v14, v1, v2 offset:8
	ds_bpermute_b32 v15, v1, v3 offset:8
	s_wait_loadcnt 0x9
	v_mul_f64_e32 v[12:13], v[18:19], v[12:13]
	s_wait_dscnt 0x2
	v_add_f64_e64 v[20:21], v[20:21], -v[34:35]
	v_fma_f64 v[6:7], v[8:9], v[36:37], v[6:7]
	ds_bpermute_b32 v8, v1, v4 offset:16
	ds_bpermute_b32 v9, v1, v5 offset:16
	v_add_f64_e32 v[10:11], v[10:11], v[18:19]
	ds_bpermute_b32 v18, v1, v2 offset:16
	ds_bpermute_b32 v19, v1, v3 offset:16
	s_wait_loadcnt_dscnt 0x802
	v_add_f64_e64 v[8:9], v[24:25], -v[8:9]
	s_wait_loadcnt 0x7
	v_mul_f64_e32 v[20:21], v[22:23], v[20:21]
	v_fma_f64 v[6:7], v[12:13], v[14:15], v[6:7]
	ds_bpermute_b32 v12, v1, v4 offset:20
	ds_bpermute_b32 v13, v1, v5 offset:20
	;; [unrolled: 1-line block ×4, first 2 shown]
	v_add_f64_e32 v[10:11], v[10:11], v[22:23]
	s_wait_loadcnt_dscnt 0x602
	v_add_f64_e64 v[12:13], v[28:29], -v[12:13]
	s_wait_loadcnt 0x5
	v_mul_f64_e32 v[8:9], v[26:27], v[8:9]
	s_wait_dscnt 0x0
	v_fma_f64 v[6:7], v[20:21], v[14:15], v[6:7]
	ds_bpermute_b32 v14, v1, v4 offset:24
	ds_bpermute_b32 v15, v1, v5 offset:24
	ds_bpermute_b32 v4, v1, v4 offset:28
	ds_bpermute_b32 v5, v1, v5 offset:28
	v_add_f64_e32 v[10:11], v[10:11], v[26:27]
	s_wait_loadcnt_dscnt 0x402
	v_add_f64_e64 v[14:15], v[30:31], -v[14:15]
	s_wait_loadcnt 0x3
	v_mul_f64_e32 v[12:13], v[68:69], v[12:13]
	s_wait_loadcnt_dscnt 0x200
	v_add_f64_e64 v[4:5], v[32:33], -v[4:5]
	v_fma_f64 v[6:7], v[8:9], v[18:19], v[6:7]
	ds_bpermute_b32 v8, v1, v2 offset:20
	ds_bpermute_b32 v9, v1, v3 offset:20
	v_add_f64_e32 v[10:11], v[10:11], v[68:69]
	s_wait_loadcnt 0x1
	v_mul_f64_e32 v[14:15], v[107:108], v[14:15]
	s_wait_loadcnt 0x0
	v_mul_f64_e32 v[4:5], v[16:17], v[4:5]
	s_wait_dscnt 0x0
	v_fma_f64 v[6:7], v[12:13], v[8:9], v[6:7]
	ds_bpermute_b32 v8, v1, v2 offset:24
	ds_bpermute_b32 v9, v1, v3 offset:24
	;; [unrolled: 1-line block ×4, first 2 shown]
	v_add_f64_e32 v[2:3], v[10:11], v[107:108]
	s_wait_dscnt 0x0
	v_mul_f64_e32 v[4:5], v[4:5], v[12:13]
	v_fma_f64 v[6:7], v[14:15], v[8:9], v[6:7]
.LBB42_54:                              ;   in Loop: Header=BB42_55 Depth=1
	v_add_co_u32 v75, vcc_lo, v75, s10
	s_wait_alu 0xfffd
	v_add_co_ci_u32_e64 v76, null, s11, v76, vcc_lo
	v_add_co_u32 v77, vcc_lo, v77, s10
	s_wait_alu 0xfffd
	v_add_co_ci_u32_e64 v78, null, s11, v78, vcc_lo
	;; [unrolled: 3-line block ×13, first 2 shown]
	v_add_co_u32 v62, vcc_lo, v62, s10
	v_add_f64_e32 v[34:35], v[6:7], v[4:5]
	v_add_f64_e32 v[36:37], v[2:3], v[16:17]
	s_wait_alu 0xfffd
	v_add_co_ci_u32_e64 v63, null, s11, v63, vcc_lo
	v_add_co_u32 v64, vcc_lo, v64, s10
	s_wait_alu 0xfffd
	v_add_co_ci_u32_e64 v65, null, s11, v65, vcc_lo
	v_add_co_u32 v66, vcc_lo, v66, s10
	;; [unrolled: 3-line block ×14, first 2 shown]
	s_add_nc_u64 s[16:17], s[16:17], s[18:19]
	s_wait_alu 0xfffd
	v_add_co_ci_u32_e64 v102, null, s11, v102, vcc_lo
	v_add_co_u32 v103, vcc_lo, v103, s10
	s_wait_alu 0xfffe
	v_cmp_ge_i64_e64 s2, s[16:17], s[4:5]
	s_wait_alu 0xfffd
	v_add_co_ci_u32_e64 v104, null, s11, v104, vcc_lo
	v_add_co_u32 v105, vcc_lo, v105, s10
	s_wait_alu 0xfffd
	v_add_co_ci_u32_e64 v106, null, s11, v106, vcc_lo
	s_and_b32 vcc_lo, exec_lo, s2
	s_add_nc_u64 s[20:21], s[20:21], s[18:19]
	s_wait_alu 0xfffe
	s_cbranch_vccnz .LBB42_81
.LBB42_55:                              ; =>This Inner Loop Header: Depth=1
	s_wait_alu 0xfffe
	v_cmp_ge_i64_e64 s2, s[20:21], s[4:5]
	v_add_co_u32 v107, s22, v73, s20
	s_wait_alu 0xf1ff
	v_add_co_ci_u32_e64 v108, null, 0, s21, s22
                                        ; implicit-def: $vgpr16_vgpr17
                                        ; implicit-def: $vgpr4_vgpr5
                                        ; implicit-def: $vgpr2_vgpr3
                                        ; implicit-def: $vgpr6_vgpr7
	s_and_b32 vcc_lo, exec_lo, s2
	s_mov_b32 s2, -1
	s_wait_alu 0xfffe
	s_cbranch_vccz .LBB42_77
; %bb.56:                               ;   in Loop: Header=BB42_55 Depth=1
	s_load_b32 s2, s[8:9], 0xc
	v_mov_b32_e32 v68, 0
	v_mov_b32_e32 v70, 0
	;; [unrolled: 1-line block ×4, first 2 shown]
	s_wait_kmcnt 0x0
	s_and_b32 s2, s2, 0xffff
	s_wait_alu 0xfffe
	v_mad_u32_u24 v2, v72, s2, v74
	s_mov_b32 s2, exec_lo
	s_delay_alu instid0(VALU_DEP_1) | instskip(NEXT) | instid1(VALU_DEP_1)
	v_and_b32_e32 v2, 31, v2
	v_cmpx_gt_u32_e32 8, v2
	s_cbranch_execz .LBB42_60
; %bb.57:                               ;   in Loop: Header=BB42_55 Depth=1
	v_add_co_u32 v2, vcc_lo, v107, v2
	s_wait_alu 0xfffd
	v_add_co_ci_u32_e64 v3, null, 0, v108, vcc_lo
	v_mov_b32_e32 v70, 0
	s_delay_alu instid0(VALU_DEP_3)
	v_add_co_u32 v2, vcc_lo, 0xffffffc1, v2
	v_dual_mov_b32 v71, 0 :: v_dual_mov_b32 v68, 0
	s_wait_alu 0xfffd
	v_add_co_ci_u32_e64 v3, null, -1, v3, vcc_lo
	v_mov_b32_e32 v69, 0
	s_mov_b32 s22, exec_lo
	s_delay_alu instid0(VALU_DEP_2)
	v_cmpx_gt_i64_e64 s[4:5], v[2:3]
	s_cbranch_execz .LBB42_59
; %bb.58:                               ;   in Loop: Header=BB42_55 Depth=1
	v_lshlrev_b64_e32 v[2:3], 3, v[2:3]
	s_delay_alu instid0(VALU_DEP_1) | instskip(SKIP_1) | instid1(VALU_DEP_2)
	v_add_co_u32 v4, vcc_lo, s12, v2
	s_wait_alu 0xfffd
	v_add_co_ci_u32_e64 v5, null, s13, v3, vcc_lo
	v_add_co_u32 v2, vcc_lo, s14, v2
	s_wait_alu 0xfffd
	v_add_co_ci_u32_e64 v3, null, s15, v3, vcc_lo
	global_load_b64 v[70:71], v[4:5], off
	global_load_b64 v[68:69], v[2:3], off
.LBB42_59:                              ;   in Loop: Header=BB42_55 Depth=1
	s_wait_alu 0xfffe
	s_or_b32 exec_lo, exec_lo, s22
.LBB42_60:                              ;   in Loop: Header=BB42_55 Depth=1
	s_wait_alu 0xfffe
	s_or_b32 exec_lo, exec_lo, s2
	v_add_co_u32 v17, vcc_lo, 0xffffffc1, v107
	s_wait_alu 0xfffd
	v_add_co_ci_u32_e64 v18, null, -1, v108, vcc_lo
	v_mov_b32_e32 v16, v1
	v_dual_mov_b32 v2, v1 :: v_dual_mov_b32 v3, v1
	v_dual_mov_b32 v4, v1 :: v_dual_mov_b32 v5, v1
	;; [unrolled: 1-line block ×7, first 2 shown]
	v_cmp_gt_i64_e32 vcc_lo, s[4:5], v[17:18]
	s_delay_alu instid0(VALU_DEP_3) | instskip(NEXT) | instid1(VALU_DEP_3)
	v_dual_mov_b32 v33, v16 :: v_dual_mov_b32 v30, v13
	v_dual_mov_b32 v31, v14 :: v_dual_mov_b32 v32, v15
	;; [unrolled: 1-line block ×8, first 2 shown]
	v_mov_b32_e32 v17, v16
	v_mov_b32_e32 v16, v15
	;; [unrolled: 1-line block ×16, first 2 shown]
	s_and_saveexec_b32 s2, vcc_lo
	s_cbranch_execz .LBB42_62
; %bb.61:                               ;   in Loop: Header=BB42_55 Depth=1
	v_add_co_u32 v2, vcc_lo, v75, v38
	s_wait_alu 0xfffd
	v_add_co_ci_u32_e64 v3, null, v76, v39, vcc_lo
	v_add_co_u32 v4, vcc_lo, v77, v38
	s_wait_alu 0xfffd
	v_add_co_ci_u32_e64 v5, null, v78, v39, vcc_lo
	global_load_b64 v[2:3], v[2:3], off
	global_load_b64 v[18:19], v[4:5], off
	v_dual_mov_b32 v4, v1 :: v_dual_mov_b32 v5, v1
	v_dual_mov_b32 v6, v1 :: v_dual_mov_b32 v7, v1
	;; [unrolled: 1-line block ×14, first 2 shown]
.LBB42_62:                              ;   in Loop: Header=BB42_55 Depth=1
	s_wait_alu 0xfffe
	s_or_b32 exec_lo, exec_lo, s2
	v_add_co_u32 v109, vcc_lo, 0xffffffc2, v107
	s_wait_alu 0xfffd
	v_add_co_ci_u32_e64 v110, null, -1, v108, vcc_lo
	s_mov_b32 s2, exec_lo
	v_cmpx_gt_i64_e64 s[4:5], v[109:110]
	s_cbranch_execz .LBB42_64
; %bb.63:                               ;   in Loop: Header=BB42_55 Depth=1
	v_add_co_u32 v4, vcc_lo, v103, v38
	s_wait_alu 0xfffd
	v_add_co_ci_u32_e64 v5, null, v104, v39, vcc_lo
	v_add_co_u32 v20, vcc_lo, v105, v38
	s_wait_alu 0xfffd
	v_add_co_ci_u32_e64 v21, null, v106, v39, vcc_lo
	global_load_b64 v[4:5], v[4:5], off
	global_load_b64 v[20:21], v[20:21], off
.LBB42_64:                              ;   in Loop: Header=BB42_55 Depth=1
	s_wait_alu 0xfffe
	s_or_b32 exec_lo, exec_lo, s2
	v_add_co_u32 v109, vcc_lo, 0xffffffc3, v107
	s_wait_alu 0xfffd
	v_add_co_ci_u32_e64 v110, null, -1, v108, vcc_lo
	s_mov_b32 s2, exec_lo
	v_cmpx_gt_i64_e64 s[4:5], v[109:110]
	s_cbranch_execz .LBB42_66
; %bb.65:                               ;   in Loop: Header=BB42_55 Depth=1
	v_add_co_u32 v6, vcc_lo, v99, v38
	s_wait_alu 0xfffd
	v_add_co_ci_u32_e64 v7, null, v100, v39, vcc_lo
	v_add_co_u32 v22, vcc_lo, v101, v38
	s_wait_alu 0xfffd
	v_add_co_ci_u32_e64 v23, null, v102, v39, vcc_lo
	global_load_b64 v[6:7], v[6:7], off
	global_load_b64 v[22:23], v[22:23], off
.LBB42_66:                              ;   in Loop: Header=BB42_55 Depth=1
	;; [unrolled: 18-line block ×7, first 2 shown]
	s_wait_alu 0xfffe
	s_or_b32 exec_lo, exec_lo, s2
	s_wait_loadcnt 0x1
	ds_bpermute_b32 v109, v1, v70
	ds_bpermute_b32 v110, v1, v71
	s_wait_loadcnt 0x0
	ds_bpermute_b32 v111, v1, v68
	ds_bpermute_b32 v112, v1, v69
	s_mov_b32 s2, 0
	s_wait_dscnt 0x2
	v_add_f64_e64 v[18:19], v[18:19], -v[109:110]
	ds_bpermute_b32 v109, v1, v70 offset:4
	ds_bpermute_b32 v110, v1, v71 offset:4
	s_wait_dscnt 0x0
	v_add_f64_e64 v[20:21], v[20:21], -v[109:110]
	ds_bpermute_b32 v109, v1, v70 offset:8
	ds_bpermute_b32 v110, v1, v71 offset:8
	v_mul_f64_e32 v[18:19], v[2:3], v[18:19]
	v_add_f64_e32 v[2:3], v[36:37], v[2:3]
	s_wait_dscnt 0x0
	v_add_f64_e64 v[22:23], v[22:23], -v[109:110]
	ds_bpermute_b32 v109, v1, v70 offset:12
	ds_bpermute_b32 v110, v1, v71 offset:12
	v_mul_f64_e32 v[20:21], v[4:5], v[20:21]
	s_wait_dscnt 0x0
	v_add_f64_e64 v[24:25], v[24:25], -v[109:110]
	v_fma_f64 v[18:19], v[18:19], v[111:112], v[34:35]
	ds_bpermute_b32 v111, v1, v68 offset:4
	ds_bpermute_b32 v112, v1, v69 offset:4
	v_add_f64_e32 v[2:3], v[4:5], v[2:3]
	v_mul_f64_e32 v[4:5], v[6:7], v[22:23]
	ds_bpermute_b32 v22, v1, v68 offset:8
	ds_bpermute_b32 v23, v1, v69 offset:8
	v_mul_f64_e32 v[24:25], v[8:9], v[24:25]
	s_wait_dscnt 0x2
	v_fma_f64 v[18:19], v[20:21], v[111:112], v[18:19]
	ds_bpermute_b32 v20, v1, v70 offset:16
	ds_bpermute_b32 v21, v1, v71 offset:16
	v_add_f64_e32 v[2:3], v[6:7], v[2:3]
	ds_bpermute_b32 v6, v1, v70 offset:20
	ds_bpermute_b32 v7, v1, v71 offset:20
	s_wait_dscnt 0x2
	v_add_f64_e64 v[20:21], v[26:27], -v[20:21]
	s_wait_dscnt 0x0
	v_add_f64_e64 v[6:7], v[28:29], -v[6:7]
	v_fma_f64 v[4:5], v[4:5], v[22:23], v[18:19]
	ds_bpermute_b32 v18, v1, v68 offset:12
	ds_bpermute_b32 v19, v1, v69 offset:12
	v_add_f64_e32 v[2:3], v[8:9], v[2:3]
	ds_bpermute_b32 v8, v1, v70 offset:24
	ds_bpermute_b32 v9, v1, v71 offset:24
	;; [unrolled: 1-line block ×4, first 2 shown]
	v_mul_f64_e32 v[20:21], v[10:11], v[20:21]
	s_wait_dscnt 0x2
	v_add_f64_e64 v[8:9], v[30:31], -v[8:9]
	v_mul_f64_e32 v[6:7], v[12:13], v[6:7]
	v_fma_f64 v[4:5], v[24:25], v[18:19], v[4:5]
	ds_bpermute_b32 v18, v1, v68 offset:16
	ds_bpermute_b32 v19, v1, v69 offset:16
	v_add_f64_e32 v[2:3], v[10:11], v[2:3]
	s_wait_dscnt 0x2
	v_add_f64_e64 v[10:11], v[32:33], -v[22:23]
	v_mul_f64_e32 v[8:9], v[14:15], v[8:9]
	s_wait_dscnt 0x0
	v_fma_f64 v[4:5], v[20:21], v[18:19], v[4:5]
	ds_bpermute_b32 v18, v1, v68 offset:20
	ds_bpermute_b32 v19, v1, v69 offset:20
	v_add_f64_e32 v[2:3], v[12:13], v[2:3]
	v_mul_f64_e32 v[10:11], v[16:17], v[10:11]
	ds_bpermute_b32 v12, v1, v68 offset:28
	ds_bpermute_b32 v13, v1, v69 offset:28
	s_wait_dscnt 0x2
	v_fma_f64 v[4:5], v[6:7], v[18:19], v[4:5]
	ds_bpermute_b32 v6, v1, v68 offset:24
	ds_bpermute_b32 v7, v1, v69 offset:24
	v_add_f64_e32 v[2:3], v[14:15], v[2:3]
	s_wait_dscnt 0x0
	v_fma_f64 v[6:7], v[8:9], v[6:7], v[4:5]
	v_mul_f64_e32 v[4:5], v[10:11], v[12:13]
.LBB42_77:                              ;   in Loop: Header=BB42_55 Depth=1
	s_wait_alu 0xfffe
	s_and_b32 vcc_lo, exec_lo, s2
	s_wait_alu 0xfffe
	s_cbranch_vccz .LBB42_54
; %bb.78:                               ;   in Loop: Header=BB42_55 Depth=1
	s_load_b32 s2, s[8:9], 0x0
	v_mov_b32_e32 v4, 0
	v_mov_b32_e32 v5, 0
	s_wait_kmcnt 0x0
	s_cmp_lt_u32 ttmp9, s2
	s_cselect_b32 s2, 12, 18
	s_wait_alu 0xfffe
	s_add_nc_u64 s[22:23], s[8:9], s[2:3]
	s_load_u16 s2, s[22:23], 0x0
	s_wait_kmcnt 0x0
	v_mad_u32_u24 v2, v72, s2, v74
	s_mov_b32 s2, exec_lo
	s_delay_alu instid0(VALU_DEP_1) | instskip(SKIP_2) | instid1(VALU_DEP_3)
	v_and_b32_e32 v6, 31, v2
	v_mov_b32_e32 v2, 0
	v_mov_b32_e32 v3, 0
	v_cmpx_gt_u32_e32 8, v6
	s_cbranch_execz .LBB42_53
; %bb.79:                               ;   in Loop: Header=BB42_55 Depth=1
	v_add_co_u32 v2, vcc_lo, v107, v6
	s_wait_alu 0xfffd
	v_add_co_ci_u32_e64 v3, null, 0, v108, vcc_lo
	v_mov_b32_e32 v4, 0
	s_delay_alu instid0(VALU_DEP_3) | instskip(SKIP_1) | instid1(VALU_DEP_3)
	v_add_co_u32 v6, vcc_lo, 0xffffffc1, v2
	s_wait_alu 0xfffd
	v_add_co_ci_u32_e64 v7, null, -1, v3, vcc_lo
	v_dual_mov_b32 v5, 0 :: v_dual_mov_b32 v2, 0
	v_mov_b32_e32 v3, 0
	s_mov_b32 s22, exec_lo
	s_delay_alu instid0(VALU_DEP_3)
	v_cmpx_gt_i64_e64 s[4:5], v[6:7]
	s_cbranch_execz .LBB42_52
; %bb.80:                               ;   in Loop: Header=BB42_55 Depth=1
	v_lshlrev_b64_e32 v[2:3], 3, v[6:7]
	s_delay_alu instid0(VALU_DEP_1) | instskip(SKIP_1) | instid1(VALU_DEP_2)
	v_add_co_u32 v4, vcc_lo, s12, v2
	s_wait_alu 0xfffd
	v_add_co_ci_u32_e64 v5, null, s13, v3, vcc_lo
	v_add_co_u32 v2, vcc_lo, s14, v2
	s_wait_alu 0xfffd
	v_add_co_ci_u32_e64 v3, null, s15, v3, vcc_lo
	global_load_b64 v[4:5], v[4:5], off
	global_load_b64 v[2:3], v[2:3], off
	s_branch .LBB42_52
.LBB42_81:
	v_and_b32_e32 v11, 0x3ff, v0
	v_bfe_u32 v1, v0, 10, 10
	v_bfe_u32 v0, v0, 5, 5
	s_mov_b32 s2, exec_lo
	s_delay_alu instid0(VALU_DEP_2) | instskip(NEXT) | instid1(VALU_DEP_2)
	v_mad_u32_u24 v2, v1, 33, v11
	v_add_nc_u32_e32 v8, v0, v1
	s_delay_alu instid0(VALU_DEP_2)
	v_lshl_add_u32 v0, v2, 3, 0
	ds_store_b64 v0, v[34:35]
	ds_store_b64 v0, v[36:37] offset:2112
	s_wait_dscnt 0x0
	s_barrier_signal -1
	s_barrier_wait -1
	global_inv scope:SCOPE_SE
	v_cmpx_gt_u32_e32 32, v8
	s_cbranch_execz .LBB42_113
; %bb.82:
	s_load_b128 s[8:11], s[0:1], 0x30
	v_and_b32_e32 v0, 31, v11
                                        ; implicit-def: $vgpr2_vgpr3
	s_delay_alu instid0(VALU_DEP_1)
	v_cmp_gt_u32_e64 s0, 8, v0
	v_mul_u32_u24_e32 v6, 33, v0
                                        ; implicit-def: $vgpr0_vgpr1
	s_and_saveexec_b32 s1, s0
	s_cbranch_execz .LBB42_84
; %bb.83:
	s_delay_alu instid0(VALU_DEP_1) | instskip(NEXT) | instid1(VALU_DEP_1)
	v_add_nc_u32_e32 v0, v8, v6
	v_lshl_add_u32 v0, v0, 3, 0
	ds_load_b64 v[2:3], v0
	ds_load_b64 v[0:1], v0 offset:2112
.LBB42_84:
	s_or_b32 exec_lo, exec_lo, s1
	v_mbcnt_lo_u32_b32 v14, -1, 0
	s_mov_b32 s2, ttmp9
	s_mov_b32 s3, 0
	v_cmp_eq_u32_e64 s1, 0, v11
	s_wait_alu 0xfffe
	s_lshl_b64 s[2:3], s[2:3], 5
	v_xor_b32_e32 v4, 4, v14
	s_wait_kmcnt 0x0
	s_cmp_lg_u64 s[8:9], 0
	s_cselect_b32 s5, -1, 0
	s_cmp_lg_u64 s[10:11], 0
	v_cmp_gt_i32_e32 vcc_lo, 32, v4
	s_cselect_b32 s4, -1, 0
	s_wait_alu 0xfffd
	v_cndmask_b32_e32 v4, v14, v4, vcc_lo
	s_delay_alu instid0(VALU_DEP_1)
	v_lshlrev_b32_e32 v7, 2, v4
	s_wait_dscnt 0x1
	ds_bpermute_b32 v4, v7, v2
	ds_bpermute_b32 v5, v7, v3
	s_wait_dscnt 0x2
	ds_bpermute_b32 v9, v7, v0
	ds_bpermute_b32 v10, v7, v1
	s_wait_dscnt 0x2
	v_add_f64_e32 v[2:3], v[2:3], v[4:5]
	v_xor_b32_e32 v4, 2, v14
	s_wait_dscnt 0x0
	v_add_f64_e32 v[0:1], v[0:1], v[9:10]
	s_delay_alu instid0(VALU_DEP_2) | instskip(SKIP_2) | instid1(VALU_DEP_1)
	v_cmp_gt_i32_e32 vcc_lo, 32, v4
	s_wait_alu 0xfffd
	v_cndmask_b32_e32 v4, v14, v4, vcc_lo
	v_lshlrev_b32_e32 v9, 2, v4
	ds_bpermute_b32 v4, v9, v2
	ds_bpermute_b32 v5, v9, v3
	;; [unrolled: 1-line block ×4, first 2 shown]
	s_wait_dscnt 0x2
	v_add_f64_e32 v[2:3], v[2:3], v[4:5]
	s_wait_dscnt 0x0
	v_add_f64_e32 v[4:5], v[0:1], v[12:13]
	v_xor_b32_e32 v0, 1, v14
	s_delay_alu instid0(VALU_DEP_1) | instskip(SKIP_2) | instid1(VALU_DEP_1)
	v_cmp_gt_i32_e32 vcc_lo, 32, v0
	s_wait_alu 0xfffd
	v_cndmask_b32_e32 v0, v14, v0, vcc_lo
	v_lshlrev_b32_e32 v10, 2, v0
	ds_bpermute_b32 v0, v10, v2
	ds_bpermute_b32 v1, v10, v3
	;; [unrolled: 1-line block ×4, first 2 shown]
	s_wait_dscnt 0x2
	v_add_f64_e32 v[0:1], v[2:3], v[0:1]
	s_wait_dscnt 0x0
	v_add_f64_e32 v[2:3], v[4:5], v[12:13]
	s_wait_alu 0xfffe
	v_or_b32_e32 v4, s2, v8
	v_mov_b32_e32 v5, s3
	s_delay_alu instid0(VALU_DEP_1)
	v_cmp_gt_i64_e32 vcc_lo, s[6:7], v[4:5]
	s_and_b32 s13, s1, vcc_lo
	s_wait_alu 0xfffe
	s_and_saveexec_b32 s12, s13
	s_cbranch_execz .LBB42_89
; %bb.85:
	v_lshlrev_b64_e32 v[4:5], 3, v[4:5]
	s_and_not1_b32 vcc_lo, exec_lo, s5
	s_wait_alu 0xfffe
	s_cbranch_vccnz .LBB42_87
; %bb.86:
	s_delay_alu instid0(VALU_DEP_1)
	v_add_co_u32 v11, vcc_lo, s8, v4
	s_wait_alu 0xfffd
	v_add_co_ci_u32_e64 v12, null, s9, v5, vcc_lo
	global_store_b64 v[11:12], v[0:1], off
.LBB42_87:
	s_and_not1_b32 vcc_lo, exec_lo, s4
	s_wait_alu 0xfffe
	s_cbranch_vccnz .LBB42_89
; %bb.88:
	v_add_co_u32 v4, vcc_lo, s10, v4
	s_wait_alu 0xfffd
	v_add_co_ci_u32_e64 v5, null, s11, v5, vcc_lo
	global_store_b64 v[4:5], v[2:3], off
.LBB42_89:
	s_wait_alu 0xfffe
	s_or_b32 exec_lo, exec_lo, s12
	v_cmp_gt_u32_e32 vcc_lo, 24, v8
	s_and_b32 exec_lo, exec_lo, vcc_lo
	s_cbranch_execz .LBB42_113
; %bb.90:
	s_and_saveexec_b32 s12, s0
	s_cbranch_execz .LBB42_92
; %bb.91:
	v_add_nc_u32_e32 v0, v8, v6
	s_delay_alu instid0(VALU_DEP_1)
	v_lshl_add_u32 v2, v0, 3, 0
	ds_load_b64 v[0:1], v2 offset:64
	ds_load_b64 v[2:3], v2 offset:2176
.LBB42_92:
	s_wait_alu 0xfffe
	s_or_b32 exec_lo, exec_lo, s12
	s_wait_dscnt 0x1
	ds_bpermute_b32 v4, v7, v0
	ds_bpermute_b32 v5, v7, v1
	s_wait_dscnt 0x2
	ds_bpermute_b32 v11, v7, v2
	ds_bpermute_b32 v12, v7, v3
	s_wait_dscnt 0x2
	v_add_f64_e32 v[0:1], v[0:1], v[4:5]
	s_wait_dscnt 0x0
	v_add_f64_e32 v[2:3], v[2:3], v[11:12]
	ds_bpermute_b32 v4, v9, v0
	ds_bpermute_b32 v5, v9, v1
	ds_bpermute_b32 v11, v9, v2
	ds_bpermute_b32 v12, v9, v3
	s_wait_dscnt 0x2
	v_add_f64_e32 v[0:1], v[0:1], v[4:5]
	s_wait_dscnt 0x0
	v_add_f64_e32 v[2:3], v[2:3], v[11:12]
	ds_bpermute_b32 v4, v10, v0
	ds_bpermute_b32 v5, v10, v1
	;; [unrolled: 1-line block ×4, first 2 shown]
	s_wait_dscnt 0x2
	v_add_f64_e32 v[0:1], v[0:1], v[4:5]
	v_add_nc_u32_e32 v4, 8, v8
	s_wait_dscnt 0x0
	v_add_f64_e32 v[2:3], v[2:3], v[11:12]
	s_delay_alu instid0(VALU_DEP_2) | instskip(SKIP_2) | instid1(VALU_DEP_1)
	v_add_co_u32 v4, s12, s2, v4
	s_wait_alu 0xf1ff
	v_add_co_ci_u32_e64 v5, null, s3, 0, s12
	v_cmp_gt_i64_e32 vcc_lo, s[6:7], v[4:5]
	s_and_b32 s13, s1, vcc_lo
	s_wait_alu 0xfffe
	s_and_saveexec_b32 s12, s13
	s_cbranch_execz .LBB42_97
; %bb.93:
	s_and_not1_b32 vcc_lo, exec_lo, s5
	s_wait_alu 0xfffe
	s_cbranch_vccnz .LBB42_95
; %bb.94:
	v_add_co_u32 v4, s13, s2, v8
	s_wait_alu 0xf1ff
	v_add_co_ci_u32_e64 v5, null, s3, 0, s13
	s_delay_alu instid0(VALU_DEP_1) | instskip(NEXT) | instid1(VALU_DEP_1)
	v_lshlrev_b64_e32 v[4:5], 3, v[4:5]
	v_add_co_u32 v4, vcc_lo, s8, v4
	s_wait_alu 0xfffd
	s_delay_alu instid0(VALU_DEP_2)
	v_add_co_ci_u32_e64 v5, null, s9, v5, vcc_lo
	global_store_b64 v[4:5], v[0:1], off offset:64
.LBB42_95:
	s_and_not1_b32 vcc_lo, exec_lo, s4
	s_wait_alu 0xfffe
	s_cbranch_vccnz .LBB42_97
; %bb.96:
	v_add_co_u32 v4, s13, s2, v8
	s_wait_alu 0xf1ff
	v_add_co_ci_u32_e64 v5, null, s3, 0, s13
	s_delay_alu instid0(VALU_DEP_1) | instskip(NEXT) | instid1(VALU_DEP_1)
	v_lshlrev_b64_e32 v[4:5], 3, v[4:5]
	v_add_co_u32 v4, vcc_lo, s10, v4
	s_wait_alu 0xfffd
	s_delay_alu instid0(VALU_DEP_2)
	v_add_co_ci_u32_e64 v5, null, s11, v5, vcc_lo
	global_store_b64 v[4:5], v[2:3], off offset:64
.LBB42_97:
	s_wait_alu 0xfffe
	s_or_b32 exec_lo, exec_lo, s12
	v_cmp_gt_u32_e32 vcc_lo, 16, v8
	s_and_b32 exec_lo, exec_lo, vcc_lo
	s_cbranch_execz .LBB42_113
; %bb.98:
	s_and_saveexec_b32 s12, s0
	s_cbranch_execz .LBB42_100
; %bb.99:
	v_add_nc_u32_e32 v0, v8, v6
	s_delay_alu instid0(VALU_DEP_1)
	v_lshl_add_u32 v2, v0, 3, 0
	ds_load_b64 v[0:1], v2 offset:128
	ds_load_b64 v[2:3], v2 offset:2240
.LBB42_100:
	s_wait_alu 0xfffe
	s_or_b32 exec_lo, exec_lo, s12
	s_wait_dscnt 0x1
	ds_bpermute_b32 v4, v7, v0
	ds_bpermute_b32 v5, v7, v1
	s_wait_dscnt 0x2
	ds_bpermute_b32 v11, v7, v2
	ds_bpermute_b32 v12, v7, v3
	s_wait_dscnt 0x2
	v_add_f64_e32 v[0:1], v[0:1], v[4:5]
	s_wait_dscnt 0x0
	v_add_f64_e32 v[2:3], v[2:3], v[11:12]
	ds_bpermute_b32 v4, v9, v0
	ds_bpermute_b32 v5, v9, v1
	;; [unrolled: 1-line block ×4, first 2 shown]
	s_wait_dscnt 0x2
	v_add_f64_e32 v[0:1], v[0:1], v[4:5]
	s_wait_dscnt 0x0
	v_add_f64_e32 v[2:3], v[2:3], v[11:12]
	ds_bpermute_b32 v4, v10, v0
	ds_bpermute_b32 v5, v10, v1
	ds_bpermute_b32 v11, v10, v2
	ds_bpermute_b32 v12, v10, v3
	s_wait_dscnt 0x2
	v_add_f64_e32 v[0:1], v[0:1], v[4:5]
	v_dual_mov_b32 v5, s3 :: v_dual_add_nc_u32 v4, 16, v8
	s_wait_dscnt 0x0
	v_add_f64_e32 v[2:3], v[2:3], v[11:12]
	s_delay_alu instid0(VALU_DEP_2) | instskip(NEXT) | instid1(VALU_DEP_1)
	v_or_b32_e32 v4, s2, v4
	v_cmp_gt_i64_e32 vcc_lo, s[6:7], v[4:5]
	s_and_b32 s13, s1, vcc_lo
	s_wait_alu 0xfffe
	s_and_saveexec_b32 s12, s13
	s_cbranch_execz .LBB42_105
; %bb.101:
	s_and_not1_b32 vcc_lo, exec_lo, s5
	s_wait_alu 0xfffe
	s_cbranch_vccnz .LBB42_103
; %bb.102:
	v_add_co_u32 v4, s13, s2, v8
	s_wait_alu 0xf1ff
	v_add_co_ci_u32_e64 v5, null, s3, 0, s13
	s_delay_alu instid0(VALU_DEP_1) | instskip(NEXT) | instid1(VALU_DEP_1)
	v_lshlrev_b64_e32 v[4:5], 3, v[4:5]
	v_add_co_u32 v4, vcc_lo, s8, v4
	s_wait_alu 0xfffd
	s_delay_alu instid0(VALU_DEP_2)
	v_add_co_ci_u32_e64 v5, null, s9, v5, vcc_lo
	global_store_b64 v[4:5], v[0:1], off offset:128
.LBB42_103:
	s_and_not1_b32 vcc_lo, exec_lo, s4
	s_wait_alu 0xfffe
	s_cbranch_vccnz .LBB42_105
; %bb.104:
	v_add_co_u32 v4, s13, s2, v8
	s_wait_alu 0xf1ff
	v_add_co_ci_u32_e64 v5, null, s3, 0, s13
	s_delay_alu instid0(VALU_DEP_1) | instskip(NEXT) | instid1(VALU_DEP_1)
	v_lshlrev_b64_e32 v[4:5], 3, v[4:5]
	v_add_co_u32 v4, vcc_lo, s10, v4
	s_wait_alu 0xfffd
	s_delay_alu instid0(VALU_DEP_2)
	v_add_co_ci_u32_e64 v5, null, s11, v5, vcc_lo
	global_store_b64 v[4:5], v[2:3], off offset:128
.LBB42_105:
	s_wait_alu 0xfffe
	s_or_b32 exec_lo, exec_lo, s12
	v_cmp_gt_u32_e32 vcc_lo, 8, v8
	s_and_b32 exec_lo, exec_lo, vcc_lo
	s_cbranch_execz .LBB42_113
; %bb.106:
	s_and_saveexec_b32 s12, s0
	s_cbranch_execz .LBB42_108
; %bb.107:
	v_add_nc_u32_e32 v0, v8, v6
	s_delay_alu instid0(VALU_DEP_1)
	v_lshl_add_u32 v2, v0, 3, 0
	ds_load_b64 v[0:1], v2 offset:192
	ds_load_b64 v[2:3], v2 offset:2304
.LBB42_108:
	s_wait_alu 0xfffe
	s_or_b32 exec_lo, exec_lo, s12
	s_wait_dscnt 0x1
	ds_bpermute_b32 v4, v7, v0
	ds_bpermute_b32 v5, v7, v1
	s_wait_dscnt 0x2
	ds_bpermute_b32 v6, v7, v2
	ds_bpermute_b32 v7, v7, v3
	s_wait_dscnt 0x2
	v_add_f64_e32 v[0:1], v[0:1], v[4:5]
	s_wait_dscnt 0x0
	v_add_f64_e32 v[2:3], v[2:3], v[6:7]
	ds_bpermute_b32 v4, v9, v0
	ds_bpermute_b32 v5, v9, v1
	ds_bpermute_b32 v6, v9, v2
	ds_bpermute_b32 v7, v9, v3
	v_add_nc_u32_e32 v9, 24, v8
	s_wait_dscnt 0x2
	v_add_f64_e32 v[4:5], v[0:1], v[4:5]
	s_wait_dscnt 0x0
	v_add_f64_e32 v[0:1], v[2:3], v[6:7]
	ds_bpermute_b32 v6, v10, v4
	ds_bpermute_b32 v7, v10, v5
	;; [unrolled: 1-line block ×4, first 2 shown]
	v_mov_b32_e32 v10, s3
	v_or_b32_e32 v9, s2, v9
	s_delay_alu instid0(VALU_DEP_1) | instskip(SKIP_1) | instid1(SALU_CYCLE_1)
	v_cmp_gt_i64_e32 vcc_lo, s[6:7], v[9:10]
	s_and_b32 s0, s1, vcc_lo
	s_and_b32 exec_lo, exec_lo, s0
	s_cbranch_execz .LBB42_113
; %bb.109:
	s_and_not1_b32 vcc_lo, exec_lo, s5
	s_wait_alu 0xfffe
	s_cbranch_vccnz .LBB42_111
; %bb.110:
	s_wait_dscnt 0x2
	v_add_f64_e32 v[4:5], v[4:5], v[6:7]
	v_add_co_u32 v6, s0, s2, v8
	s_delay_alu instid0(VALU_DEP_1) | instskip(NEXT) | instid1(VALU_DEP_1)
	v_add_co_ci_u32_e64 v7, null, s3, 0, s0
	v_lshlrev_b64_e32 v[6:7], 3, v[6:7]
	s_delay_alu instid0(VALU_DEP_1) | instskip(SKIP_1) | instid1(VALU_DEP_2)
	v_add_co_u32 v6, vcc_lo, s8, v6
	s_wait_alu 0xfffd
	v_add_co_ci_u32_e64 v7, null, s9, v7, vcc_lo
	global_store_b64 v[6:7], v[4:5], off offset:192
.LBB42_111:
	s_and_not1_b32 vcc_lo, exec_lo, s4
	s_wait_alu 0xfffe
	s_cbranch_vccnz .LBB42_113
; %bb.112:
	s_wait_dscnt 0x0
	v_add_f64_e32 v[0:1], v[0:1], v[2:3]
	v_add_co_u32 v2, s0, s2, v8
	s_wait_alu 0xf1ff
	v_add_co_ci_u32_e64 v3, null, s3, 0, s0
	s_delay_alu instid0(VALU_DEP_1) | instskip(NEXT) | instid1(VALU_DEP_1)
	v_lshlrev_b64_e32 v[2:3], 3, v[2:3]
	v_add_co_u32 v2, vcc_lo, s10, v2
	s_wait_alu 0xfffd
	s_delay_alu instid0(VALU_DEP_2)
	v_add_co_ci_u32_e64 v3, null, s11, v3, vcc_lo
	global_store_b64 v[2:3], v[0:1], off offset:192
.LBB42_113:
	s_nop 0
	s_sendmsg sendmsg(MSG_DEALLOC_VGPRS)
	s_endpgm
	.section	.rodata,"a",@progbits
	.p2align	6, 0x0
	.amdhsa_kernel _ZN2at6native12_GLOBAL__N_135GammaBetaBackwardCUDAKernelTemplateIddLj32ELj8ELj64ELb0ELb0ELb0EEEvllPKT_S5_PKT0_S8_PS3_S9_
		.amdhsa_group_segment_fixed_size 0
		.amdhsa_private_segment_fixed_size 0
		.amdhsa_kernarg_size 320
		.amdhsa_user_sgpr_count 2
		.amdhsa_user_sgpr_dispatch_ptr 0
		.amdhsa_user_sgpr_queue_ptr 0
		.amdhsa_user_sgpr_kernarg_segment_ptr 1
		.amdhsa_user_sgpr_dispatch_id 0
		.amdhsa_user_sgpr_private_segment_size 0
		.amdhsa_wavefront_size32 1
		.amdhsa_uses_dynamic_stack 0
		.amdhsa_enable_private_segment 0
		.amdhsa_system_sgpr_workgroup_id_x 1
		.amdhsa_system_sgpr_workgroup_id_y 1
		.amdhsa_system_sgpr_workgroup_id_z 0
		.amdhsa_system_sgpr_workgroup_info 0
		.amdhsa_system_vgpr_workitem_id 1
		.amdhsa_next_free_vgpr 113
		.amdhsa_next_free_sgpr 36
		.amdhsa_reserve_vcc 1
		.amdhsa_float_round_mode_32 0
		.amdhsa_float_round_mode_16_64 0
		.amdhsa_float_denorm_mode_32 3
		.amdhsa_float_denorm_mode_16_64 3
		.amdhsa_fp16_overflow 0
		.amdhsa_workgroup_processor_mode 1
		.amdhsa_memory_ordered 1
		.amdhsa_forward_progress 1
		.amdhsa_inst_pref_size 97
		.amdhsa_round_robin_scheduling 0
		.amdhsa_exception_fp_ieee_invalid_op 0
		.amdhsa_exception_fp_denorm_src 0
		.amdhsa_exception_fp_ieee_div_zero 0
		.amdhsa_exception_fp_ieee_overflow 0
		.amdhsa_exception_fp_ieee_underflow 0
		.amdhsa_exception_fp_ieee_inexact 0
		.amdhsa_exception_int_div_zero 0
	.end_amdhsa_kernel
	.section	.text._ZN2at6native12_GLOBAL__N_135GammaBetaBackwardCUDAKernelTemplateIddLj32ELj8ELj64ELb0ELb0ELb0EEEvllPKT_S5_PKT0_S8_PS3_S9_,"axG",@progbits,_ZN2at6native12_GLOBAL__N_135GammaBetaBackwardCUDAKernelTemplateIddLj32ELj8ELj64ELb0ELb0ELb0EEEvllPKT_S5_PKT0_S8_PS3_S9_,comdat
.Lfunc_end42:
	.size	_ZN2at6native12_GLOBAL__N_135GammaBetaBackwardCUDAKernelTemplateIddLj32ELj8ELj64ELb0ELb0ELb0EEEvllPKT_S5_PKT0_S8_PS3_S9_, .Lfunc_end42-_ZN2at6native12_GLOBAL__N_135GammaBetaBackwardCUDAKernelTemplateIddLj32ELj8ELj64ELb0ELb0ELb0EEEvllPKT_S5_PKT0_S8_PS3_S9_
                                        ; -- End function
	.set _ZN2at6native12_GLOBAL__N_135GammaBetaBackwardCUDAKernelTemplateIddLj32ELj8ELj64ELb0ELb0ELb0EEEvllPKT_S5_PKT0_S8_PS3_S9_.num_vgpr, 113
	.set _ZN2at6native12_GLOBAL__N_135GammaBetaBackwardCUDAKernelTemplateIddLj32ELj8ELj64ELb0ELb0ELb0EEEvllPKT_S5_PKT0_S8_PS3_S9_.num_agpr, 0
	.set _ZN2at6native12_GLOBAL__N_135GammaBetaBackwardCUDAKernelTemplateIddLj32ELj8ELj64ELb0ELb0ELb0EEEvllPKT_S5_PKT0_S8_PS3_S9_.numbered_sgpr, 36
	.set _ZN2at6native12_GLOBAL__N_135GammaBetaBackwardCUDAKernelTemplateIddLj32ELj8ELj64ELb0ELb0ELb0EEEvllPKT_S5_PKT0_S8_PS3_S9_.num_named_barrier, 0
	.set _ZN2at6native12_GLOBAL__N_135GammaBetaBackwardCUDAKernelTemplateIddLj32ELj8ELj64ELb0ELb0ELb0EEEvllPKT_S5_PKT0_S8_PS3_S9_.private_seg_size, 0
	.set _ZN2at6native12_GLOBAL__N_135GammaBetaBackwardCUDAKernelTemplateIddLj32ELj8ELj64ELb0ELb0ELb0EEEvllPKT_S5_PKT0_S8_PS3_S9_.uses_vcc, 1
	.set _ZN2at6native12_GLOBAL__N_135GammaBetaBackwardCUDAKernelTemplateIddLj32ELj8ELj64ELb0ELb0ELb0EEEvllPKT_S5_PKT0_S8_PS3_S9_.uses_flat_scratch, 0
	.set _ZN2at6native12_GLOBAL__N_135GammaBetaBackwardCUDAKernelTemplateIddLj32ELj8ELj64ELb0ELb0ELb0EEEvllPKT_S5_PKT0_S8_PS3_S9_.has_dyn_sized_stack, 0
	.set _ZN2at6native12_GLOBAL__N_135GammaBetaBackwardCUDAKernelTemplateIddLj32ELj8ELj64ELb0ELb0ELb0EEEvllPKT_S5_PKT0_S8_PS3_S9_.has_recursion, 0
	.set _ZN2at6native12_GLOBAL__N_135GammaBetaBackwardCUDAKernelTemplateIddLj32ELj8ELj64ELb0ELb0ELb0EEEvllPKT_S5_PKT0_S8_PS3_S9_.has_indirect_call, 0
	.section	.AMDGPU.csdata,"",@progbits
; Kernel info:
; codeLenInByte = 12388
; TotalNumSgprs: 38
; NumVgprs: 113
; ScratchSize: 0
; MemoryBound: 1
; FloatMode: 240
; IeeeMode: 1
; LDSByteSize: 0 bytes/workgroup (compile time only)
; SGPRBlocks: 0
; VGPRBlocks: 14
; NumSGPRsForWavesPerEU: 38
; NumVGPRsForWavesPerEU: 113
; Occupancy: 12
; WaveLimiterHint : 0
; COMPUTE_PGM_RSRC2:SCRATCH_EN: 0
; COMPUTE_PGM_RSRC2:USER_SGPR: 2
; COMPUTE_PGM_RSRC2:TRAP_HANDLER: 0
; COMPUTE_PGM_RSRC2:TGID_X_EN: 1
; COMPUTE_PGM_RSRC2:TGID_Y_EN: 1
; COMPUTE_PGM_RSRC2:TGID_Z_EN: 0
; COMPUTE_PGM_RSRC2:TIDIG_COMP_CNT: 1
	.section	.text._ZN2at6native12_GLOBAL__N_135GammaBetaBackwardCUDAKernelTemplateIddLj32ELj16ELj128ELb0ELb1ELb0EEEvllPKT_S5_PKT0_S8_PS3_S9_,"axG",@progbits,_ZN2at6native12_GLOBAL__N_135GammaBetaBackwardCUDAKernelTemplateIddLj32ELj16ELj128ELb0ELb1ELb0EEEvllPKT_S5_PKT0_S8_PS3_S9_,comdat
	.globl	_ZN2at6native12_GLOBAL__N_135GammaBetaBackwardCUDAKernelTemplateIddLj32ELj16ELj128ELb0ELb1ELb0EEEvllPKT_S5_PKT0_S8_PS3_S9_ ; -- Begin function _ZN2at6native12_GLOBAL__N_135GammaBetaBackwardCUDAKernelTemplateIddLj32ELj16ELj128ELb0ELb1ELb0EEEvllPKT_S5_PKT0_S8_PS3_S9_
	.p2align	8
	.type	_ZN2at6native12_GLOBAL__N_135GammaBetaBackwardCUDAKernelTemplateIddLj32ELj16ELj128ELb0ELb1ELb0EEEvllPKT_S5_PKT0_S8_PS3_S9_,@function
_ZN2at6native12_GLOBAL__N_135GammaBetaBackwardCUDAKernelTemplateIddLj32ELj16ELj128ELb0ELb1ELb0EEEvllPKT_S5_PKT0_S8_PS3_S9_: ; @_ZN2at6native12_GLOBAL__N_135GammaBetaBackwardCUDAKernelTemplateIddLj32ELj16ELj128ELb0ELb1ELb0EEEvllPKT_S5_PKT0_S8_PS3_S9_
; %bb.0:
	s_load_b128 s[16:19], s[0:1], 0x0
	s_lshl_b32 s2, ttmp7, 7
	s_mov_b32 s3, 0
	v_bfe_u32 v15, v0, 10, 10
	s_wait_kmcnt 0x0
	v_cmp_gt_i64_e64 s4, s[16:17], s[2:3]
	s_and_b32 vcc_lo, exec_lo, s4
	s_cbranch_vccnz .LBB43_2
; %bb.1:
	v_bfe_u32 v1, v0, 10, 10
	s_mov_b32 s4, s3
	s_branch .LBB43_3
.LBB43_2:
	s_mov_b32 s4, -1
                                        ; implicit-def: $vgpr1
.LBB43_3:
	s_load_b128 s[12:15], s[0:1], 0x30
	v_mov_b32_e32 v8, 0
	v_dual_mov_b32 v9, 0 :: v_dual_mov_b32 v6, 0
	v_dual_mov_b32 v7, 0 :: v_dual_and_b32 v14, 0x3ff, v0
	s_and_not1_b32 vcc_lo, exec_lo, s4
	s_cbranch_vccnz .LBB43_11
; %bb.4:
	s_load_b32 s20, s[0:1], 0x4c
	v_dual_mov_b32 v1, 0 :: v_dual_lshlrev_b32 v0, 3, v15
	s_clause 0x1
	s_load_b32 s22, s[0:1], 0x44
	s_load_b256 s[4:11], s[0:1], 0x10
	s_mov_b32 s21, 0
	v_dual_mov_b32 v16, 8 :: v_dual_mov_b32 v17, 4
	v_add_co_u32 v2, s0, v0, s2
	s_delay_alu instid0(VALU_DEP_1) | instskip(SKIP_1) | instid1(VALU_DEP_3)
	v_add_co_ci_u32_e64 v3, null, 0, 0, s0
	v_lshl_add_u32 v0, ttmp9, 5, v14
	v_mul_lo_u32 v8, s19, v2
	v_mad_co_u64_u32 v[4:5], null, s18, v2, 0
	s_delay_alu instid0(VALU_DEP_4)
	v_mul_lo_u32 v9, s18, v3
	v_dual_mov_b32 v18, 12 :: v_dual_mov_b32 v19, 16
	v_dual_mov_b32 v20, 20 :: v_dual_mov_b32 v21, 24
	s_wait_kmcnt 0x0
	s_and_b32 s0, s20, 0xffff
	s_lshl_b32 s20, s22, 7
	s_wait_alu 0xfffe
	v_mad_u32_u24 v6, v15, s0, v14
	v_add3_u32 v5, v5, v9, v8
	s_mul_u64 s[24:25], s[18:19], s[20:21]
	s_lshl_b64 s[22:23], s[20:21], 3
	s_lshl_b64 s[24:25], s[24:25], 3
	v_and_b32_e32 v10, 31, v6
	v_lshlrev_b64_e32 v[6:7], 3, v[0:1]
	v_lshlrev_b64_e32 v[8:9], 3, v[4:5]
	v_mov_b32_e32 v0, 28
	s_lshl_b64 s[18:19], s[18:19], 3
	v_add_co_u32 v2, vcc_lo, v2, v10
	s_delay_alu instid0(VALU_DEP_1) | instskip(NEXT) | instid1(VALU_DEP_4)
	v_add_co_ci_u32_e64 v3, null, 0, v3, vcc_lo
	v_add_co_u32 v22, vcc_lo, v8, v6
	s_wait_alu 0xfffd
	v_add_co_ci_u32_e64 v23, null, v9, v7, vcc_lo
	s_delay_alu instid0(VALU_DEP_3)
	v_lshlrev_b64_e32 v[4:5], 3, v[2:3]
	v_mov_b32_e32 v6, 0
	v_dual_mov_b32 v8, 0 :: v_dual_mov_b32 v7, 0
	v_cmp_gt_u32_e64 s0, 8, v10
	v_mov_b32_e32 v9, 0
	s_branch .LBB43_7
.LBB43_5:                               ;   in Loop: Header=BB43_7 Depth=1
	s_or_b32 exec_lo, exec_lo, s26
.LBB43_6:                               ;   in Loop: Header=BB43_7 Depth=1
	s_wait_alu 0xfffe
	s_or_b32 exec_lo, exec_lo, s1
	v_add_co_u32 v24, vcc_lo, s6, v22
	s_wait_alu 0xfffd
	v_add_co_ci_u32_e64 v25, null, s7, v23, vcc_lo
	s_wait_loadcnt 0x1
	ds_bpermute_b32 v56, v1, v12
	ds_bpermute_b32 v57, v1, v13
	s_wait_loadcnt 0x0
	ds_bpermute_b32 v58, v1, v10
	global_load_b64 v[26:27], v[24:25], off
	v_add_co_u32 v24, vcc_lo, v24, s18
	s_wait_alu 0xfffd
	v_add_co_ci_u32_e64 v25, null, s19, v25, vcc_lo
	v_add_co_u32 v28, vcc_lo, s4, v22
	s_wait_alu 0xfffd
	v_add_co_ci_u32_e64 v29, null, s5, v23, vcc_lo
	global_load_b64 v[30:31], v[24:25], off
	global_load_b64 v[32:33], v[28:29], off
	v_add_co_u32 v24, vcc_lo, v24, s18
	s_wait_alu 0xfffd
	v_add_co_ci_u32_e64 v25, null, s19, v25, vcc_lo
	v_add_co_u32 v28, vcc_lo, v28, s18
	s_wait_alu 0xfffd
	v_add_co_ci_u32_e64 v29, null, s19, v29, vcc_lo
	global_load_b64 v[34:35], v[24:25], off
	;; [unrolled: 8-line block ×7, first 2 shown]
	global_load_b64 v[54:55], v[28:29], off
	v_add_co_u32 v28, vcc_lo, v28, s18
	s_wait_alu 0xfffd
	v_add_co_ci_u32_e64 v29, null, s19, v29, vcc_lo
	ds_bpermute_b32 v59, v1, v11
	v_add_co_u32 v4, vcc_lo, v4, s22
	global_load_b64 v[28:29], v[28:29], off
	s_add_nc_u64 s[2:3], s[2:3], s[20:21]
	s_wait_alu 0xfffd
	v_add_co_ci_u32_e64 v5, null, s23, v5, vcc_lo
	v_add_co_u32 v2, vcc_lo, v2, s20
	s_wait_alu 0xfffe
	v_cmp_lt_i64_e64 s1, s[2:3], s[16:17]
	s_wait_alu 0xfffd
	v_add_co_ci_u32_e64 v3, null, 0, v3, vcc_lo
	v_add_co_u32 v22, vcc_lo, v22, s24
	s_wait_alu 0xfffd
	v_add_co_ci_u32_e64 v23, null, s25, v23, vcc_lo
	s_and_b32 vcc_lo, exec_lo, s1
	s_wait_loadcnt_dscnt 0xf02
	v_add_f64_e64 v[26:27], v[26:27], -v[56:57]
	ds_bpermute_b32 v56, v17, v12
	ds_bpermute_b32 v57, v17, v13
	s_wait_loadcnt 0xd
	v_add_f64_e32 v[8:9], v[8:9], v[32:33]
	s_wait_dscnt 0x0
	v_add_f64_e64 v[30:31], v[30:31], -v[56:57]
	ds_bpermute_b32 v56, v16, v12
	ds_bpermute_b32 v57, v16, v13
	v_mul_f64_e32 v[26:27], v[32:33], v[26:27]
	ds_bpermute_b32 v32, v17, v10
	ds_bpermute_b32 v33, v17, v11
	s_wait_loadcnt_dscnt 0xc02
	v_add_f64_e64 v[34:35], v[34:35], -v[56:57]
	s_wait_loadcnt 0xb
	v_add_f64_e32 v[8:9], v[8:9], v[36:37]
	v_mul_f64_e32 v[30:31], v[36:37], v[30:31]
	v_fma_f64 v[6:7], v[26:27], v[58:59], v[6:7]
	ds_bpermute_b32 v26, v18, v12
	ds_bpermute_b32 v27, v18, v13
	s_wait_loadcnt 0x9
	v_mul_f64_e32 v[34:35], v[40:41], v[34:35]
	v_add_f64_e32 v[8:9], v[8:9], v[40:41]
	s_wait_dscnt 0x0
	v_add_f64_e64 v[26:27], v[38:39], -v[26:27]
	v_fma_f64 v[6:7], v[30:31], v[32:33], v[6:7]
	ds_bpermute_b32 v30, v19, v12
	ds_bpermute_b32 v31, v19, v13
	;; [unrolled: 1-line block ×4, first 2 shown]
	s_wait_loadcnt 0x7
	v_add_f64_e32 v[8:9], v[8:9], v[44:45]
	s_wait_dscnt 0x2
	v_add_f64_e64 v[30:31], v[42:43], -v[30:31]
	v_mul_f64_e32 v[26:27], v[44:45], v[26:27]
	s_wait_dscnt 0x0
	v_fma_f64 v[6:7], v[34:35], v[32:33], v[6:7]
	ds_bpermute_b32 v32, v20, v12
	ds_bpermute_b32 v33, v20, v13
	;; [unrolled: 1-line block ×4, first 2 shown]
	s_wait_loadcnt 0x5
	v_add_f64_e32 v[8:9], v[8:9], v[48:49]
	s_wait_dscnt 0x2
	v_add_f64_e64 v[32:33], v[46:47], -v[32:33]
	v_mul_f64_e32 v[30:31], v[48:49], v[30:31]
	s_wait_dscnt 0x0
	v_fma_f64 v[6:7], v[26:27], v[34:35], v[6:7]
	ds_bpermute_b32 v26, v21, v12
	ds_bpermute_b32 v27, v21, v13
	;; [unrolled: 1-line block ×6, first 2 shown]
	s_wait_loadcnt 0x3
	v_add_f64_e32 v[8:9], v[8:9], v[52:53]
	s_wait_dscnt 0x4
	v_add_f64_e64 v[26:27], v[50:51], -v[26:27]
	v_mul_f64_e32 v[32:33], v[52:53], v[32:33]
	s_wait_loadcnt_dscnt 0x200
	v_add_f64_e64 v[12:13], v[24:25], -v[12:13]
	v_fma_f64 v[6:7], v[30:31], v[34:35], v[6:7]
	ds_bpermute_b32 v30, v20, v10
	ds_bpermute_b32 v31, v20, v11
	s_wait_loadcnt 0x1
	v_add_f64_e32 v[8:9], v[8:9], v[54:55]
	v_mul_f64_e32 v[24:25], v[54:55], v[26:27]
	ds_bpermute_b32 v26, v21, v10
	ds_bpermute_b32 v27, v21, v11
	;; [unrolled: 1-line block ×3, first 2 shown]
	s_wait_loadcnt 0x0
	v_mul_f64_e32 v[12:13], v[28:29], v[12:13]
	ds_bpermute_b32 v11, v0, v11
	s_wait_dscnt 0x4
	v_fma_f64 v[6:7], v[32:33], v[30:31], v[6:7]
	v_add_f64_e32 v[8:9], v[8:9], v[28:29]
	s_wait_dscnt 0x2
	s_delay_alu instid0(VALU_DEP_2) | instskip(SKIP_1) | instid1(VALU_DEP_1)
	v_fma_f64 v[6:7], v[24:25], v[26:27], v[6:7]
	s_wait_dscnt 0x0
	v_fma_f64 v[6:7], v[12:13], v[10:11], v[6:7]
	s_wait_alu 0xfffe
	s_cbranch_vccz .LBB43_10
.LBB43_7:                               ; =>This Inner Loop Header: Depth=1
	v_mov_b32_e32 v10, 0
	v_dual_mov_b32 v11, 0 :: v_dual_mov_b32 v12, 0
	v_mov_b32_e32 v13, 0
	s_and_saveexec_b32 s1, s0
	s_cbranch_execz .LBB43_6
; %bb.8:                                ;   in Loop: Header=BB43_7 Depth=1
	v_mov_b32_e32 v12, 0
	v_dual_mov_b32 v13, 0 :: v_dual_mov_b32 v10, 0
	v_mov_b32_e32 v11, 0
	s_mov_b32 s26, exec_lo
	v_cmpx_gt_i64_e64 s[16:17], v[2:3]
	s_cbranch_execz .LBB43_5
; %bb.9:                                ;   in Loop: Header=BB43_7 Depth=1
	v_add_co_u32 v10, vcc_lo, s8, v4
	s_wait_alu 0xfffd
	v_add_co_ci_u32_e64 v11, null, s9, v5, vcc_lo
	v_add_co_u32 v24, vcc_lo, s10, v4
	s_wait_alu 0xfffd
	v_add_co_ci_u32_e64 v25, null, s11, v5, vcc_lo
	global_load_b64 v[12:13], v[10:11], off
	global_load_b64 v[10:11], v[24:25], off
	s_branch .LBB43_5
.LBB43_10:
	v_mov_b32_e32 v1, v15
.LBB43_11:
	s_delay_alu instid0(VALU_DEP_1) | instskip(SKIP_2) | instid1(VALU_DEP_2)
	v_mad_u32_u24 v0, v1, 33, v14
	v_lshrrev_b32_e32 v2, 5, v14
	s_mov_b32 s0, exec_lo
	v_lshl_add_u32 v0, v0, 3, 0
	s_delay_alu instid0(VALU_DEP_2)
	v_add_nc_u32_e32 v10, v2, v1
	ds_store_b64 v0, v[6:7]
	ds_store_b64 v0, v[8:9] offset:4224
	s_wait_dscnt 0x0
	s_barrier_signal -1
	s_barrier_wait -1
	global_inv scope:SCOPE_SE
	v_cmpx_gt_u32_e32 32, v10
	s_cbranch_execz .LBB43_27
; %bb.12:
	v_and_b32_e32 v0, 31, v14
                                        ; implicit-def: $vgpr2_vgpr3
	s_delay_alu instid0(VALU_DEP_1)
	v_cmp_gt_u32_e64 s0, 16, v0
	v_mul_u32_u24_e32 v6, 33, v0
                                        ; implicit-def: $vgpr0_vgpr1
	s_wait_alu 0xfffe
	s_and_saveexec_b32 s1, s0
	s_cbranch_execz .LBB43_14
; %bb.13:
	s_delay_alu instid0(VALU_DEP_1) | instskip(NEXT) | instid1(VALU_DEP_1)
	v_add_nc_u32_e32 v0, v10, v6
	v_lshl_add_u32 v0, v0, 3, 0
	ds_load_b64 v[2:3], v0
	ds_load_b64 v[0:1], v0 offset:4224
.LBB43_14:
	s_wait_alu 0xfffe
	s_or_b32 exec_lo, exec_lo, s1
	v_mbcnt_lo_u32_b32 v13, -1, 0
	s_mov_b32 s2, ttmp9
	s_mov_b32 s3, 0
	v_cmp_eq_u32_e64 s1, 0, v14
	s_wait_alu 0xfffe
	s_lshl_b64 s[2:3], s[2:3], 5
	v_xor_b32_e32 v4, 8, v13
	s_wait_kmcnt 0x0
	s_cmp_lg_u64 s[12:13], 0
	s_cselect_b32 s5, -1, 0
	s_cmp_lg_u64 s[14:15], 0
	v_cmp_gt_i32_e32 vcc_lo, 32, v4
	s_cselect_b32 s4, -1, 0
	s_wait_alu 0xfffd
	v_cndmask_b32_e32 v4, v13, v4, vcc_lo
	s_delay_alu instid0(VALU_DEP_1)
	v_lshlrev_b32_e32 v7, 2, v4
	s_wait_dscnt 0x1
	ds_bpermute_b32 v4, v7, v2
	ds_bpermute_b32 v5, v7, v3
	s_wait_dscnt 0x2
	ds_bpermute_b32 v8, v7, v0
	ds_bpermute_b32 v9, v7, v1
	s_wait_dscnt 0x2
	v_add_f64_e32 v[2:3], v[2:3], v[4:5]
	v_xor_b32_e32 v4, 4, v13
	s_wait_dscnt 0x0
	v_add_f64_e32 v[0:1], v[0:1], v[8:9]
	s_delay_alu instid0(VALU_DEP_2) | instskip(SKIP_2) | instid1(VALU_DEP_1)
	v_cmp_gt_i32_e32 vcc_lo, 32, v4
	s_wait_alu 0xfffd
	v_cndmask_b32_e32 v4, v13, v4, vcc_lo
	v_lshlrev_b32_e32 v8, 2, v4
	ds_bpermute_b32 v4, v8, v2
	ds_bpermute_b32 v5, v8, v3
	;; [unrolled: 1-line block ×4, first 2 shown]
	s_wait_dscnt 0x2
	v_add_f64_e32 v[2:3], v[2:3], v[4:5]
	v_xor_b32_e32 v4, 2, v13
	s_wait_dscnt 0x0
	v_add_f64_e32 v[0:1], v[0:1], v[11:12]
	s_delay_alu instid0(VALU_DEP_2) | instskip(SKIP_2) | instid1(VALU_DEP_1)
	v_cmp_gt_i32_e32 vcc_lo, 32, v4
	s_wait_alu 0xfffd
	v_cndmask_b32_e32 v4, v13, v4, vcc_lo
	v_lshlrev_b32_e32 v9, 2, v4
	ds_bpermute_b32 v4, v9, v2
	ds_bpermute_b32 v5, v9, v3
	;; [unrolled: 1-line block ×4, first 2 shown]
	s_wait_dscnt 0x2
	v_add_f64_e32 v[2:3], v[2:3], v[4:5]
	s_wait_dscnt 0x0
	v_add_f64_e32 v[4:5], v[0:1], v[11:12]
	v_xor_b32_e32 v0, 1, v13
	s_delay_alu instid0(VALU_DEP_1) | instskip(SKIP_2) | instid1(VALU_DEP_1)
	v_cmp_gt_i32_e32 vcc_lo, 32, v0
	s_wait_alu 0xfffd
	v_cndmask_b32_e32 v0, v13, v0, vcc_lo
	v_lshlrev_b32_e32 v11, 2, v0
	ds_bpermute_b32 v0, v11, v2
	ds_bpermute_b32 v1, v11, v3
	;; [unrolled: 1-line block ×4, first 2 shown]
	s_wait_dscnt 0x2
	v_add_f64_e32 v[0:1], v[2:3], v[0:1]
	s_wait_dscnt 0x0
	v_add_f64_e32 v[2:3], v[4:5], v[12:13]
	s_and_saveexec_b32 s6, s1
	s_cbranch_execz .LBB43_19
; %bb.15:
	s_wait_alu 0xfffe
	v_mov_b32_e32 v5, s3
	v_or_b32_e32 v4, s2, v10
	s_and_not1_b32 vcc_lo, exec_lo, s5
	s_delay_alu instid0(VALU_DEP_1)
	v_lshlrev_b64_e32 v[4:5], 3, v[4:5]
	s_wait_alu 0xfffe
	s_cbranch_vccnz .LBB43_17
; %bb.16:
	s_delay_alu instid0(VALU_DEP_1) | instskip(SKIP_1) | instid1(VALU_DEP_2)
	v_add_co_u32 v12, vcc_lo, s12, v4
	s_wait_alu 0xfffd
	v_add_co_ci_u32_e64 v13, null, s13, v5, vcc_lo
	global_store_b64 v[12:13], v[0:1], off
.LBB43_17:
	s_and_not1_b32 vcc_lo, exec_lo, s4
	s_wait_alu 0xfffe
	s_cbranch_vccnz .LBB43_19
; %bb.18:
	v_add_co_u32 v4, vcc_lo, s14, v4
	s_wait_alu 0xfffd
	v_add_co_ci_u32_e64 v5, null, s15, v5, vcc_lo
	global_store_b64 v[4:5], v[2:3], off
.LBB43_19:
	s_wait_alu 0xfffe
	s_or_b32 exec_lo, exec_lo, s6
	v_cmp_gt_u32_e32 vcc_lo, 16, v10
	s_and_b32 exec_lo, exec_lo, vcc_lo
	s_cbranch_execz .LBB43_27
; %bb.20:
	s_and_saveexec_b32 s6, s0
	s_cbranch_execz .LBB43_22
; %bb.21:
	v_add_nc_u32_e32 v0, v10, v6
	s_delay_alu instid0(VALU_DEP_1)
	v_lshl_add_u32 v2, v0, 3, 0
	ds_load_b64 v[0:1], v2 offset:128
	ds_load_b64 v[2:3], v2 offset:4352
.LBB43_22:
	s_wait_alu 0xfffe
	s_or_b32 exec_lo, exec_lo, s6
	s_wait_dscnt 0x1
	ds_bpermute_b32 v4, v7, v0
	ds_bpermute_b32 v5, v7, v1
	s_wait_dscnt 0x2
	ds_bpermute_b32 v6, v7, v2
	ds_bpermute_b32 v7, v7, v3
	s_wait_dscnt 0x2
	v_add_f64_e32 v[0:1], v[0:1], v[4:5]
	s_wait_dscnt 0x0
	v_add_f64_e32 v[2:3], v[2:3], v[6:7]
	ds_bpermute_b32 v4, v8, v0
	ds_bpermute_b32 v5, v8, v1
	ds_bpermute_b32 v6, v8, v2
	ds_bpermute_b32 v7, v8, v3
	s_wait_dscnt 0x2
	v_add_f64_e32 v[0:1], v[0:1], v[4:5]
	s_wait_dscnt 0x0
	v_add_f64_e32 v[2:3], v[2:3], v[6:7]
	ds_bpermute_b32 v4, v9, v0
	ds_bpermute_b32 v5, v9, v1
	;; [unrolled: 8-line block ×3, first 2 shown]
	ds_bpermute_b32 v2, v11, v0
	ds_bpermute_b32 v3, v11, v1
	s_and_b32 exec_lo, exec_lo, s1
	s_cbranch_execz .LBB43_27
; %bb.23:
	s_and_not1_b32 vcc_lo, exec_lo, s5
	s_wait_alu 0xfffe
	s_cbranch_vccnz .LBB43_25
; %bb.24:
	s_wait_dscnt 0x2
	v_add_f64_e32 v[4:5], v[4:5], v[6:7]
	v_add_co_u32 v6, s0, s2, v10
	s_wait_alu 0xf1ff
	v_add_co_ci_u32_e64 v7, null, s3, 0, s0
	s_delay_alu instid0(VALU_DEP_1) | instskip(NEXT) | instid1(VALU_DEP_1)
	v_lshlrev_b64_e32 v[6:7], 3, v[6:7]
	v_add_co_u32 v6, vcc_lo, s12, v6
	s_wait_alu 0xfffd
	s_delay_alu instid0(VALU_DEP_2)
	v_add_co_ci_u32_e64 v7, null, s13, v7, vcc_lo
	global_store_b64 v[6:7], v[4:5], off offset:128
.LBB43_25:
	s_and_not1_b32 vcc_lo, exec_lo, s4
	s_wait_alu 0xfffe
	s_cbranch_vccnz .LBB43_27
; %bb.26:
	s_wait_dscnt 0x0
	v_add_f64_e32 v[0:1], v[0:1], v[2:3]
	v_add_co_u32 v2, s0, s2, v10
	s_wait_alu 0xf1ff
	v_add_co_ci_u32_e64 v3, null, s3, 0, s0
	s_delay_alu instid0(VALU_DEP_1) | instskip(NEXT) | instid1(VALU_DEP_1)
	v_lshlrev_b64_e32 v[2:3], 3, v[2:3]
	v_add_co_u32 v2, vcc_lo, s14, v2
	s_wait_alu 0xfffd
	s_delay_alu instid0(VALU_DEP_2)
	v_add_co_ci_u32_e64 v3, null, s15, v3, vcc_lo
	global_store_b64 v[2:3], v[0:1], off offset:128
.LBB43_27:
	s_endpgm
	.section	.rodata,"a",@progbits
	.p2align	6, 0x0
	.amdhsa_kernel _ZN2at6native12_GLOBAL__N_135GammaBetaBackwardCUDAKernelTemplateIddLj32ELj16ELj128ELb0ELb1ELb0EEEvllPKT_S5_PKT0_S8_PS3_S9_
		.amdhsa_group_segment_fixed_size 0
		.amdhsa_private_segment_fixed_size 0
		.amdhsa_kernarg_size 320
		.amdhsa_user_sgpr_count 2
		.amdhsa_user_sgpr_dispatch_ptr 0
		.amdhsa_user_sgpr_queue_ptr 0
		.amdhsa_user_sgpr_kernarg_segment_ptr 1
		.amdhsa_user_sgpr_dispatch_id 0
		.amdhsa_user_sgpr_private_segment_size 0
		.amdhsa_wavefront_size32 1
		.amdhsa_uses_dynamic_stack 0
		.amdhsa_enable_private_segment 0
		.amdhsa_system_sgpr_workgroup_id_x 1
		.amdhsa_system_sgpr_workgroup_id_y 1
		.amdhsa_system_sgpr_workgroup_id_z 0
		.amdhsa_system_sgpr_workgroup_info 0
		.amdhsa_system_vgpr_workitem_id 1
		.amdhsa_next_free_vgpr 60
		.amdhsa_next_free_sgpr 27
		.amdhsa_reserve_vcc 1
		.amdhsa_float_round_mode_32 0
		.amdhsa_float_round_mode_16_64 0
		.amdhsa_float_denorm_mode_32 3
		.amdhsa_float_denorm_mode_16_64 3
		.amdhsa_fp16_overflow 0
		.amdhsa_workgroup_processor_mode 1
		.amdhsa_memory_ordered 1
		.amdhsa_forward_progress 1
		.amdhsa_inst_pref_size 22
		.amdhsa_round_robin_scheduling 0
		.amdhsa_exception_fp_ieee_invalid_op 0
		.amdhsa_exception_fp_denorm_src 0
		.amdhsa_exception_fp_ieee_div_zero 0
		.amdhsa_exception_fp_ieee_overflow 0
		.amdhsa_exception_fp_ieee_underflow 0
		.amdhsa_exception_fp_ieee_inexact 0
		.amdhsa_exception_int_div_zero 0
	.end_amdhsa_kernel
	.section	.text._ZN2at6native12_GLOBAL__N_135GammaBetaBackwardCUDAKernelTemplateIddLj32ELj16ELj128ELb0ELb1ELb0EEEvllPKT_S5_PKT0_S8_PS3_S9_,"axG",@progbits,_ZN2at6native12_GLOBAL__N_135GammaBetaBackwardCUDAKernelTemplateIddLj32ELj16ELj128ELb0ELb1ELb0EEEvllPKT_S5_PKT0_S8_PS3_S9_,comdat
.Lfunc_end43:
	.size	_ZN2at6native12_GLOBAL__N_135GammaBetaBackwardCUDAKernelTemplateIddLj32ELj16ELj128ELb0ELb1ELb0EEEvllPKT_S5_PKT0_S8_PS3_S9_, .Lfunc_end43-_ZN2at6native12_GLOBAL__N_135GammaBetaBackwardCUDAKernelTemplateIddLj32ELj16ELj128ELb0ELb1ELb0EEEvllPKT_S5_PKT0_S8_PS3_S9_
                                        ; -- End function
	.set _ZN2at6native12_GLOBAL__N_135GammaBetaBackwardCUDAKernelTemplateIddLj32ELj16ELj128ELb0ELb1ELb0EEEvllPKT_S5_PKT0_S8_PS3_S9_.num_vgpr, 60
	.set _ZN2at6native12_GLOBAL__N_135GammaBetaBackwardCUDAKernelTemplateIddLj32ELj16ELj128ELb0ELb1ELb0EEEvllPKT_S5_PKT0_S8_PS3_S9_.num_agpr, 0
	.set _ZN2at6native12_GLOBAL__N_135GammaBetaBackwardCUDAKernelTemplateIddLj32ELj16ELj128ELb0ELb1ELb0EEEvllPKT_S5_PKT0_S8_PS3_S9_.numbered_sgpr, 27
	.set _ZN2at6native12_GLOBAL__N_135GammaBetaBackwardCUDAKernelTemplateIddLj32ELj16ELj128ELb0ELb1ELb0EEEvllPKT_S5_PKT0_S8_PS3_S9_.num_named_barrier, 0
	.set _ZN2at6native12_GLOBAL__N_135GammaBetaBackwardCUDAKernelTemplateIddLj32ELj16ELj128ELb0ELb1ELb0EEEvllPKT_S5_PKT0_S8_PS3_S9_.private_seg_size, 0
	.set _ZN2at6native12_GLOBAL__N_135GammaBetaBackwardCUDAKernelTemplateIddLj32ELj16ELj128ELb0ELb1ELb0EEEvllPKT_S5_PKT0_S8_PS3_S9_.uses_vcc, 1
	.set _ZN2at6native12_GLOBAL__N_135GammaBetaBackwardCUDAKernelTemplateIddLj32ELj16ELj128ELb0ELb1ELb0EEEvllPKT_S5_PKT0_S8_PS3_S9_.uses_flat_scratch, 0
	.set _ZN2at6native12_GLOBAL__N_135GammaBetaBackwardCUDAKernelTemplateIddLj32ELj16ELj128ELb0ELb1ELb0EEEvllPKT_S5_PKT0_S8_PS3_S9_.has_dyn_sized_stack, 0
	.set _ZN2at6native12_GLOBAL__N_135GammaBetaBackwardCUDAKernelTemplateIddLj32ELj16ELj128ELb0ELb1ELb0EEEvllPKT_S5_PKT0_S8_PS3_S9_.has_recursion, 0
	.set _ZN2at6native12_GLOBAL__N_135GammaBetaBackwardCUDAKernelTemplateIddLj32ELj16ELj128ELb0ELb1ELb0EEEvllPKT_S5_PKT0_S8_PS3_S9_.has_indirect_call, 0
	.section	.AMDGPU.csdata,"",@progbits
; Kernel info:
; codeLenInByte = 2708
; TotalNumSgprs: 29
; NumVgprs: 60
; ScratchSize: 0
; MemoryBound: 0
; FloatMode: 240
; IeeeMode: 1
; LDSByteSize: 0 bytes/workgroup (compile time only)
; SGPRBlocks: 0
; VGPRBlocks: 7
; NumSGPRsForWavesPerEU: 29
; NumVGPRsForWavesPerEU: 60
; Occupancy: 16
; WaveLimiterHint : 0
; COMPUTE_PGM_RSRC2:SCRATCH_EN: 0
; COMPUTE_PGM_RSRC2:USER_SGPR: 2
; COMPUTE_PGM_RSRC2:TRAP_HANDLER: 0
; COMPUTE_PGM_RSRC2:TGID_X_EN: 1
; COMPUTE_PGM_RSRC2:TGID_Y_EN: 1
; COMPUTE_PGM_RSRC2:TGID_Z_EN: 0
; COMPUTE_PGM_RSRC2:TIDIG_COMP_CNT: 1
	.section	.text._ZN2at6native12_GLOBAL__N_135GammaBetaBackwardCUDAKernelTemplateIddLj32ELj16ELj128ELb0ELb0ELb0EEEvllPKT_S5_PKT0_S8_PS3_S9_,"axG",@progbits,_ZN2at6native12_GLOBAL__N_135GammaBetaBackwardCUDAKernelTemplateIddLj32ELj16ELj128ELb0ELb0ELb0EEEvllPKT_S5_PKT0_S8_PS3_S9_,comdat
	.globl	_ZN2at6native12_GLOBAL__N_135GammaBetaBackwardCUDAKernelTemplateIddLj32ELj16ELj128ELb0ELb0ELb0EEEvllPKT_S5_PKT0_S8_PS3_S9_ ; -- Begin function _ZN2at6native12_GLOBAL__N_135GammaBetaBackwardCUDAKernelTemplateIddLj32ELj16ELj128ELb0ELb0ELb0EEEvllPKT_S5_PKT0_S8_PS3_S9_
	.p2align	8
	.type	_ZN2at6native12_GLOBAL__N_135GammaBetaBackwardCUDAKernelTemplateIddLj32ELj16ELj128ELb0ELb0ELb0EEEvllPKT_S5_PKT0_S8_PS3_S9_,@function
_ZN2at6native12_GLOBAL__N_135GammaBetaBackwardCUDAKernelTemplateIddLj32ELj16ELj128ELb0ELb0ELb0EEEvllPKT_S5_PKT0_S8_PS3_S9_: ; @_ZN2at6native12_GLOBAL__N_135GammaBetaBackwardCUDAKernelTemplateIddLj32ELj16ELj128ELb0ELb0ELb0EEEvllPKT_S5_PKT0_S8_PS3_S9_
; %bb.0:
	s_clause 0x1
	s_load_b256 s[4:11], s[0:1], 0x0
	s_load_b128 s[12:15], s[0:1], 0x20
	s_lshl_b32 s30, ttmp9, 5
	s_mov_b32 s17, 0
	s_or_b32 s16, s30, 31
	s_wait_kmcnt 0x0
	v_cmp_le_i64_e64 s2, s[6:7], s[16:17]
	s_lshl_b32 s16, ttmp7, 7
	s_wait_alu 0xfffe
	v_cmp_gt_i64_e64 s31, s[4:5], s[16:17]
	s_and_b32 vcc_lo, exec_lo, s2
	v_cndmask_b32_e64 v1, 0, 1, s31
	s_delay_alu instid0(VALU_DEP_1)
	v_cmp_ne_u32_e64 s2, 1, v1
	s_cbranch_vccz .LBB44_48
; %bb.1:
	v_mov_b32_e32 v36, 0
	v_dual_mov_b32 v37, 0 :: v_dual_mov_b32 v34, 0
	v_mov_b32_e32 v35, 0
	s_and_b32 vcc_lo, exec_lo, s2
	s_cbranch_vccnz .LBB44_49
; %bb.2:
	v_bfe_u32 v44, v0, 10, 10
	v_dual_mov_b32 v1, 0 :: v_dual_and_b32 v46, 0x3ff, v0
	s_load_b32 s3, s[0:1], 0x44
	s_mov_b32 s19, 0
	s_delay_alu instid0(VALU_DEP_2) | instskip(NEXT) | instid1(VALU_DEP_2)
	v_dual_mov_b32 v34, 0 :: v_dual_lshlrev_b32 v45, 3, v44
	v_dual_mov_b32 v3, v1 :: v_dual_add_nc_u32 v2, s30, v46
	s_mov_b32 s23, s19
	s_delay_alu instid0(VALU_DEP_2) | instskip(NEXT) | instid1(VALU_DEP_1)
	v_add_co_u32 v10, s2, v45, s16
	v_add_co_ci_u32_e64 v11, null, 0, 0, s2
	s_delay_alu instid0(VALU_DEP_3) | instskip(NEXT) | instid1(VALU_DEP_3)
	v_cmp_gt_i64_e64 s2, s[6:7], v[2:3]
	v_mul_lo_u32 v6, s7, v10
	v_mad_co_u64_u32 v[4:5], null, s6, v10, 0
	s_delay_alu instid0(VALU_DEP_4) | instskip(SKIP_1) | instid1(VALU_DEP_1)
	v_mul_lo_u32 v7, s6, v11
	v_add_co_u32 v8, vcc_lo, v10, 7
	v_add_co_ci_u32_e64 v9, null, 0, v11, vcc_lo
	v_lshlrev_b64_e32 v[38:39], 3, v[2:3]
	s_delay_alu instid0(VALU_DEP_3)
	v_mul_lo_u32 v12, s7, v8
	s_wait_kmcnt 0x0
	s_lshl_b32 s22, s3, 7
	v_add3_u32 v5, v5, v7, v6
	v_mad_co_u64_u32 v[6:7], null, s6, v8, 0
	v_add_co_u32 v8, vcc_lo, v10, 6
	v_mul_lo_u32 v13, s6, v9
	s_wait_alu 0xfffd
	v_add_co_ci_u32_e64 v9, null, 0, v11, vcc_lo
	v_lshlrev_b64_e32 v[2:3], 3, v[4:5]
	v_mul_lo_u32 v14, s7, v8
	v_dual_mov_b32 v35, 0 :: v_dual_mov_b32 v36, 0
	s_delay_alu instid0(VALU_DEP_4)
	v_mul_lo_u32 v15, s6, v9
	v_mad_co_u64_u32 v[8:9], null, s6, v8, 0
	v_add_co_u32 v47, vcc_lo, s8, v2
	s_wait_alu 0xfffd
	v_add_co_ci_u32_e64 v48, null, s9, v3, vcc_lo
	v_add_co_u32 v49, vcc_lo, s10, v2
	v_add3_u32 v7, v7, v13, v12
	s_wait_alu 0xfffd
	v_add_co_ci_u32_e64 v50, null, s11, v3, vcc_lo
	v_add_co_u32 v12, vcc_lo, v10, 5
	v_add3_u32 v9, v9, v15, v14
	s_wait_alu 0xfffd
	v_add_co_ci_u32_e64 v13, null, 0, v11, vcc_lo
	v_lshlrev_b64_e32 v[2:3], 3, v[6:7]
	v_mul_lo_u32 v14, s7, v12
	v_lshlrev_b64_e32 v[6:7], 3, v[8:9]
	s_delay_alu instid0(VALU_DEP_4)
	v_mul_lo_u32 v13, s6, v13
	v_mad_co_u64_u32 v[8:9], null, s6, v12, 0
	v_add_co_u32 v51, vcc_lo, s8, v2
	s_wait_alu 0xfffd
	v_add_co_ci_u32_e64 v52, null, s9, v3, vcc_lo
	v_add_co_u32 v53, vcc_lo, s10, v2
	s_wait_alu 0xfffd
	v_add_co_ci_u32_e64 v54, null, s11, v3, vcc_lo
	v_add_co_u32 v55, vcc_lo, s8, v6
	v_add3_u32 v9, v9, v13, v14
	s_wait_alu 0xfffd
	v_add_co_ci_u32_e64 v56, null, s9, v7, vcc_lo
	v_add_co_u32 v12, vcc_lo, v10, 4
	v_add_co_u32 v57, s3, s10, v6
	s_wait_alu 0xfffd
	v_add_co_ci_u32_e64 v6, null, 0, v11, vcc_lo
	v_lshlrev_b64_e32 v[2:3], 3, v[8:9]
	v_add_co_u32 v8, vcc_lo, v10, 3
	s_wait_alu 0xfffd
	v_add_co_ci_u32_e64 v9, null, 0, v11, vcc_lo
	s_wait_alu 0xf1ff
	v_add_co_ci_u32_e64 v58, null, s11, v7, s3
	v_mul_lo_u32 v13, s7, v12
	v_mul_lo_u32 v14, s6, v6
	v_mad_co_u64_u32 v[6:7], null, s6, v12, 0
	v_mul_lo_u32 v12, s7, v8
	v_mul_lo_u32 v15, s6, v9
	v_mad_co_u64_u32 v[8:9], null, s6, v8, 0
	v_add_co_u32 v59, vcc_lo, s8, v2
	s_wait_alu 0xfffd
	v_add_co_ci_u32_e64 v60, null, s9, v3, vcc_lo
	v_add3_u32 v7, v7, v14, v13
	v_add_co_u32 v61, vcc_lo, s10, v2
	s_wait_alu 0xfffd
	v_add_co_ci_u32_e64 v62, null, s11, v3, vcc_lo
	v_add_co_u32 v10, vcc_lo, v10, 2
	v_add3_u32 v9, v9, v15, v12
	s_wait_alu 0xfffd
	v_add_co_ci_u32_e64 v11, null, 0, v11, vcc_lo
	v_lshlrev_b64_e32 v[2:3], 3, v[6:7]
	v_mul_lo_u32 v12, s7, v10
	v_lshlrev_b64_e32 v[6:7], 3, v[8:9]
	s_delay_alu instid0(VALU_DEP_4)
	v_mul_lo_u32 v11, s6, v11
	v_mad_co_u64_u32 v[8:9], null, s6, v10, 0
	v_add_co_u32 v63, vcc_lo, s8, v2
	s_wait_alu 0xfffd
	v_add_co_ci_u32_e64 v64, null, s9, v3, vcc_lo
	v_add_co_u32 v65, vcc_lo, s10, v2
	s_wait_alu 0xfffd
	v_add_co_ci_u32_e64 v66, null, s11, v3, vcc_lo
	;; [unrolled: 3-line block ×3, first 2 shown]
	v_add3_u32 v9, v9, v11, v12
	v_add_co_u32 v69, vcc_lo, s10, v6
	s_wait_alu 0xfffd
	v_add_co_ci_u32_e64 v70, null, s11, v7, vcc_lo
	v_add_co_u32 v4, vcc_lo, v4, s6
	s_wait_alu 0xfffd
	v_add_co_ci_u32_e64 v5, null, s7, v5, vcc_lo
	v_lshlrev_b64_e32 v[2:3], 3, v[8:9]
	v_mov_b32_e32 v37, 0
	s_mul_u64 s[24:25], s[6:7], s[22:23]
	s_delay_alu instid0(VALU_DEP_3)
	v_lshlrev_b64_e32 v[4:5], 3, v[4:5]
	s_add_nc_u64 s[20:21], s[0:1], 64
	s_lshl_b64 s[24:25], s[24:25], 3
	v_add_co_u32 v71, vcc_lo, s8, v2
	s_wait_alu 0xfffd
	v_add_co_ci_u32_e64 v72, null, s9, v3, vcc_lo
	v_add_co_u32 v73, vcc_lo, s10, v2
	s_wait_alu 0xfffd
	v_add_co_ci_u32_e64 v74, null, s11, v3, vcc_lo
	;; [unrolled: 3-line block ×4, first 2 shown]
	s_add_nc_u64 s[26:27], s[16:17], 0x7f
	s_mov_b64 s[28:29], s[16:17]
	s_branch .LBB44_5
.LBB44_3:                               ;   in Loop: Header=BB44_5 Depth=1
	s_wait_alu 0xfffe
	s_or_b32 exec_lo, exec_lo, s3
	s_wait_loadcnt 0x1
	ds_bpermute_b32 v79, v1, v40
	ds_bpermute_b32 v80, v1, v41
	s_wait_loadcnt 0x0
	ds_bpermute_b32 v81, v1, v42
	ds_bpermute_b32 v82, v1, v43
	s_wait_dscnt 0x2
	v_add_f64_e64 v[18:19], v[18:19], -v[79:80]
	ds_bpermute_b32 v79, v1, v40 offset:4
	ds_bpermute_b32 v80, v1, v41 offset:4
	s_wait_dscnt 0x0
	v_add_f64_e64 v[20:21], v[20:21], -v[79:80]
	ds_bpermute_b32 v79, v1, v40 offset:8
	ds_bpermute_b32 v80, v1, v41 offset:8
	v_mul_f64_e32 v[18:19], v[2:3], v[18:19]
	v_add_f64_e32 v[2:3], v[36:37], v[2:3]
	ds_bpermute_b32 v36, v1, v42 offset:4
	ds_bpermute_b32 v37, v1, v43 offset:4
	s_wait_dscnt 0x2
	v_add_f64_e64 v[22:23], v[22:23], -v[79:80]
	v_mul_f64_e32 v[20:21], v[4:5], v[20:21]
	v_fma_f64 v[18:19], v[18:19], v[81:82], v[34:35]
	ds_bpermute_b32 v34, v1, v40 offset:12
	ds_bpermute_b32 v35, v1, v41 offset:12
	v_add_f64_e32 v[2:3], v[4:5], v[2:3]
	ds_bpermute_b32 v4, v1, v40 offset:16
	ds_bpermute_b32 v5, v1, v41 offset:16
	v_mul_f64_e32 v[22:23], v[6:7], v[22:23]
	s_wait_dscnt 0x2
	v_add_f64_e64 v[24:25], v[24:25], -v[34:35]
	s_wait_dscnt 0x0
	v_add_f64_e64 v[4:5], v[26:27], -v[4:5]
	v_fma_f64 v[18:19], v[20:21], v[36:37], v[18:19]
	ds_bpermute_b32 v20, v1, v42 offset:8
	ds_bpermute_b32 v21, v1, v43 offset:8
	v_add_f64_e32 v[2:3], v[6:7], v[2:3]
	ds_bpermute_b32 v6, v1, v40 offset:20
	ds_bpermute_b32 v7, v1, v41 offset:20
	v_mul_f64_e32 v[24:25], v[8:9], v[24:25]
	s_wait_dscnt 0x0
	v_add_f64_e64 v[6:7], v[28:29], -v[6:7]
	v_mul_f64_e32 v[4:5], v[10:11], v[4:5]
	v_fma_f64 v[18:19], v[22:23], v[20:21], v[18:19]
	ds_bpermute_b32 v20, v1, v42 offset:12
	ds_bpermute_b32 v21, v1, v43 offset:12
	v_add_f64_e32 v[2:3], v[8:9], v[2:3]
	ds_bpermute_b32 v8, v1, v40 offset:24
	ds_bpermute_b32 v9, v1, v41 offset:24
	s_wait_dscnt 0x0
	v_add_f64_e64 v[8:9], v[30:31], -v[8:9]
	v_mul_f64_e32 v[6:7], v[12:13], v[6:7]
	v_fma_f64 v[18:19], v[24:25], v[20:21], v[18:19]
	ds_bpermute_b32 v20, v1, v42 offset:16
	ds_bpermute_b32 v21, v1, v43 offset:16
	v_add_f64_e32 v[2:3], v[10:11], v[2:3]
	ds_bpermute_b32 v10, v1, v42 offset:20
	ds_bpermute_b32 v11, v1, v43 offset:20
	v_mul_f64_e32 v[8:9], v[14:15], v[8:9]
	s_wait_dscnt 0x2
	v_fma_f64 v[4:5], v[4:5], v[20:21], v[18:19]
	s_wait_dscnt 0x0
	s_delay_alu instid0(VALU_DEP_1)
	v_fma_f64 v[4:5], v[6:7], v[10:11], v[4:5]
	v_add_f64_e32 v[6:7], v[12:13], v[2:3]
	ds_bpermute_b32 v2, v1, v42 offset:24
	ds_bpermute_b32 v3, v1, v43 offset:24
	;; [unrolled: 1-line block ×4, first 2 shown]
	s_wait_dscnt 0x2
	v_fma_f64 v[2:3], v[8:9], v[2:3], v[4:5]
	v_add_f64_e32 v[4:5], v[14:15], v[6:7]
	ds_bpermute_b32 v6, v1, v40 offset:28
	ds_bpermute_b32 v7, v1, v41 offset:28
.LBB44_4:                               ;   in Loop: Header=BB44_5 Depth=1
	s_wait_dscnt 0x0
	v_add_f64_e64 v[6:7], v[32:33], -v[6:7]
	v_add_f64_e32 v[36:37], v[4:5], v[16:17]
	v_add_co_u32 v47, vcc_lo, v47, s24
	s_wait_alu 0xfffd
	v_add_co_ci_u32_e64 v48, null, s25, v48, vcc_lo
	v_add_co_u32 v49, vcc_lo, v49, s24
	s_wait_alu 0xfffd
	v_add_co_ci_u32_e64 v50, null, s25, v50, vcc_lo
	;; [unrolled: 3-line block ×9, first 2 shown]
	v_mul_f64_e32 v[6:7], v[16:17], v[6:7]
	v_add_co_u32 v65, vcc_lo, v65, s24
	s_wait_alu 0xfffd
	v_add_co_ci_u32_e64 v66, null, s25, v66, vcc_lo
	v_add_co_u32 v67, vcc_lo, v67, s24
	s_wait_alu 0xfffd
	v_add_co_ci_u32_e64 v68, null, s25, v68, vcc_lo
	;; [unrolled: 3-line block ×4, first 2 shown]
	v_add_co_u32 v73, vcc_lo, v73, s24
	s_add_nc_u64 s[28:29], s[28:29], s[22:23]
	s_wait_alu 0xfffd
	v_add_co_ci_u32_e64 v74, null, s25, v74, vcc_lo
	v_add_co_u32 v75, vcc_lo, v75, s24
	s_wait_alu 0xfffe
	v_cmp_lt_i64_e64 s3, s[28:29], s[4:5]
	s_wait_alu 0xfffd
	v_add_co_ci_u32_e64 v76, null, s25, v76, vcc_lo
	v_add_co_u32 v77, vcc_lo, v77, s24
	s_wait_alu 0xfffd
	v_add_co_ci_u32_e64 v78, null, s25, v78, vcc_lo
	s_and_b32 vcc_lo, exec_lo, s3
	s_add_nc_u64 s[26:27], s[26:27], s[22:23]
	v_fma_f64 v[34:35], v[6:7], v[42:43], v[2:3]
	s_wait_alu 0xfffe
	s_cbranch_vccz .LBB44_49
.LBB44_5:                               ; =>This Inner Loop Header: Depth=1
	v_cmp_ge_i64_e64 s3, s[26:27], s[4:5]
	v_add_co_u32 v79, s18, v45, s26
	s_wait_alu 0xf1ff
	v_add_co_ci_u32_e64 v80, null, 0, s27, s18
                                        ; implicit-def: $vgpr2_vgpr3_vgpr4_vgpr5_vgpr6_vgpr7_vgpr8_vgpr9_vgpr10_vgpr11_vgpr12_vgpr13_vgpr14_vgpr15_vgpr16_vgpr17
                                        ; implicit-def: $vgpr42_vgpr43
                                        ; implicit-def: $vgpr18_vgpr19_vgpr20_vgpr21_vgpr22_vgpr23_vgpr24_vgpr25_vgpr26_vgpr27_vgpr28_vgpr29_vgpr30_vgpr31_vgpr32_vgpr33
                                        ; implicit-def: $vgpr6
	s_and_b32 vcc_lo, exec_lo, s3
	s_mov_b32 s3, -1
                                        ; implicit-def: $vgpr4_vgpr5
                                        ; implicit-def: $vgpr2_vgpr3
	s_wait_alu 0xfffe
	s_cbranch_vccz .LBB44_27
; %bb.6:                                ;   in Loop: Header=BB44_5 Depth=1
	s_load_b32 s3, s[20:21], 0xc
	v_mov_b32_e32 v42, 0
	v_mov_b32_e32 v40, 0
	;; [unrolled: 1-line block ×4, first 2 shown]
	s_wait_kmcnt 0x0
	s_and_b32 s3, s3, 0xffff
	s_wait_alu 0xfffe
	v_mad_u32_u24 v2, v44, s3, v46
	s_mov_b32 s3, exec_lo
	s_delay_alu instid0(VALU_DEP_1) | instskip(NEXT) | instid1(VALU_DEP_1)
	v_and_b32_e32 v2, 31, v2
	v_cmpx_gt_u32_e32 8, v2
	s_cbranch_execz .LBB44_10
; %bb.7:                                ;   in Loop: Header=BB44_5 Depth=1
	v_add_co_u32 v2, vcc_lo, v79, v2
	s_wait_alu 0xfffd
	v_add_co_ci_u32_e64 v3, null, 0, v80, vcc_lo
	v_mov_b32_e32 v40, 0
	s_delay_alu instid0(VALU_DEP_3)
	v_add_co_u32 v2, vcc_lo, 0xffffff81, v2
	v_dual_mov_b32 v41, 0 :: v_dual_mov_b32 v42, 0
	s_wait_alu 0xfffd
	v_add_co_ci_u32_e64 v3, null, -1, v3, vcc_lo
	v_mov_b32_e32 v43, 0
	s_mov_b32 s18, exec_lo
	s_delay_alu instid0(VALU_DEP_2)
	v_cmpx_gt_i64_e64 s[4:5], v[2:3]
	s_cbranch_execz .LBB44_9
; %bb.8:                                ;   in Loop: Header=BB44_5 Depth=1
	v_lshlrev_b64_e32 v[2:3], 3, v[2:3]
	s_delay_alu instid0(VALU_DEP_1) | instskip(SKIP_1) | instid1(VALU_DEP_2)
	v_add_co_u32 v4, vcc_lo, s12, v2
	s_wait_alu 0xfffd
	v_add_co_ci_u32_e64 v5, null, s13, v3, vcc_lo
	v_add_co_u32 v2, vcc_lo, s14, v2
	s_wait_alu 0xfffd
	v_add_co_ci_u32_e64 v3, null, s15, v3, vcc_lo
	global_load_b64 v[40:41], v[4:5], off
	global_load_b64 v[42:43], v[2:3], off
.LBB44_9:                               ;   in Loop: Header=BB44_5 Depth=1
	s_wait_alu 0xfffe
	s_or_b32 exec_lo, exec_lo, s18
.LBB44_10:                              ;   in Loop: Header=BB44_5 Depth=1
	s_wait_alu 0xfffe
	s_or_b32 exec_lo, exec_lo, s3
	v_add_co_u32 v17, vcc_lo, 0xffffff81, v79
	s_wait_alu 0xfffd
	v_add_co_ci_u32_e64 v18, null, -1, v80, vcc_lo
	v_mov_b32_e32 v16, v1
	v_dual_mov_b32 v2, v1 :: v_dual_mov_b32 v3, v1
	v_dual_mov_b32 v4, v1 :: v_dual_mov_b32 v5, v1
	;; [unrolled: 1-line block ×7, first 2 shown]
	v_cmp_gt_i64_e32 vcc_lo, s[4:5], v[17:18]
	s_delay_alu instid0(VALU_DEP_3) | instskip(NEXT) | instid1(VALU_DEP_3)
	v_dual_mov_b32 v33, v16 :: v_dual_mov_b32 v30, v13
	v_dual_mov_b32 v31, v14 :: v_dual_mov_b32 v32, v15
	;; [unrolled: 1-line block ×8, first 2 shown]
	v_mov_b32_e32 v17, v16
	v_mov_b32_e32 v16, v15
	;; [unrolled: 1-line block ×16, first 2 shown]
	s_and_b32 s18, s2, vcc_lo
	s_wait_alu 0xfffe
	s_and_saveexec_b32 s3, s18
	s_cbranch_execz .LBB44_12
; %bb.11:                               ;   in Loop: Header=BB44_5 Depth=1
	v_add_co_u32 v2, vcc_lo, v47, v38
	s_wait_alu 0xfffd
	v_add_co_ci_u32_e64 v3, null, v48, v39, vcc_lo
	v_add_co_u32 v4, vcc_lo, v49, v38
	s_wait_alu 0xfffd
	v_add_co_ci_u32_e64 v5, null, v50, v39, vcc_lo
	global_load_b64 v[2:3], v[2:3], off
	global_load_b64 v[18:19], v[4:5], off
	v_dual_mov_b32 v4, v1 :: v_dual_mov_b32 v5, v1
	v_dual_mov_b32 v6, v1 :: v_dual_mov_b32 v7, v1
	;; [unrolled: 1-line block ×14, first 2 shown]
.LBB44_12:                              ;   in Loop: Header=BB44_5 Depth=1
	s_wait_alu 0xfffe
	s_or_b32 exec_lo, exec_lo, s3
	v_add_co_u32 v81, vcc_lo, 0xffffff82, v79
	s_wait_alu 0xfffd
	v_add_co_ci_u32_e64 v82, null, -1, v80, vcc_lo
	s_delay_alu instid0(VALU_DEP_1)
	v_cmp_gt_i64_e32 vcc_lo, s[4:5], v[81:82]
	s_and_b32 s18, s2, vcc_lo
	s_wait_alu 0xfffe
	s_and_saveexec_b32 s3, s18
	s_cbranch_execz .LBB44_14
; %bb.13:                               ;   in Loop: Header=BB44_5 Depth=1
	v_add_co_u32 v4, vcc_lo, v75, v38
	s_wait_alu 0xfffd
	v_add_co_ci_u32_e64 v5, null, v76, v39, vcc_lo
	v_add_co_u32 v20, vcc_lo, v77, v38
	s_wait_alu 0xfffd
	v_add_co_ci_u32_e64 v21, null, v78, v39, vcc_lo
	global_load_b64 v[4:5], v[4:5], off
	global_load_b64 v[20:21], v[20:21], off
.LBB44_14:                              ;   in Loop: Header=BB44_5 Depth=1
	s_wait_alu 0xfffe
	s_or_b32 exec_lo, exec_lo, s3
	v_add_co_u32 v81, vcc_lo, 0xffffff83, v79
	s_wait_alu 0xfffd
	v_add_co_ci_u32_e64 v82, null, -1, v80, vcc_lo
	s_delay_alu instid0(VALU_DEP_1)
	v_cmp_gt_i64_e32 vcc_lo, s[4:5], v[81:82]
	s_and_b32 s18, s2, vcc_lo
	s_wait_alu 0xfffe
	s_and_saveexec_b32 s3, s18
	s_cbranch_execz .LBB44_16
; %bb.15:                               ;   in Loop: Header=BB44_5 Depth=1
	v_add_co_u32 v6, vcc_lo, v71, v38
	s_wait_alu 0xfffd
	v_add_co_ci_u32_e64 v7, null, v72, v39, vcc_lo
	v_add_co_u32 v22, vcc_lo, v73, v38
	s_wait_alu 0xfffd
	v_add_co_ci_u32_e64 v23, null, v74, v39, vcc_lo
	global_load_b64 v[6:7], v[6:7], off
	global_load_b64 v[22:23], v[22:23], off
.LBB44_16:                              ;   in Loop: Header=BB44_5 Depth=1
	;; [unrolled: 21-line block ×7, first 2 shown]
	s_wait_alu 0xfffe
	s_or_b32 exec_lo, exec_lo, s3
	s_wait_loadcnt 0x1
	ds_bpermute_b32 v81, v1, v40
	ds_bpermute_b32 v82, v1, v41
	s_wait_loadcnt 0x0
	ds_bpermute_b32 v83, v1, v42
	ds_bpermute_b32 v84, v1, v43
	s_mov_b32 s3, 0
	s_wait_dscnt 0x2
	v_add_f64_e64 v[18:19], v[18:19], -v[81:82]
	ds_bpermute_b32 v81, v1, v40 offset:4
	ds_bpermute_b32 v82, v1, v41 offset:4
	s_wait_dscnt 0x0
	v_add_f64_e64 v[20:21], v[20:21], -v[81:82]
	ds_bpermute_b32 v81, v1, v40 offset:8
	ds_bpermute_b32 v82, v1, v41 offset:8
	v_mul_f64_e32 v[18:19], v[2:3], v[18:19]
	v_add_f64_e32 v[2:3], v[36:37], v[2:3]
	s_wait_dscnt 0x0
	v_add_f64_e64 v[22:23], v[22:23], -v[81:82]
	ds_bpermute_b32 v81, v1, v40 offset:12
	ds_bpermute_b32 v82, v1, v41 offset:12
	v_mul_f64_e32 v[20:21], v[4:5], v[20:21]
	s_wait_dscnt 0x0
	v_add_f64_e64 v[24:25], v[24:25], -v[81:82]
	v_fma_f64 v[18:19], v[18:19], v[83:84], v[34:35]
	ds_bpermute_b32 v83, v1, v42 offset:4
	ds_bpermute_b32 v84, v1, v43 offset:4
	v_add_f64_e32 v[2:3], v[4:5], v[2:3]
	ds_bpermute_b32 v4, v1, v40 offset:16
	ds_bpermute_b32 v5, v1, v41 offset:16
	v_mul_f64_e32 v[22:23], v[6:7], v[22:23]
	s_wait_dscnt 0x0
	v_add_f64_e64 v[4:5], v[26:27], -v[4:5]
	v_mul_f64_e32 v[24:25], v[8:9], v[24:25]
	v_fma_f64 v[18:19], v[20:21], v[83:84], v[18:19]
	ds_bpermute_b32 v20, v1, v42 offset:8
	ds_bpermute_b32 v21, v1, v43 offset:8
	v_add_f64_e32 v[2:3], v[6:7], v[2:3]
	ds_bpermute_b32 v6, v1, v40 offset:20
	ds_bpermute_b32 v7, v1, v41 offset:20
	s_wait_dscnt 0x0
	v_add_f64_e64 v[6:7], v[28:29], -v[6:7]
	v_mul_f64_e32 v[4:5], v[10:11], v[4:5]
	v_fma_f64 v[18:19], v[22:23], v[20:21], v[18:19]
	ds_bpermute_b32 v20, v1, v42 offset:12
	ds_bpermute_b32 v21, v1, v43 offset:12
	v_add_f64_e32 v[2:3], v[8:9], v[2:3]
	ds_bpermute_b32 v8, v1, v40 offset:24
	ds_bpermute_b32 v9, v1, v41 offset:24
	s_wait_dscnt 0x0
	v_add_f64_e64 v[8:9], v[30:31], -v[8:9]
	v_mul_f64_e32 v[6:7], v[12:13], v[6:7]
	v_fma_f64 v[18:19], v[24:25], v[20:21], v[18:19]
	ds_bpermute_b32 v20, v1, v42 offset:16
	ds_bpermute_b32 v21, v1, v43 offset:16
	v_add_f64_e32 v[2:3], v[10:11], v[2:3]
	ds_bpermute_b32 v10, v1, v42 offset:20
	ds_bpermute_b32 v11, v1, v43 offset:20
	v_mul_f64_e32 v[8:9], v[14:15], v[8:9]
	s_wait_dscnt 0x2
	v_fma_f64 v[4:5], v[4:5], v[20:21], v[18:19]
	s_wait_dscnt 0x0
	s_delay_alu instid0(VALU_DEP_1)
	v_fma_f64 v[4:5], v[6:7], v[10:11], v[4:5]
	v_add_f64_e32 v[6:7], v[12:13], v[2:3]
	ds_bpermute_b32 v2, v1, v42 offset:24
	ds_bpermute_b32 v3, v1, v43 offset:24
	;; [unrolled: 1-line block ×4, first 2 shown]
	s_wait_dscnt 0x2
	v_fma_f64 v[2:3], v[8:9], v[2:3], v[4:5]
	v_add_f64_e32 v[4:5], v[14:15], v[6:7]
	ds_bpermute_b32 v6, v1, v40 offset:28
	ds_bpermute_b32 v7, v1, v41 offset:28
.LBB44_27:                              ;   in Loop: Header=BB44_5 Depth=1
	s_wait_alu 0xfffe
	s_and_b32 vcc_lo, exec_lo, s3
	s_wait_alu 0xfffe
	s_cbranch_vccz .LBB44_4
; %bb.28:                               ;   in Loop: Header=BB44_5 Depth=1
	s_load_b32 s3, s[20:21], 0x0
	s_wait_dscnt 0x2
	v_mov_b32_e32 v42, 0
	v_mov_b32_e32 v40, 0
	;; [unrolled: 1-line block ×4, first 2 shown]
	s_wait_kmcnt 0x0
	s_cmp_lt_u32 ttmp9, s3
	s_cselect_b32 s18, 12, 18
	s_wait_alu 0xfffe
	s_add_nc_u64 s[34:35], s[20:21], s[18:19]
	s_load_u16 s3, s[34:35], 0x0
	s_wait_kmcnt 0x0
	v_mad_u32_u24 v2, v44, s3, v46
	s_mov_b32 s3, exec_lo
	s_delay_alu instid0(VALU_DEP_1) | instskip(NEXT) | instid1(VALU_DEP_1)
	v_and_b32_e32 v2, 31, v2
	v_cmpx_gt_u32_e32 8, v2
	s_cbranch_execz .LBB44_32
; %bb.29:                               ;   in Loop: Header=BB44_5 Depth=1
	v_add_co_u32 v2, vcc_lo, v79, v2
	s_wait_alu 0xfffd
	v_add_co_ci_u32_e64 v3, null, 0, v80, vcc_lo
	v_mov_b32_e32 v40, 0
	s_delay_alu instid0(VALU_DEP_3)
	v_add_co_u32 v2, vcc_lo, 0xffffff81, v2
	v_dual_mov_b32 v41, 0 :: v_dual_mov_b32 v42, 0
	s_wait_alu 0xfffd
	v_add_co_ci_u32_e64 v3, null, -1, v3, vcc_lo
	v_mov_b32_e32 v43, 0
	s_mov_b32 s18, exec_lo
	s_delay_alu instid0(VALU_DEP_2)
	v_cmpx_gt_i64_e64 s[4:5], v[2:3]
	s_cbranch_execz .LBB44_31
; %bb.30:                               ;   in Loop: Header=BB44_5 Depth=1
	v_lshlrev_b64_e32 v[2:3], 3, v[2:3]
	s_delay_alu instid0(VALU_DEP_1) | instskip(SKIP_1) | instid1(VALU_DEP_2)
	v_add_co_u32 v4, vcc_lo, s12, v2
	s_wait_alu 0xfffd
	v_add_co_ci_u32_e64 v5, null, s13, v3, vcc_lo
	v_add_co_u32 v2, vcc_lo, s14, v2
	s_wait_alu 0xfffd
	v_add_co_ci_u32_e64 v3, null, s15, v3, vcc_lo
	global_load_b64 v[40:41], v[4:5], off
	global_load_b64 v[42:43], v[2:3], off
.LBB44_31:                              ;   in Loop: Header=BB44_5 Depth=1
	s_wait_alu 0xfffe
	s_or_b32 exec_lo, exec_lo, s18
.LBB44_32:                              ;   in Loop: Header=BB44_5 Depth=1
	s_wait_alu 0xfffe
	s_or_b32 exec_lo, exec_lo, s3
	v_mov_b32_e32 v16, v1
	v_dual_mov_b32 v2, v1 :: v_dual_mov_b32 v3, v1
	v_dual_mov_b32 v4, v1 :: v_dual_mov_b32 v5, v1
	s_wait_dscnt 0x0
	v_dual_mov_b32 v6, v1 :: v_dual_mov_b32 v7, v1
	v_dual_mov_b32 v8, v1 :: v_dual_mov_b32 v9, v1
	;; [unrolled: 1-line block ×5, first 2 shown]
	v_mov_b32_e32 v33, v16
	s_delay_alu instid0(VALU_DEP_3) | instskip(NEXT) | instid1(VALU_DEP_3)
	v_dual_mov_b32 v29, v12 :: v_dual_mov_b32 v28, v11
	v_dual_mov_b32 v31, v14 :: v_dual_mov_b32 v30, v13
	s_delay_alu instid0(VALU_DEP_4)
	v_dual_mov_b32 v32, v15 :: v_dual_mov_b32 v27, v10
	v_dual_mov_b32 v26, v9 :: v_dual_mov_b32 v25, v8
	;; [unrolled: 1-line block ×6, first 2 shown]
	v_mov_b32_e32 v16, v15
	v_mov_b32_e32 v15, v14
	;; [unrolled: 1-line block ×15, first 2 shown]
	s_and_saveexec_b32 s3, s2
	s_cbranch_execnz .LBB44_40
; %bb.33:                               ;   in Loop: Header=BB44_5 Depth=1
	s_wait_alu 0xfffe
	s_or_b32 exec_lo, exec_lo, s3
	s_and_saveexec_b32 s3, s2
	s_cbranch_execnz .LBB44_41
.LBB44_34:                              ;   in Loop: Header=BB44_5 Depth=1
	s_wait_alu 0xfffe
	s_or_b32 exec_lo, exec_lo, s3
	s_and_saveexec_b32 s3, s2
	s_cbranch_execnz .LBB44_42
.LBB44_35:                              ;   in Loop: Header=BB44_5 Depth=1
	s_wait_alu 0xfffe
	s_or_b32 exec_lo, exec_lo, s3
	s_and_saveexec_b32 s3, s2
	s_cbranch_execnz .LBB44_43
.LBB44_36:                              ;   in Loop: Header=BB44_5 Depth=1
	s_wait_alu 0xfffe
	s_or_b32 exec_lo, exec_lo, s3
	s_and_saveexec_b32 s3, s2
	s_cbranch_execnz .LBB44_44
.LBB44_37:                              ;   in Loop: Header=BB44_5 Depth=1
	s_wait_alu 0xfffe
	s_or_b32 exec_lo, exec_lo, s3
	s_and_saveexec_b32 s3, s2
	s_cbranch_execnz .LBB44_45
.LBB44_38:                              ;   in Loop: Header=BB44_5 Depth=1
	s_wait_alu 0xfffe
	s_or_b32 exec_lo, exec_lo, s3
	s_and_saveexec_b32 s3, s2
	s_cbranch_execnz .LBB44_46
.LBB44_39:                              ;   in Loop: Header=BB44_5 Depth=1
	s_wait_alu 0xfffe
	s_or_b32 exec_lo, exec_lo, s3
	s_and_saveexec_b32 s3, s2
	s_cbranch_execz .LBB44_3
	s_branch .LBB44_47
.LBB44_40:                              ;   in Loop: Header=BB44_5 Depth=1
	v_add_co_u32 v2, vcc_lo, v47, v38
	s_wait_alu 0xfffd
	v_add_co_ci_u32_e64 v3, null, v48, v39, vcc_lo
	v_add_co_u32 v4, vcc_lo, v49, v38
	s_wait_alu 0xfffd
	v_add_co_ci_u32_e64 v5, null, v50, v39, vcc_lo
	global_load_b64 v[2:3], v[2:3], off
	global_load_b64 v[18:19], v[4:5], off
	v_dual_mov_b32 v4, v1 :: v_dual_mov_b32 v5, v1
	v_dual_mov_b32 v6, v1 :: v_dual_mov_b32 v7, v1
	;; [unrolled: 1-line block ×14, first 2 shown]
	s_wait_alu 0xfffe
	s_or_b32 exec_lo, exec_lo, s3
	s_and_saveexec_b32 s3, s2
	s_cbranch_execz .LBB44_34
.LBB44_41:                              ;   in Loop: Header=BB44_5 Depth=1
	v_add_co_u32 v4, vcc_lo, v75, v38
	s_wait_alu 0xfffd
	v_add_co_ci_u32_e64 v5, null, v76, v39, vcc_lo
	v_add_co_u32 v20, vcc_lo, v77, v38
	s_wait_alu 0xfffd
	v_add_co_ci_u32_e64 v21, null, v78, v39, vcc_lo
	global_load_b64 v[4:5], v[4:5], off
	global_load_b64 v[20:21], v[20:21], off
	s_wait_alu 0xfffe
	s_or_b32 exec_lo, exec_lo, s3
	s_and_saveexec_b32 s3, s2
	s_cbranch_execz .LBB44_35
.LBB44_42:                              ;   in Loop: Header=BB44_5 Depth=1
	v_add_co_u32 v6, vcc_lo, v71, v38
	s_wait_alu 0xfffd
	v_add_co_ci_u32_e64 v7, null, v72, v39, vcc_lo
	v_add_co_u32 v22, vcc_lo, v73, v38
	s_wait_alu 0xfffd
	v_add_co_ci_u32_e64 v23, null, v74, v39, vcc_lo
	global_load_b64 v[6:7], v[6:7], off
	global_load_b64 v[22:23], v[22:23], off
	s_wait_alu 0xfffe
	s_or_b32 exec_lo, exec_lo, s3
	s_and_saveexec_b32 s3, s2
	s_cbranch_execz .LBB44_36
.LBB44_43:                              ;   in Loop: Header=BB44_5 Depth=1
	v_add_co_u32 v8, vcc_lo, v67, v38
	s_wait_alu 0xfffd
	v_add_co_ci_u32_e64 v9, null, v68, v39, vcc_lo
	v_add_co_u32 v24, vcc_lo, v69, v38
	s_wait_alu 0xfffd
	v_add_co_ci_u32_e64 v25, null, v70, v39, vcc_lo
	global_load_b64 v[8:9], v[8:9], off
	global_load_b64 v[24:25], v[24:25], off
	s_wait_alu 0xfffe
	s_or_b32 exec_lo, exec_lo, s3
	s_and_saveexec_b32 s3, s2
	s_cbranch_execz .LBB44_37
.LBB44_44:                              ;   in Loop: Header=BB44_5 Depth=1
	v_add_co_u32 v10, vcc_lo, v63, v38
	s_wait_alu 0xfffd
	v_add_co_ci_u32_e64 v11, null, v64, v39, vcc_lo
	v_add_co_u32 v26, vcc_lo, v65, v38
	s_wait_alu 0xfffd
	v_add_co_ci_u32_e64 v27, null, v66, v39, vcc_lo
	global_load_b64 v[10:11], v[10:11], off
	global_load_b64 v[26:27], v[26:27], off
	s_wait_alu 0xfffe
	s_or_b32 exec_lo, exec_lo, s3
	s_and_saveexec_b32 s3, s2
	s_cbranch_execz .LBB44_38
.LBB44_45:                              ;   in Loop: Header=BB44_5 Depth=1
	v_add_co_u32 v12, vcc_lo, v59, v38
	s_wait_alu 0xfffd
	v_add_co_ci_u32_e64 v13, null, v60, v39, vcc_lo
	v_add_co_u32 v28, vcc_lo, v61, v38
	s_wait_alu 0xfffd
	v_add_co_ci_u32_e64 v29, null, v62, v39, vcc_lo
	global_load_b64 v[12:13], v[12:13], off
	global_load_b64 v[28:29], v[28:29], off
	s_wait_alu 0xfffe
	s_or_b32 exec_lo, exec_lo, s3
	s_and_saveexec_b32 s3, s2
	s_cbranch_execz .LBB44_39
.LBB44_46:                              ;   in Loop: Header=BB44_5 Depth=1
	v_add_co_u32 v14, vcc_lo, v55, v38
	s_wait_alu 0xfffd
	v_add_co_ci_u32_e64 v15, null, v56, v39, vcc_lo
	v_add_co_u32 v30, vcc_lo, v57, v38
	s_wait_alu 0xfffd
	v_add_co_ci_u32_e64 v31, null, v58, v39, vcc_lo
	global_load_b64 v[14:15], v[14:15], off
	global_load_b64 v[30:31], v[30:31], off
	s_wait_alu 0xfffe
	s_or_b32 exec_lo, exec_lo, s3
	s_and_saveexec_b32 s3, s2
	s_cbranch_execz .LBB44_3
.LBB44_47:                              ;   in Loop: Header=BB44_5 Depth=1
	v_add_co_u32 v16, vcc_lo, v51, v38
	s_wait_alu 0xfffd
	v_add_co_ci_u32_e64 v17, null, v52, v39, vcc_lo
	v_add_co_u32 v32, vcc_lo, v53, v38
	s_wait_alu 0xfffd
	v_add_co_ci_u32_e64 v33, null, v54, v39, vcc_lo
	global_load_b64 v[16:17], v[16:17], off
	global_load_b64 v[32:33], v[32:33], off
	s_branch .LBB44_3
.LBB44_48:
                                        ; implicit-def: $vgpr36_vgpr37
                                        ; implicit-def: $vgpr34_vgpr35
	s_branch .LBB44_50
.LBB44_49:
	s_cbranch_execnz .LBB44_81
.LBB44_50:
	v_mov_b32_e32 v36, 0
	v_dual_mov_b32 v37, 0 :: v_dual_mov_b32 v34, 0
	v_mov_b32_e32 v35, 0
	s_and_not1_b32 vcc_lo, exec_lo, s31
	s_wait_alu 0xfffe
	s_cbranch_vccnz .LBB44_81
; %bb.51:
	v_bfe_u32 v72, v0, 10, 10
	v_dual_mov_b32 v1, 0 :: v_dual_and_b32 v74, 0x3ff, v0
	s_lshl_b64 s[20:21], s[16:17], 3
	s_mov_b32 s3, 0
	s_delay_alu instid0(VALU_DEP_2) | instskip(SKIP_2) | instid1(VALU_DEP_3)
	v_dual_mov_b32 v34, 0 :: v_dual_lshlrev_b32 v73, 3, v72
	v_dual_mov_b32 v35, 0 :: v_dual_lshlrev_b32 v8, 6, v72
	v_dual_mov_b32 v5, v1 :: v_dual_add_nc_u32 v4, s30, v74
	v_add_co_u32 v10, s2, v73, s16
	s_wait_alu 0xf1ff
	v_add_co_ci_u32_e64 v11, null, 0, 0, s2
	s_delay_alu instid0(VALU_DEP_3) | instskip(NEXT) | instid1(VALU_DEP_3)
	v_lshlrev_b64_e32 v[38:39], 3, v[4:5]
	v_mul_lo_u32 v6, s7, v10
	v_mad_co_u64_u32 v[2:3], null, s6, v10, 0
	s_delay_alu instid0(VALU_DEP_4) | instskip(SKIP_4) | instid1(VALU_DEP_3)
	v_mul_lo_u32 v7, s6, v11
	s_load_b32 s2, s[0:1], 0x44
	s_mov_b32 s19, s3
	v_mov_b32_e32 v36, 0
	v_mov_b32_e32 v37, 0
	v_add3_u32 v3, v3, v7, v6
	v_add_co_u32 v6, s18, v8, s20
	s_wait_alu 0xf1ff
	v_add_co_ci_u32_e64 v7, null, 0, s21, s18
	s_delay_alu instid0(VALU_DEP_3) | instskip(NEXT) | instid1(VALU_DEP_3)
	v_lshlrev_b64_e32 v[4:5], 3, v[2:3]
	v_add_co_u32 v8, vcc_lo, v6, 8
	s_wait_alu 0xfffd
	s_delay_alu instid0(VALU_DEP_3) | instskip(NEXT) | instid1(VALU_DEP_3)
	v_add_co_ci_u32_e64 v9, null, 0, v7, vcc_lo
	v_add_co_u32 v75, vcc_lo, s8, v4
	s_wait_alu 0xfffd
	v_add_co_ci_u32_e64 v76, null, s9, v5, vcc_lo
	v_add_co_u32 v77, vcc_lo, s10, v4
	s_wait_alu 0xfffd
	;; [unrolled: 3-line block ×5, first 2 shown]
	v_add_co_ci_u32_e64 v18, null, 0, v7, vcc_lo
	v_add_co_u32 v19, vcc_lo, v6, 40
	v_mad_co_u64_u32 v[42:43], null, s6, v4, s[8:9]
	v_mul_lo_u32 v5, s6, v5
	v_mul_lo_u32 v15, s7, v4
	v_mad_co_u64_u32 v[56:57], null, s6, v4, s[10:11]
	s_wait_alu 0xfffd
	v_add_co_ci_u32_e64 v20, null, 0, v7, vcc_lo
	v_add_co_u32 v22, vcc_lo, v6, 48
	s_wait_alu 0xfffd
	v_add_co_ci_u32_e64 v24, null, 0, v7, vcc_lo
	v_add_co_u32 v6, vcc_lo, v6, 56
	v_mad_co_u64_u32 v[40:41], null, s6, v8, s[8:9]
	v_mul_lo_u32 v9, s6, v9
	v_mul_lo_u32 v12, s7, v8
	v_mad_co_u64_u32 v[54:55], null, s6, v8, s[10:11]
	s_wait_alu 0xfffd
	v_add_co_ci_u32_e64 v7, null, 0, v7, vcc_lo
	v_add_co_u32 v4, vcc_lo, v10, 7
	v_add3_u32 v43, v15, v43, v5
	v_add3_u32 v57, v15, v57, v5
	s_wait_alu 0xfffd
	v_add_co_ci_u32_e64 v5, null, 0, v11, vcc_lo
	v_mul_lo_u32 v26, s6, v7
	v_add_co_u32 v7, vcc_lo, v10, 6
	v_add3_u32 v41, v12, v41, v9
	v_add3_u32 v55, v12, v55, v9
	s_wait_alu 0xfffd
	v_add_co_ci_u32_e64 v12, null, 0, v11, vcc_lo
	v_mul_lo_u32 v8, s7, v4
	v_mul_lo_u32 v9, s6, v5
	v_mad_co_u64_u32 v[4:5], null, s6, v4, 0
	v_mad_co_u64_u32 v[44:45], null, s6, v13, s[8:9]
	v_mul_lo_u32 v17, s7, v13
	v_mad_co_u64_u32 v[52:53], null, s6, v6, s[8:9]
	v_mul_lo_u32 v27, s7, v6
	v_mad_co_u64_u32 v[58:59], null, s6, v13, s[10:11]
	v_mad_co_u64_u32 v[66:67], null, s6, v6, s[10:11]
	v_mul_lo_u32 v13, s7, v7
	v_mul_lo_u32 v12, s6, v12
	v_mad_co_u64_u32 v[6:7], null, s6, v7, 0
	v_add3_u32 v5, v5, v9, v8
	v_add_co_u32 v8, vcc_lo, v10, 5
	s_wait_alu 0xfffd
	v_add_co_ci_u32_e64 v9, null, 0, v11, vcc_lo
	s_delay_alu instid0(VALU_DEP_3) | instskip(SKIP_2) | instid1(VALU_DEP_4)
	v_lshlrev_b64_e32 v[4:5], 3, v[4:5]
	v_add3_u32 v7, v7, v12, v13
	v_mul_lo_u32 v12, s7, v8
	v_mul_lo_u32 v13, s6, v9
	v_mad_co_u64_u32 v[8:9], null, s6, v8, 0
	s_delay_alu instid0(VALU_DEP_4)
	v_lshlrev_b64_e32 v[6:7], 3, v[6:7]
	v_add_co_u32 v79, vcc_lo, s8, v4
	s_wait_alu 0xfffd
	v_add_co_ci_u32_e64 v80, null, s9, v5, vcc_lo
	v_add_co_u32 v81, vcc_lo, s10, v4
	s_wait_alu 0xfffd
	v_add_co_ci_u32_e64 v82, null, s11, v5, vcc_lo
	v_add_co_u32 v83, vcc_lo, s8, v6
	v_mul_lo_u32 v14, s6, v14
	v_add3_u32 v9, v9, v13, v12
	s_wait_alu 0xfffd
	v_add_co_ci_u32_e64 v84, null, s9, v7, vcc_lo
	v_add_co_u32 v12, vcc_lo, v10, 4
	s_wait_kmcnt 0x0
	s_lshl_b32 s18, s2, 7
	v_add_co_u32 v85, s2, s10, v6
	s_wait_alu 0xfffd
	v_add_co_ci_u32_e64 v6, null, 0, v11, vcc_lo
	v_lshlrev_b64_e32 v[4:5], 3, v[8:9]
	v_add_co_u32 v8, vcc_lo, v10, 3
	s_wait_alu 0xfffd
	v_add_co_ci_u32_e64 v9, null, 0, v11, vcc_lo
	v_add3_u32 v45, v17, v45, v14
	v_add3_u32 v59, v17, v59, v14
	s_wait_alu 0xf1ff
	v_add_co_ci_u32_e64 v86, null, s11, v7, s2
	v_mul_lo_u32 v13, s7, v12
	v_mul_lo_u32 v14, s6, v6
	v_mad_co_u64_u32 v[6:7], null, s6, v12, 0
	v_mul_lo_u32 v12, s7, v8
	v_mul_lo_u32 v15, s6, v9
	v_mad_co_u64_u32 v[8:9], null, s6, v8, 0
	v_add_co_u32 v87, vcc_lo, s8, v4
	s_wait_alu 0xfffd
	v_add_co_ci_u32_e64 v88, null, s9, v5, vcc_lo
	v_add3_u32 v7, v7, v14, v13
	v_add_co_u32 v89, vcc_lo, s10, v4
	s_wait_alu 0xfffd
	v_add_co_ci_u32_e64 v90, null, s11, v5, vcc_lo
	v_add_co_u32 v10, vcc_lo, v10, 2
	v_add3_u32 v9, v9, v15, v12
	s_wait_alu 0xfffd
	v_add_co_ci_u32_e64 v11, null, 0, v11, vcc_lo
	v_lshlrev_b64_e32 v[4:5], 3, v[6:7]
	v_mul_lo_u32 v12, s7, v10
	v_lshlrev_b64_e32 v[6:7], 3, v[8:9]
	s_delay_alu instid0(VALU_DEP_4)
	v_mul_lo_u32 v11, s6, v11
	v_mad_co_u64_u32 v[8:9], null, s6, v10, 0
	v_add_co_u32 v91, vcc_lo, s8, v4
	s_wait_alu 0xfffd
	v_add_co_ci_u32_e64 v92, null, s9, v5, vcc_lo
	v_add_co_u32 v93, vcc_lo, s10, v4
	s_wait_alu 0xfffd
	v_add_co_ci_u32_e64 v94, null, s11, v5, vcc_lo
	;; [unrolled: 3-line block ×3, first 2 shown]
	v_add3_u32 v9, v9, v11, v12
	v_add_co_u32 v97, vcc_lo, s10, v6
	s_wait_alu 0xfffd
	v_add_co_ci_u32_e64 v98, null, s11, v7, vcc_lo
	v_add_co_u32 v2, vcc_lo, v2, s6
	s_wait_alu 0xfffd
	v_add_co_ci_u32_e64 v3, null, s7, v3, vcc_lo
	v_lshlrev_b64_e32 v[4:5], 3, v[8:9]
	v_mad_co_u64_u32 v[46:47], null, s6, v16, s[8:9]
	s_delay_alu instid0(VALU_DEP_3)
	v_lshlrev_b64_e32 v[2:3], 3, v[2:3]
	v_mul_lo_u32 v18, s6, v18
	v_mul_lo_u32 v21, s7, v16
	v_mad_co_u64_u32 v[48:49], null, s6, v19, s[8:9]
	v_mul_lo_u32 v20, s6, v20
	v_mul_lo_u32 v23, s7, v19
	v_mad_co_u64_u32 v[50:51], null, s6, v22, s[8:9]
	;; [unrolled: 3-line block ×3, first 2 shown]
	v_mad_co_u64_u32 v[62:63], null, s6, v19, s[10:11]
	v_mad_co_u64_u32 v[64:65], null, s6, v22, s[10:11]
	v_add_co_u32 v99, vcc_lo, s8, v4
	s_wait_alu 0xfffd
	v_add_co_ci_u32_e64 v100, null, s9, v5, vcc_lo
	v_add_co_u32 v101, vcc_lo, s10, v4
	s_wait_alu 0xfffd
	v_add_co_ci_u32_e64 v102, null, s11, v5, vcc_lo
	;; [unrolled: 3-line block ×3, first 2 shown]
	v_add_co_u32 v105, vcc_lo, s10, v2
	v_add3_u32 v47, v21, v47, v18
	v_add3_u32 v49, v23, v49, v20
	;; [unrolled: 1-line block ×8, first 2 shown]
	s_wait_alu 0xfffd
	v_add_co_ci_u32_e64 v106, null, s11, v3, vcc_lo
	s_wait_alu 0xfffe
	s_mul_u64 s[20:21], s[6:7], s[18:19]
	s_add_nc_u64 s[8:9], s[0:1], 64
	s_wait_alu 0xfffe
	s_lshl_b64 s[10:11], s[20:21], 3
	s_add_nc_u64 s[20:21], s[16:17], 0x7f
	s_branch .LBB44_55
.LBB44_52:                              ;   in Loop: Header=BB44_55 Depth=1
	s_wait_alu 0xfffe
	s_or_b32 exec_lo, exec_lo, s22
.LBB44_53:                              ;   in Loop: Header=BB44_55 Depth=1
	s_wait_alu 0xfffe
	s_or_b32 exec_lo, exec_lo, s2
	v_add_co_u32 v6, vcc_lo, v77, v38
	s_wait_alu 0xfffd
	v_add_co_ci_u32_e64 v7, null, v78, v39, vcc_lo
	v_add_co_u32 v8, vcc_lo, v54, v38
	s_wait_alu 0xfffd
	v_add_co_ci_u32_e64 v9, null, v55, v39, vcc_lo
	global_load_b64 v[6:7], v[6:7], off
	v_add_co_u32 v10, vcc_lo, v75, v38
	s_wait_alu 0xfffd
	v_add_co_ci_u32_e64 v11, null, v76, v39, vcc_lo
	global_load_b64 v[8:9], v[8:9], off
	global_load_b64 v[10:11], v[10:11], off
	v_add_co_u32 v12, vcc_lo, v56, v38
	s_wait_alu 0xfffd
	v_add_co_ci_u32_e64 v13, null, v57, v39, vcc_lo
	v_add_co_u32 v14, vcc_lo, v40, v38
	s_wait_alu 0xfffd
	v_add_co_ci_u32_e64 v15, null, v41, v39, vcc_lo
	global_load_b64 v[12:13], v[12:13], off
	global_load_b64 v[14:15], v[14:15], off
	v_add_co_u32 v16, vcc_lo, v58, v38
	s_wait_alu 0xfffd
	v_add_co_ci_u32_e64 v17, null, v59, v39, vcc_lo
	v_add_co_u32 v18, vcc_lo, v42, v38
	s_wait_alu 0xfffd
	v_add_co_ci_u32_e64 v19, null, v43, v39, vcc_lo
	global_load_b64 v[20:21], v[16:17], off
	global_load_b64 v[18:19], v[18:19], off
	v_add_co_u32 v16, vcc_lo, v60, v38
	s_wait_alu 0xfffd
	v_add_co_ci_u32_e64 v17, null, v61, v39, vcc_lo
	v_add_co_u32 v22, vcc_lo, v44, v38
	s_wait_alu 0xfffd
	v_add_co_ci_u32_e64 v23, null, v45, v39, vcc_lo
	global_load_b64 v[24:25], v[16:17], off
	global_load_b64 v[22:23], v[22:23], off
	v_add_co_u32 v16, vcc_lo, v62, v38
	s_wait_alu 0xfffd
	v_add_co_ci_u32_e64 v17, null, v63, v39, vcc_lo
	v_add_co_u32 v26, vcc_lo, v46, v38
	s_wait_alu 0xfffd
	v_add_co_ci_u32_e64 v27, null, v47, v39, vcc_lo
	global_load_b64 v[28:29], v[16:17], off
	global_load_b64 v[26:27], v[26:27], off
	v_add_co_u32 v16, vcc_lo, v48, v38
	s_wait_alu 0xfffd
	v_add_co_ci_u32_e64 v17, null, v49, v39, vcc_lo
	v_add_co_u32 v30, vcc_lo, v64, v38
	s_wait_alu 0xfffd
	v_add_co_ci_u32_e64 v31, null, v65, v39, vcc_lo
	v_add_co_u32 v32, vcc_lo, v66, v38
	s_wait_alu 0xfffd
	v_add_co_ci_u32_e64 v33, null, v67, v39, vcc_lo
	global_load_b64 v[30:31], v[30:31], off
	global_load_b64 v[68:69], v[16:17], off
	;; [unrolled: 1-line block ×3, first 2 shown]
	v_add_co_u32 v16, vcc_lo, v50, v38
	s_wait_alu 0xfffd
	v_add_co_ci_u32_e64 v17, null, v51, v39, vcc_lo
	v_add_co_u32 v70, vcc_lo, v52, v38
	s_wait_alu 0xfffd
	v_add_co_ci_u32_e64 v71, null, v53, v39, vcc_lo
	global_load_b64 v[107:108], v[16:17], off
	global_load_b64 v[16:17], v[70:71], off
	s_wait_loadcnt 0x11
	ds_bpermute_b32 v70, v1, v4
	ds_bpermute_b32 v71, v1, v5
	s_wait_loadcnt 0x10
	ds_bpermute_b32 v109, v1, v2
	ds_bpermute_b32 v110, v1, v3
	s_wait_loadcnt_dscnt 0xf02
	v_add_f64_e64 v[6:7], v[6:7], -v[70:71]
	ds_bpermute_b32 v70, v1, v4 offset:4
	ds_bpermute_b32 v71, v1, v5 offset:4
	s_wait_loadcnt_dscnt 0xe00
	v_add_f64_e64 v[8:9], v[8:9], -v[70:71]
	ds_bpermute_b32 v70, v1, v4 offset:8
	ds_bpermute_b32 v71, v1, v5 offset:8
	s_wait_loadcnt 0xd
	v_mul_f64_e32 v[6:7], v[10:11], v[6:7]
	v_add_f64_e32 v[10:11], v[36:37], v[10:11]
	ds_bpermute_b32 v36, v1, v2 offset:4
	ds_bpermute_b32 v37, v1, v3 offset:4
	s_wait_loadcnt_dscnt 0xc02
	v_add_f64_e64 v[12:13], v[12:13], -v[70:71]
	s_wait_loadcnt 0xb
	v_mul_f64_e32 v[8:9], v[14:15], v[8:9]
	v_fma_f64 v[6:7], v[6:7], v[109:110], v[34:35]
	ds_bpermute_b32 v34, v1, v4 offset:12
	ds_bpermute_b32 v35, v1, v5 offset:12
	v_add_f64_e32 v[10:11], v[10:11], v[14:15]
	ds_bpermute_b32 v14, v1, v2 offset:8
	ds_bpermute_b32 v15, v1, v3 offset:8
	s_wait_loadcnt 0x9
	v_mul_f64_e32 v[12:13], v[18:19], v[12:13]
	s_wait_dscnt 0x2
	v_add_f64_e64 v[20:21], v[20:21], -v[34:35]
	v_fma_f64 v[6:7], v[8:9], v[36:37], v[6:7]
	ds_bpermute_b32 v8, v1, v4 offset:16
	ds_bpermute_b32 v9, v1, v5 offset:16
	v_add_f64_e32 v[10:11], v[10:11], v[18:19]
	ds_bpermute_b32 v18, v1, v2 offset:16
	ds_bpermute_b32 v19, v1, v3 offset:16
	s_wait_loadcnt_dscnt 0x802
	v_add_f64_e64 v[8:9], v[24:25], -v[8:9]
	s_wait_loadcnt 0x7
	v_mul_f64_e32 v[20:21], v[22:23], v[20:21]
	v_fma_f64 v[6:7], v[12:13], v[14:15], v[6:7]
	ds_bpermute_b32 v12, v1, v4 offset:20
	ds_bpermute_b32 v13, v1, v5 offset:20
	;; [unrolled: 1-line block ×4, first 2 shown]
	v_add_f64_e32 v[10:11], v[10:11], v[22:23]
	s_wait_loadcnt_dscnt 0x602
	v_add_f64_e64 v[12:13], v[28:29], -v[12:13]
	s_wait_loadcnt 0x5
	v_mul_f64_e32 v[8:9], v[26:27], v[8:9]
	s_wait_dscnt 0x0
	v_fma_f64 v[6:7], v[20:21], v[14:15], v[6:7]
	ds_bpermute_b32 v14, v1, v4 offset:24
	ds_bpermute_b32 v15, v1, v5 offset:24
	;; [unrolled: 1-line block ×4, first 2 shown]
	v_add_f64_e32 v[10:11], v[10:11], v[26:27]
	s_wait_loadcnt_dscnt 0x402
	v_add_f64_e64 v[14:15], v[30:31], -v[14:15]
	s_wait_loadcnt 0x3
	v_mul_f64_e32 v[12:13], v[68:69], v[12:13]
	s_wait_loadcnt_dscnt 0x200
	v_add_f64_e64 v[4:5], v[32:33], -v[4:5]
	v_fma_f64 v[6:7], v[8:9], v[18:19], v[6:7]
	ds_bpermute_b32 v8, v1, v2 offset:20
	ds_bpermute_b32 v9, v1, v3 offset:20
	v_add_f64_e32 v[10:11], v[10:11], v[68:69]
	s_wait_loadcnt 0x1
	v_mul_f64_e32 v[14:15], v[107:108], v[14:15]
	s_wait_loadcnt 0x0
	v_mul_f64_e32 v[4:5], v[16:17], v[4:5]
	s_wait_dscnt 0x0
	v_fma_f64 v[6:7], v[12:13], v[8:9], v[6:7]
	ds_bpermute_b32 v8, v1, v2 offset:24
	ds_bpermute_b32 v9, v1, v3 offset:24
	;; [unrolled: 1-line block ×4, first 2 shown]
	v_add_f64_e32 v[2:3], v[10:11], v[107:108]
	s_wait_dscnt 0x0
	v_mul_f64_e32 v[4:5], v[4:5], v[12:13]
	v_fma_f64 v[6:7], v[14:15], v[8:9], v[6:7]
.LBB44_54:                              ;   in Loop: Header=BB44_55 Depth=1
	v_add_co_u32 v75, vcc_lo, v75, s10
	s_wait_alu 0xfffd
	v_add_co_ci_u32_e64 v76, null, s11, v76, vcc_lo
	v_add_co_u32 v77, vcc_lo, v77, s10
	s_wait_alu 0xfffd
	v_add_co_ci_u32_e64 v78, null, s11, v78, vcc_lo
	;; [unrolled: 3-line block ×13, first 2 shown]
	v_add_co_u32 v62, vcc_lo, v62, s10
	v_add_f64_e32 v[34:35], v[6:7], v[4:5]
	v_add_f64_e32 v[36:37], v[2:3], v[16:17]
	s_wait_alu 0xfffd
	v_add_co_ci_u32_e64 v63, null, s11, v63, vcc_lo
	v_add_co_u32 v64, vcc_lo, v64, s10
	s_wait_alu 0xfffd
	v_add_co_ci_u32_e64 v65, null, s11, v65, vcc_lo
	v_add_co_u32 v66, vcc_lo, v66, s10
	s_wait_alu 0xfffd
	v_add_co_ci_u32_e64 v67, null, s11, v67, vcc_lo
	v_add_co_u32 v79, vcc_lo, v79, s10
	s_wait_alu 0xfffd
	v_add_co_ci_u32_e64 v80, null, s11, v80, vcc_lo
	v_add_co_u32 v81, vcc_lo, v81, s10
	s_wait_alu 0xfffd
	v_add_co_ci_u32_e64 v82, null, s11, v82, vcc_lo
	v_add_co_u32 v83, vcc_lo, v83, s10
	s_wait_alu 0xfffd
	v_add_co_ci_u32_e64 v84, null, s11, v84, vcc_lo
	v_add_co_u32 v85, vcc_lo, v85, s10
	s_wait_alu 0xfffd
	v_add_co_ci_u32_e64 v86, null, s11, v86, vcc_lo
	v_add_co_u32 v87, vcc_lo, v87, s10
	s_wait_alu 0xfffd
	v_add_co_ci_u32_e64 v88, null, s11, v88, vcc_lo
	v_add_co_u32 v89, vcc_lo, v89, s10
	s_wait_alu 0xfffd
	v_add_co_ci_u32_e64 v90, null, s11, v90, vcc_lo
	v_add_co_u32 v91, vcc_lo, v91, s10
	s_wait_alu 0xfffd
	v_add_co_ci_u32_e64 v92, null, s11, v92, vcc_lo
	v_add_co_u32 v93, vcc_lo, v93, s10
	s_wait_alu 0xfffd
	v_add_co_ci_u32_e64 v94, null, s11, v94, vcc_lo
	v_add_co_u32 v95, vcc_lo, v95, s10
	s_wait_alu 0xfffd
	v_add_co_ci_u32_e64 v96, null, s11, v96, vcc_lo
	v_add_co_u32 v97, vcc_lo, v97, s10
	s_wait_alu 0xfffd
	v_add_co_ci_u32_e64 v98, null, s11, v98, vcc_lo
	v_add_co_u32 v99, vcc_lo, v99, s10
	s_wait_alu 0xfffd
	v_add_co_ci_u32_e64 v100, null, s11, v100, vcc_lo
	v_add_co_u32 v101, vcc_lo, v101, s10
	s_add_nc_u64 s[16:17], s[16:17], s[18:19]
	s_wait_alu 0xfffd
	v_add_co_ci_u32_e64 v102, null, s11, v102, vcc_lo
	v_add_co_u32 v103, vcc_lo, v103, s10
	s_wait_alu 0xfffe
	v_cmp_ge_i64_e64 s2, s[16:17], s[4:5]
	s_wait_alu 0xfffd
	v_add_co_ci_u32_e64 v104, null, s11, v104, vcc_lo
	v_add_co_u32 v105, vcc_lo, v105, s10
	s_wait_alu 0xfffd
	v_add_co_ci_u32_e64 v106, null, s11, v106, vcc_lo
	s_and_b32 vcc_lo, exec_lo, s2
	s_add_nc_u64 s[20:21], s[20:21], s[18:19]
	s_wait_alu 0xfffe
	s_cbranch_vccnz .LBB44_81
.LBB44_55:                              ; =>This Inner Loop Header: Depth=1
	s_wait_alu 0xfffe
	v_cmp_ge_i64_e64 s2, s[20:21], s[4:5]
	v_add_co_u32 v107, s22, v73, s20
	s_wait_alu 0xf1ff
	v_add_co_ci_u32_e64 v108, null, 0, s21, s22
                                        ; implicit-def: $vgpr16_vgpr17
                                        ; implicit-def: $vgpr4_vgpr5
                                        ; implicit-def: $vgpr2_vgpr3
                                        ; implicit-def: $vgpr6_vgpr7
	s_and_b32 vcc_lo, exec_lo, s2
	s_mov_b32 s2, -1
	s_wait_alu 0xfffe
	s_cbranch_vccz .LBB44_77
; %bb.56:                               ;   in Loop: Header=BB44_55 Depth=1
	s_load_b32 s2, s[8:9], 0xc
	v_mov_b32_e32 v68, 0
	v_mov_b32_e32 v70, 0
	v_mov_b32_e32 v71, 0
	v_mov_b32_e32 v69, 0
	s_wait_kmcnt 0x0
	s_and_b32 s2, s2, 0xffff
	s_wait_alu 0xfffe
	v_mad_u32_u24 v2, v72, s2, v74
	s_mov_b32 s2, exec_lo
	s_delay_alu instid0(VALU_DEP_1) | instskip(NEXT) | instid1(VALU_DEP_1)
	v_and_b32_e32 v2, 31, v2
	v_cmpx_gt_u32_e32 8, v2
	s_cbranch_execz .LBB44_60
; %bb.57:                               ;   in Loop: Header=BB44_55 Depth=1
	v_add_co_u32 v2, vcc_lo, v107, v2
	s_wait_alu 0xfffd
	v_add_co_ci_u32_e64 v3, null, 0, v108, vcc_lo
	v_mov_b32_e32 v70, 0
	s_delay_alu instid0(VALU_DEP_3)
	v_add_co_u32 v2, vcc_lo, 0xffffff81, v2
	v_dual_mov_b32 v71, 0 :: v_dual_mov_b32 v68, 0
	s_wait_alu 0xfffd
	v_add_co_ci_u32_e64 v3, null, -1, v3, vcc_lo
	v_mov_b32_e32 v69, 0
	s_mov_b32 s22, exec_lo
	s_delay_alu instid0(VALU_DEP_2)
	v_cmpx_gt_i64_e64 s[4:5], v[2:3]
	s_cbranch_execz .LBB44_59
; %bb.58:                               ;   in Loop: Header=BB44_55 Depth=1
	v_lshlrev_b64_e32 v[2:3], 3, v[2:3]
	s_delay_alu instid0(VALU_DEP_1) | instskip(SKIP_1) | instid1(VALU_DEP_2)
	v_add_co_u32 v4, vcc_lo, s12, v2
	s_wait_alu 0xfffd
	v_add_co_ci_u32_e64 v5, null, s13, v3, vcc_lo
	v_add_co_u32 v2, vcc_lo, s14, v2
	s_wait_alu 0xfffd
	v_add_co_ci_u32_e64 v3, null, s15, v3, vcc_lo
	global_load_b64 v[70:71], v[4:5], off
	global_load_b64 v[68:69], v[2:3], off
.LBB44_59:                              ;   in Loop: Header=BB44_55 Depth=1
	s_wait_alu 0xfffe
	s_or_b32 exec_lo, exec_lo, s22
.LBB44_60:                              ;   in Loop: Header=BB44_55 Depth=1
	s_wait_alu 0xfffe
	s_or_b32 exec_lo, exec_lo, s2
	v_add_co_u32 v17, vcc_lo, 0xffffff81, v107
	s_wait_alu 0xfffd
	v_add_co_ci_u32_e64 v18, null, -1, v108, vcc_lo
	v_mov_b32_e32 v16, v1
	v_dual_mov_b32 v2, v1 :: v_dual_mov_b32 v3, v1
	v_dual_mov_b32 v4, v1 :: v_dual_mov_b32 v5, v1
	v_dual_mov_b32 v6, v1 :: v_dual_mov_b32 v7, v1
	v_dual_mov_b32 v8, v1 :: v_dual_mov_b32 v9, v1
	v_dual_mov_b32 v10, v1 :: v_dual_mov_b32 v11, v1
	v_dual_mov_b32 v12, v1 :: v_dual_mov_b32 v13, v1
	v_dual_mov_b32 v14, v1 :: v_dual_mov_b32 v15, v1
	v_cmp_gt_i64_e32 vcc_lo, s[4:5], v[17:18]
	s_delay_alu instid0(VALU_DEP_3) | instskip(NEXT) | instid1(VALU_DEP_3)
	v_dual_mov_b32 v33, v16 :: v_dual_mov_b32 v30, v13
	v_dual_mov_b32 v31, v14 :: v_dual_mov_b32 v32, v15
	;; [unrolled: 1-line block ×8, first 2 shown]
	v_mov_b32_e32 v17, v16
	v_mov_b32_e32 v16, v15
	;; [unrolled: 1-line block ×16, first 2 shown]
	s_and_saveexec_b32 s2, vcc_lo
	s_cbranch_execz .LBB44_62
; %bb.61:                               ;   in Loop: Header=BB44_55 Depth=1
	v_add_co_u32 v2, vcc_lo, v75, v38
	s_wait_alu 0xfffd
	v_add_co_ci_u32_e64 v3, null, v76, v39, vcc_lo
	v_add_co_u32 v4, vcc_lo, v77, v38
	s_wait_alu 0xfffd
	v_add_co_ci_u32_e64 v5, null, v78, v39, vcc_lo
	global_load_b64 v[2:3], v[2:3], off
	global_load_b64 v[18:19], v[4:5], off
	v_dual_mov_b32 v4, v1 :: v_dual_mov_b32 v5, v1
	v_dual_mov_b32 v6, v1 :: v_dual_mov_b32 v7, v1
	;; [unrolled: 1-line block ×14, first 2 shown]
.LBB44_62:                              ;   in Loop: Header=BB44_55 Depth=1
	s_wait_alu 0xfffe
	s_or_b32 exec_lo, exec_lo, s2
	v_add_co_u32 v109, vcc_lo, 0xffffff82, v107
	s_wait_alu 0xfffd
	v_add_co_ci_u32_e64 v110, null, -1, v108, vcc_lo
	s_mov_b32 s2, exec_lo
	v_cmpx_gt_i64_e64 s[4:5], v[109:110]
	s_cbranch_execz .LBB44_64
; %bb.63:                               ;   in Loop: Header=BB44_55 Depth=1
	v_add_co_u32 v4, vcc_lo, v103, v38
	s_wait_alu 0xfffd
	v_add_co_ci_u32_e64 v5, null, v104, v39, vcc_lo
	v_add_co_u32 v20, vcc_lo, v105, v38
	s_wait_alu 0xfffd
	v_add_co_ci_u32_e64 v21, null, v106, v39, vcc_lo
	global_load_b64 v[4:5], v[4:5], off
	global_load_b64 v[20:21], v[20:21], off
.LBB44_64:                              ;   in Loop: Header=BB44_55 Depth=1
	s_wait_alu 0xfffe
	s_or_b32 exec_lo, exec_lo, s2
	v_add_co_u32 v109, vcc_lo, 0xffffff83, v107
	s_wait_alu 0xfffd
	v_add_co_ci_u32_e64 v110, null, -1, v108, vcc_lo
	s_mov_b32 s2, exec_lo
	v_cmpx_gt_i64_e64 s[4:5], v[109:110]
	s_cbranch_execz .LBB44_66
; %bb.65:                               ;   in Loop: Header=BB44_55 Depth=1
	v_add_co_u32 v6, vcc_lo, v99, v38
	s_wait_alu 0xfffd
	v_add_co_ci_u32_e64 v7, null, v100, v39, vcc_lo
	v_add_co_u32 v22, vcc_lo, v101, v38
	s_wait_alu 0xfffd
	v_add_co_ci_u32_e64 v23, null, v102, v39, vcc_lo
	global_load_b64 v[6:7], v[6:7], off
	global_load_b64 v[22:23], v[22:23], off
.LBB44_66:                              ;   in Loop: Header=BB44_55 Depth=1
	;; [unrolled: 18-line block ×7, first 2 shown]
	s_wait_alu 0xfffe
	s_or_b32 exec_lo, exec_lo, s2
	s_wait_loadcnt 0x1
	ds_bpermute_b32 v109, v1, v70
	ds_bpermute_b32 v110, v1, v71
	s_wait_loadcnt 0x0
	ds_bpermute_b32 v111, v1, v68
	ds_bpermute_b32 v112, v1, v69
	s_mov_b32 s2, 0
	s_wait_dscnt 0x2
	v_add_f64_e64 v[18:19], v[18:19], -v[109:110]
	ds_bpermute_b32 v109, v1, v70 offset:4
	ds_bpermute_b32 v110, v1, v71 offset:4
	s_wait_dscnt 0x0
	v_add_f64_e64 v[20:21], v[20:21], -v[109:110]
	ds_bpermute_b32 v109, v1, v70 offset:8
	ds_bpermute_b32 v110, v1, v71 offset:8
	v_mul_f64_e32 v[18:19], v[2:3], v[18:19]
	v_add_f64_e32 v[2:3], v[36:37], v[2:3]
	s_wait_dscnt 0x0
	v_add_f64_e64 v[22:23], v[22:23], -v[109:110]
	ds_bpermute_b32 v109, v1, v70 offset:12
	ds_bpermute_b32 v110, v1, v71 offset:12
	v_mul_f64_e32 v[20:21], v[4:5], v[20:21]
	s_wait_dscnt 0x0
	v_add_f64_e64 v[24:25], v[24:25], -v[109:110]
	v_fma_f64 v[18:19], v[18:19], v[111:112], v[34:35]
	ds_bpermute_b32 v111, v1, v68 offset:4
	ds_bpermute_b32 v112, v1, v69 offset:4
	v_add_f64_e32 v[2:3], v[4:5], v[2:3]
	v_mul_f64_e32 v[4:5], v[6:7], v[22:23]
	ds_bpermute_b32 v22, v1, v68 offset:8
	ds_bpermute_b32 v23, v1, v69 offset:8
	v_mul_f64_e32 v[24:25], v[8:9], v[24:25]
	s_wait_dscnt 0x2
	v_fma_f64 v[18:19], v[20:21], v[111:112], v[18:19]
	ds_bpermute_b32 v20, v1, v70 offset:16
	ds_bpermute_b32 v21, v1, v71 offset:16
	v_add_f64_e32 v[2:3], v[6:7], v[2:3]
	ds_bpermute_b32 v6, v1, v70 offset:20
	ds_bpermute_b32 v7, v1, v71 offset:20
	s_wait_dscnt 0x2
	v_add_f64_e64 v[20:21], v[26:27], -v[20:21]
	s_wait_dscnt 0x0
	v_add_f64_e64 v[6:7], v[28:29], -v[6:7]
	v_fma_f64 v[4:5], v[4:5], v[22:23], v[18:19]
	ds_bpermute_b32 v18, v1, v68 offset:12
	ds_bpermute_b32 v19, v1, v69 offset:12
	v_add_f64_e32 v[2:3], v[8:9], v[2:3]
	ds_bpermute_b32 v8, v1, v70 offset:24
	ds_bpermute_b32 v9, v1, v71 offset:24
	;; [unrolled: 1-line block ×4, first 2 shown]
	v_mul_f64_e32 v[20:21], v[10:11], v[20:21]
	s_wait_dscnt 0x2
	v_add_f64_e64 v[8:9], v[30:31], -v[8:9]
	v_mul_f64_e32 v[6:7], v[12:13], v[6:7]
	v_fma_f64 v[4:5], v[24:25], v[18:19], v[4:5]
	ds_bpermute_b32 v18, v1, v68 offset:16
	ds_bpermute_b32 v19, v1, v69 offset:16
	v_add_f64_e32 v[2:3], v[10:11], v[2:3]
	s_wait_dscnt 0x2
	v_add_f64_e64 v[10:11], v[32:33], -v[22:23]
	v_mul_f64_e32 v[8:9], v[14:15], v[8:9]
	s_wait_dscnt 0x0
	v_fma_f64 v[4:5], v[20:21], v[18:19], v[4:5]
	ds_bpermute_b32 v18, v1, v68 offset:20
	ds_bpermute_b32 v19, v1, v69 offset:20
	v_add_f64_e32 v[2:3], v[12:13], v[2:3]
	v_mul_f64_e32 v[10:11], v[16:17], v[10:11]
	ds_bpermute_b32 v12, v1, v68 offset:28
	ds_bpermute_b32 v13, v1, v69 offset:28
	s_wait_dscnt 0x2
	v_fma_f64 v[4:5], v[6:7], v[18:19], v[4:5]
	ds_bpermute_b32 v6, v1, v68 offset:24
	ds_bpermute_b32 v7, v1, v69 offset:24
	v_add_f64_e32 v[2:3], v[14:15], v[2:3]
	s_wait_dscnt 0x0
	v_fma_f64 v[6:7], v[8:9], v[6:7], v[4:5]
	v_mul_f64_e32 v[4:5], v[10:11], v[12:13]
.LBB44_77:                              ;   in Loop: Header=BB44_55 Depth=1
	s_wait_alu 0xfffe
	s_and_b32 vcc_lo, exec_lo, s2
	s_wait_alu 0xfffe
	s_cbranch_vccz .LBB44_54
; %bb.78:                               ;   in Loop: Header=BB44_55 Depth=1
	s_load_b32 s2, s[8:9], 0x0
	v_mov_b32_e32 v4, 0
	v_mov_b32_e32 v5, 0
	s_wait_kmcnt 0x0
	s_cmp_lt_u32 ttmp9, s2
	s_cselect_b32 s2, 12, 18
	s_wait_alu 0xfffe
	s_add_nc_u64 s[22:23], s[8:9], s[2:3]
	s_load_u16 s2, s[22:23], 0x0
	s_wait_kmcnt 0x0
	v_mad_u32_u24 v2, v72, s2, v74
	s_mov_b32 s2, exec_lo
	s_delay_alu instid0(VALU_DEP_1) | instskip(SKIP_2) | instid1(VALU_DEP_3)
	v_and_b32_e32 v6, 31, v2
	v_mov_b32_e32 v2, 0
	v_mov_b32_e32 v3, 0
	v_cmpx_gt_u32_e32 8, v6
	s_cbranch_execz .LBB44_53
; %bb.79:                               ;   in Loop: Header=BB44_55 Depth=1
	v_add_co_u32 v2, vcc_lo, v107, v6
	s_wait_alu 0xfffd
	v_add_co_ci_u32_e64 v3, null, 0, v108, vcc_lo
	v_mov_b32_e32 v4, 0
	s_delay_alu instid0(VALU_DEP_3) | instskip(SKIP_1) | instid1(VALU_DEP_3)
	v_add_co_u32 v6, vcc_lo, 0xffffff81, v2
	s_wait_alu 0xfffd
	v_add_co_ci_u32_e64 v7, null, -1, v3, vcc_lo
	v_dual_mov_b32 v5, 0 :: v_dual_mov_b32 v2, 0
	v_mov_b32_e32 v3, 0
	s_mov_b32 s22, exec_lo
	s_delay_alu instid0(VALU_DEP_3)
	v_cmpx_gt_i64_e64 s[4:5], v[6:7]
	s_cbranch_execz .LBB44_52
; %bb.80:                               ;   in Loop: Header=BB44_55 Depth=1
	v_lshlrev_b64_e32 v[2:3], 3, v[6:7]
	s_delay_alu instid0(VALU_DEP_1) | instskip(SKIP_1) | instid1(VALU_DEP_2)
	v_add_co_u32 v4, vcc_lo, s12, v2
	s_wait_alu 0xfffd
	v_add_co_ci_u32_e64 v5, null, s13, v3, vcc_lo
	v_add_co_u32 v2, vcc_lo, s14, v2
	s_wait_alu 0xfffd
	v_add_co_ci_u32_e64 v3, null, s15, v3, vcc_lo
	global_load_b64 v[4:5], v[4:5], off
	global_load_b64 v[2:3], v[2:3], off
	s_branch .LBB44_52
.LBB44_81:
	v_and_b32_e32 v10, 0x3ff, v0
	v_bfe_u32 v1, v0, 10, 10
	v_bfe_u32 v0, v0, 5, 5
	s_mov_b32 s2, exec_lo
	s_delay_alu instid0(VALU_DEP_2) | instskip(NEXT) | instid1(VALU_DEP_2)
	v_mad_u32_u24 v2, v1, 33, v10
	v_add_nc_u32_e32 v8, v0, v1
	s_delay_alu instid0(VALU_DEP_2)
	v_lshl_add_u32 v0, v2, 3, 0
	ds_store_b64 v0, v[34:35]
	ds_store_b64 v0, v[36:37] offset:4224
	s_wait_dscnt 0x0
	s_barrier_signal -1
	s_barrier_wait -1
	global_inv scope:SCOPE_SE
	v_cmpx_gt_u32_e32 32, v8
	s_cbranch_execz .LBB44_97
; %bb.82:
	s_load_b128 s[8:11], s[0:1], 0x30
	v_and_b32_e32 v0, 31, v10
                                        ; implicit-def: $vgpr2_vgpr3
	s_delay_alu instid0(VALU_DEP_1)
	v_cmp_gt_u32_e64 s0, 16, v0
	v_mul_u32_u24_e32 v6, 33, v0
                                        ; implicit-def: $vgpr0_vgpr1
	s_and_saveexec_b32 s1, s0
	s_cbranch_execz .LBB44_84
; %bb.83:
	s_delay_alu instid0(VALU_DEP_1) | instskip(NEXT) | instid1(VALU_DEP_1)
	v_add_nc_u32_e32 v0, v8, v6
	v_lshl_add_u32 v0, v0, 3, 0
	ds_load_b64 v[2:3], v0
	ds_load_b64 v[0:1], v0 offset:4224
.LBB44_84:
	s_or_b32 exec_lo, exec_lo, s1
	v_mbcnt_lo_u32_b32 v14, -1, 0
	s_mov_b32 s2, ttmp9
	s_mov_b32 s3, 0
	v_cmp_eq_u32_e64 s1, 0, v10
	s_wait_alu 0xfffe
	s_lshl_b64 s[2:3], s[2:3], 5
	v_xor_b32_e32 v4, 8, v14
	s_wait_kmcnt 0x0
	s_cmp_lg_u64 s[8:9], 0
	s_cselect_b32 s5, -1, 0
	s_cmp_lg_u64 s[10:11], 0
	v_cmp_gt_i32_e32 vcc_lo, 32, v4
	s_cselect_b32 s4, -1, 0
	s_wait_alu 0xfffd
	v_cndmask_b32_e32 v4, v14, v4, vcc_lo
	s_delay_alu instid0(VALU_DEP_1)
	v_lshlrev_b32_e32 v7, 2, v4
	s_wait_dscnt 0x1
	ds_bpermute_b32 v4, v7, v2
	ds_bpermute_b32 v5, v7, v3
	s_wait_dscnt 0x2
	ds_bpermute_b32 v11, v7, v0
	ds_bpermute_b32 v12, v7, v1
	s_wait_dscnt 0x2
	v_add_f64_e32 v[2:3], v[2:3], v[4:5]
	v_xor_b32_e32 v4, 4, v14
	s_wait_dscnt 0x0
	v_add_f64_e32 v[0:1], v[0:1], v[11:12]
	s_delay_alu instid0(VALU_DEP_2) | instskip(SKIP_2) | instid1(VALU_DEP_1)
	v_cmp_gt_i32_e32 vcc_lo, 32, v4
	s_wait_alu 0xfffd
	v_cndmask_b32_e32 v4, v14, v4, vcc_lo
	v_lshlrev_b32_e32 v9, 2, v4
	ds_bpermute_b32 v4, v9, v2
	ds_bpermute_b32 v5, v9, v3
	;; [unrolled: 1-line block ×4, first 2 shown]
	s_wait_dscnt 0x2
	v_add_f64_e32 v[2:3], v[2:3], v[4:5]
	v_xor_b32_e32 v4, 2, v14
	s_wait_dscnt 0x0
	v_add_f64_e32 v[0:1], v[0:1], v[11:12]
	s_delay_alu instid0(VALU_DEP_2) | instskip(SKIP_2) | instid1(VALU_DEP_1)
	v_cmp_gt_i32_e32 vcc_lo, 32, v4
	s_wait_alu 0xfffd
	v_cndmask_b32_e32 v4, v14, v4, vcc_lo
	v_lshlrev_b32_e32 v11, 2, v4
	ds_bpermute_b32 v4, v11, v2
	ds_bpermute_b32 v5, v11, v3
	;; [unrolled: 1-line block ×4, first 2 shown]
	s_wait_dscnt 0x2
	v_add_f64_e32 v[2:3], v[2:3], v[4:5]
	s_wait_dscnt 0x0
	v_add_f64_e32 v[4:5], v[0:1], v[12:13]
	v_xor_b32_e32 v0, 1, v14
	s_delay_alu instid0(VALU_DEP_1) | instskip(SKIP_2) | instid1(VALU_DEP_1)
	v_cmp_gt_i32_e32 vcc_lo, 32, v0
	s_wait_alu 0xfffd
	v_cndmask_b32_e32 v0, v14, v0, vcc_lo
	v_lshlrev_b32_e32 v12, 2, v0
	ds_bpermute_b32 v0, v12, v2
	ds_bpermute_b32 v1, v12, v3
	;; [unrolled: 1-line block ×4, first 2 shown]
	s_wait_dscnt 0x2
	v_add_f64_e32 v[0:1], v[2:3], v[0:1]
	s_wait_dscnt 0x0
	v_add_f64_e32 v[2:3], v[4:5], v[13:14]
	s_wait_alu 0xfffe
	v_or_b32_e32 v4, s2, v8
	v_mov_b32_e32 v5, s3
	s_delay_alu instid0(VALU_DEP_1)
	v_cmp_gt_i64_e32 vcc_lo, s[6:7], v[4:5]
	s_and_b32 s13, s1, vcc_lo
	s_wait_alu 0xfffe
	s_and_saveexec_b32 s12, s13
	s_cbranch_execz .LBB44_89
; %bb.85:
	v_lshlrev_b64_e32 v[4:5], 3, v[4:5]
	s_and_not1_b32 vcc_lo, exec_lo, s5
	s_wait_alu 0xfffe
	s_cbranch_vccnz .LBB44_87
; %bb.86:
	s_delay_alu instid0(VALU_DEP_1)
	v_add_co_u32 v13, vcc_lo, s8, v4
	s_wait_alu 0xfffd
	v_add_co_ci_u32_e64 v14, null, s9, v5, vcc_lo
	global_store_b64 v[13:14], v[0:1], off
.LBB44_87:
	s_and_not1_b32 vcc_lo, exec_lo, s4
	s_wait_alu 0xfffe
	s_cbranch_vccnz .LBB44_89
; %bb.88:
	v_add_co_u32 v4, vcc_lo, s10, v4
	s_wait_alu 0xfffd
	v_add_co_ci_u32_e64 v5, null, s11, v5, vcc_lo
	global_store_b64 v[4:5], v[2:3], off
.LBB44_89:
	s_wait_alu 0xfffe
	s_or_b32 exec_lo, exec_lo, s12
	v_cmp_gt_u32_e32 vcc_lo, 16, v8
	s_and_b32 exec_lo, exec_lo, vcc_lo
	s_cbranch_execz .LBB44_97
; %bb.90:
	s_and_saveexec_b32 s12, s0
	s_cbranch_execz .LBB44_92
; %bb.91:
	v_add_nc_u32_e32 v0, v8, v6
	s_delay_alu instid0(VALU_DEP_1)
	v_lshl_add_u32 v2, v0, 3, 0
	ds_load_b64 v[0:1], v2 offset:128
	ds_load_b64 v[2:3], v2 offset:4352
.LBB44_92:
	s_wait_alu 0xfffe
	s_or_b32 exec_lo, exec_lo, s12
	s_wait_dscnt 0x1
	ds_bpermute_b32 v4, v7, v0
	ds_bpermute_b32 v5, v7, v1
	s_wait_dscnt 0x2
	ds_bpermute_b32 v6, v7, v2
	ds_bpermute_b32 v7, v7, v3
	v_mov_b32_e32 v10, s3
	s_wait_dscnt 0x2
	v_add_f64_e32 v[0:1], v[0:1], v[4:5]
	s_wait_dscnt 0x0
	v_add_f64_e32 v[2:3], v[2:3], v[6:7]
	ds_bpermute_b32 v4, v9, v0
	ds_bpermute_b32 v5, v9, v1
	;; [unrolled: 1-line block ×4, first 2 shown]
	v_add_nc_u32_e32 v9, 16, v8
	s_delay_alu instid0(VALU_DEP_1) | instskip(NEXT) | instid1(VALU_DEP_1)
	v_or_b32_e32 v9, s2, v9
	v_cmp_gt_i64_e32 vcc_lo, s[6:7], v[9:10]
	s_and_b32 s0, s1, vcc_lo
	s_wait_dscnt 0x2
	v_add_f64_e32 v[0:1], v[0:1], v[4:5]
	s_wait_dscnt 0x0
	v_add_f64_e32 v[2:3], v[2:3], v[6:7]
	ds_bpermute_b32 v4, v11, v0
	ds_bpermute_b32 v5, v11, v1
	;; [unrolled: 1-line block ×4, first 2 shown]
	s_wait_dscnt 0x2
	v_add_f64_e32 v[4:5], v[0:1], v[4:5]
	s_wait_dscnt 0x0
	v_add_f64_e32 v[0:1], v[2:3], v[6:7]
	ds_bpermute_b32 v6, v12, v4
	ds_bpermute_b32 v7, v12, v5
	ds_bpermute_b32 v2, v12, v0
	ds_bpermute_b32 v3, v12, v1
	s_and_b32 exec_lo, exec_lo, s0
	s_cbranch_execz .LBB44_97
; %bb.93:
	s_and_not1_b32 vcc_lo, exec_lo, s5
	s_wait_alu 0xfffe
	s_cbranch_vccnz .LBB44_95
; %bb.94:
	s_wait_dscnt 0x2
	v_add_f64_e32 v[4:5], v[4:5], v[6:7]
	v_add_co_u32 v6, s0, s2, v8
	s_delay_alu instid0(VALU_DEP_1) | instskip(NEXT) | instid1(VALU_DEP_1)
	v_add_co_ci_u32_e64 v7, null, s3, 0, s0
	v_lshlrev_b64_e32 v[6:7], 3, v[6:7]
	s_delay_alu instid0(VALU_DEP_1) | instskip(SKIP_1) | instid1(VALU_DEP_2)
	v_add_co_u32 v6, vcc_lo, s8, v6
	s_wait_alu 0xfffd
	v_add_co_ci_u32_e64 v7, null, s9, v7, vcc_lo
	global_store_b64 v[6:7], v[4:5], off offset:128
.LBB44_95:
	s_and_not1_b32 vcc_lo, exec_lo, s4
	s_wait_alu 0xfffe
	s_cbranch_vccnz .LBB44_97
; %bb.96:
	s_wait_dscnt 0x0
	v_add_f64_e32 v[0:1], v[0:1], v[2:3]
	v_add_co_u32 v2, s0, s2, v8
	s_wait_alu 0xf1ff
	v_add_co_ci_u32_e64 v3, null, s3, 0, s0
	s_delay_alu instid0(VALU_DEP_1) | instskip(NEXT) | instid1(VALU_DEP_1)
	v_lshlrev_b64_e32 v[2:3], 3, v[2:3]
	v_add_co_u32 v2, vcc_lo, s10, v2
	s_wait_alu 0xfffd
	s_delay_alu instid0(VALU_DEP_2)
	v_add_co_ci_u32_e64 v3, null, s11, v3, vcc_lo
	global_store_b64 v[2:3], v[0:1], off offset:128
.LBB44_97:
	s_nop 0
	s_sendmsg sendmsg(MSG_DEALLOC_VGPRS)
	s_endpgm
	.section	.rodata,"a",@progbits
	.p2align	6, 0x0
	.amdhsa_kernel _ZN2at6native12_GLOBAL__N_135GammaBetaBackwardCUDAKernelTemplateIddLj32ELj16ELj128ELb0ELb0ELb0EEEvllPKT_S5_PKT0_S8_PS3_S9_
		.amdhsa_group_segment_fixed_size 0
		.amdhsa_private_segment_fixed_size 0
		.amdhsa_kernarg_size 320
		.amdhsa_user_sgpr_count 2
		.amdhsa_user_sgpr_dispatch_ptr 0
		.amdhsa_user_sgpr_queue_ptr 0
		.amdhsa_user_sgpr_kernarg_segment_ptr 1
		.amdhsa_user_sgpr_dispatch_id 0
		.amdhsa_user_sgpr_private_segment_size 0
		.amdhsa_wavefront_size32 1
		.amdhsa_uses_dynamic_stack 0
		.amdhsa_enable_private_segment 0
		.amdhsa_system_sgpr_workgroup_id_x 1
		.amdhsa_system_sgpr_workgroup_id_y 1
		.amdhsa_system_sgpr_workgroup_id_z 0
		.amdhsa_system_sgpr_workgroup_info 0
		.amdhsa_system_vgpr_workitem_id 1
		.amdhsa_next_free_vgpr 113
		.amdhsa_next_free_sgpr 36
		.amdhsa_reserve_vcc 1
		.amdhsa_float_round_mode_32 0
		.amdhsa_float_round_mode_16_64 0
		.amdhsa_float_denorm_mode_32 3
		.amdhsa_float_denorm_mode_16_64 3
		.amdhsa_fp16_overflow 0
		.amdhsa_workgroup_processor_mode 1
		.amdhsa_memory_ordered 1
		.amdhsa_forward_progress 1
		.amdhsa_inst_pref_size 92
		.amdhsa_round_robin_scheduling 0
		.amdhsa_exception_fp_ieee_invalid_op 0
		.amdhsa_exception_fp_denorm_src 0
		.amdhsa_exception_fp_ieee_div_zero 0
		.amdhsa_exception_fp_ieee_overflow 0
		.amdhsa_exception_fp_ieee_underflow 0
		.amdhsa_exception_fp_ieee_inexact 0
		.amdhsa_exception_int_div_zero 0
	.end_amdhsa_kernel
	.section	.text._ZN2at6native12_GLOBAL__N_135GammaBetaBackwardCUDAKernelTemplateIddLj32ELj16ELj128ELb0ELb0ELb0EEEvllPKT_S5_PKT0_S8_PS3_S9_,"axG",@progbits,_ZN2at6native12_GLOBAL__N_135GammaBetaBackwardCUDAKernelTemplateIddLj32ELj16ELj128ELb0ELb0ELb0EEEvllPKT_S5_PKT0_S8_PS3_S9_,comdat
.Lfunc_end44:
	.size	_ZN2at6native12_GLOBAL__N_135GammaBetaBackwardCUDAKernelTemplateIddLj32ELj16ELj128ELb0ELb0ELb0EEEvllPKT_S5_PKT0_S8_PS3_S9_, .Lfunc_end44-_ZN2at6native12_GLOBAL__N_135GammaBetaBackwardCUDAKernelTemplateIddLj32ELj16ELj128ELb0ELb0ELb0EEEvllPKT_S5_PKT0_S8_PS3_S9_
                                        ; -- End function
	.set _ZN2at6native12_GLOBAL__N_135GammaBetaBackwardCUDAKernelTemplateIddLj32ELj16ELj128ELb0ELb0ELb0EEEvllPKT_S5_PKT0_S8_PS3_S9_.num_vgpr, 113
	.set _ZN2at6native12_GLOBAL__N_135GammaBetaBackwardCUDAKernelTemplateIddLj32ELj16ELj128ELb0ELb0ELb0EEEvllPKT_S5_PKT0_S8_PS3_S9_.num_agpr, 0
	.set _ZN2at6native12_GLOBAL__N_135GammaBetaBackwardCUDAKernelTemplateIddLj32ELj16ELj128ELb0ELb0ELb0EEEvllPKT_S5_PKT0_S8_PS3_S9_.numbered_sgpr, 36
	.set _ZN2at6native12_GLOBAL__N_135GammaBetaBackwardCUDAKernelTemplateIddLj32ELj16ELj128ELb0ELb0ELb0EEEvllPKT_S5_PKT0_S8_PS3_S9_.num_named_barrier, 0
	.set _ZN2at6native12_GLOBAL__N_135GammaBetaBackwardCUDAKernelTemplateIddLj32ELj16ELj128ELb0ELb0ELb0EEEvllPKT_S5_PKT0_S8_PS3_S9_.private_seg_size, 0
	.set _ZN2at6native12_GLOBAL__N_135GammaBetaBackwardCUDAKernelTemplateIddLj32ELj16ELj128ELb0ELb0ELb0EEEvllPKT_S5_PKT0_S8_PS3_S9_.uses_vcc, 1
	.set _ZN2at6native12_GLOBAL__N_135GammaBetaBackwardCUDAKernelTemplateIddLj32ELj16ELj128ELb0ELb0ELb0EEEvllPKT_S5_PKT0_S8_PS3_S9_.uses_flat_scratch, 0
	.set _ZN2at6native12_GLOBAL__N_135GammaBetaBackwardCUDAKernelTemplateIddLj32ELj16ELj128ELb0ELb0ELb0EEEvllPKT_S5_PKT0_S8_PS3_S9_.has_dyn_sized_stack, 0
	.set _ZN2at6native12_GLOBAL__N_135GammaBetaBackwardCUDAKernelTemplateIddLj32ELj16ELj128ELb0ELb0ELb0EEEvllPKT_S5_PKT0_S8_PS3_S9_.has_recursion, 0
	.set _ZN2at6native12_GLOBAL__N_135GammaBetaBackwardCUDAKernelTemplateIddLj32ELj16ELj128ELb0ELb0ELb0EEEvllPKT_S5_PKT0_S8_PS3_S9_.has_indirect_call, 0
	.section	.AMDGPU.csdata,"",@progbits
; Kernel info:
; codeLenInByte = 11688
; TotalNumSgprs: 38
; NumVgprs: 113
; ScratchSize: 0
; MemoryBound: 1
; FloatMode: 240
; IeeeMode: 1
; LDSByteSize: 0 bytes/workgroup (compile time only)
; SGPRBlocks: 0
; VGPRBlocks: 14
; NumSGPRsForWavesPerEU: 38
; NumVGPRsForWavesPerEU: 113
; Occupancy: 12
; WaveLimiterHint : 0
; COMPUTE_PGM_RSRC2:SCRATCH_EN: 0
; COMPUTE_PGM_RSRC2:USER_SGPR: 2
; COMPUTE_PGM_RSRC2:TRAP_HANDLER: 0
; COMPUTE_PGM_RSRC2:TGID_X_EN: 1
; COMPUTE_PGM_RSRC2:TGID_Y_EN: 1
; COMPUTE_PGM_RSRC2:TGID_Z_EN: 0
; COMPUTE_PGM_RSRC2:TIDIG_COMP_CNT: 1
	.section	.text._ZN2at6native12_GLOBAL__N_135GammaBetaBackwardCUDAKernelTemplateIddLj32ELj32ELj256ELb0ELb1ELb0EEEvllPKT_S5_PKT0_S8_PS3_S9_,"axG",@progbits,_ZN2at6native12_GLOBAL__N_135GammaBetaBackwardCUDAKernelTemplateIddLj32ELj32ELj256ELb0ELb1ELb0EEEvllPKT_S5_PKT0_S8_PS3_S9_,comdat
	.globl	_ZN2at6native12_GLOBAL__N_135GammaBetaBackwardCUDAKernelTemplateIddLj32ELj32ELj256ELb0ELb1ELb0EEEvllPKT_S5_PKT0_S8_PS3_S9_ ; -- Begin function _ZN2at6native12_GLOBAL__N_135GammaBetaBackwardCUDAKernelTemplateIddLj32ELj32ELj256ELb0ELb1ELb0EEEvllPKT_S5_PKT0_S8_PS3_S9_
	.p2align	8
	.type	_ZN2at6native12_GLOBAL__N_135GammaBetaBackwardCUDAKernelTemplateIddLj32ELj32ELj256ELb0ELb1ELb0EEEvllPKT_S5_PKT0_S8_PS3_S9_,@function
_ZN2at6native12_GLOBAL__N_135GammaBetaBackwardCUDAKernelTemplateIddLj32ELj32ELj256ELb0ELb1ELb0EEEvllPKT_S5_PKT0_S8_PS3_S9_: ; @_ZN2at6native12_GLOBAL__N_135GammaBetaBackwardCUDAKernelTemplateIddLj32ELj32ELj256ELb0ELb1ELb0EEEvllPKT_S5_PKT0_S8_PS3_S9_
; %bb.0:
	s_load_b128 s[16:19], s[0:1], 0x0
	s_lshl_b32 s2, ttmp7, 8
	s_mov_b32 s3, 0
	v_bfe_u32 v15, v0, 10, 10
	s_wait_kmcnt 0x0
	v_cmp_gt_i64_e64 s4, s[16:17], s[2:3]
	s_and_b32 vcc_lo, exec_lo, s4
	s_cbranch_vccnz .LBB45_2
; %bb.1:
	v_bfe_u32 v1, v0, 10, 10
	s_mov_b32 s4, s3
	s_branch .LBB45_3
.LBB45_2:
	s_mov_b32 s4, -1
                                        ; implicit-def: $vgpr1
.LBB45_3:
	s_load_b128 s[12:15], s[0:1], 0x30
	v_mov_b32_e32 v8, 0
	v_dual_mov_b32 v9, 0 :: v_dual_mov_b32 v6, 0
	v_dual_mov_b32 v7, 0 :: v_dual_and_b32 v14, 0x3ff, v0
	s_and_not1_b32 vcc_lo, exec_lo, s4
	s_cbranch_vccnz .LBB45_11
; %bb.4:
	s_load_b32 s20, s[0:1], 0x4c
	v_dual_mov_b32 v1, 0 :: v_dual_lshlrev_b32 v0, 3, v15
	s_clause 0x1
	s_load_b32 s22, s[0:1], 0x44
	s_load_b256 s[4:11], s[0:1], 0x10
	s_mov_b32 s21, 0
	v_dual_mov_b32 v16, 4 :: v_dual_mov_b32 v17, 8
	v_add_co_u32 v2, s0, v0, s2
	s_delay_alu instid0(VALU_DEP_1) | instskip(SKIP_1) | instid1(VALU_DEP_3)
	v_add_co_ci_u32_e64 v3, null, 0, 0, s0
	v_lshl_add_u32 v0, ttmp9, 5, v14
	v_mul_lo_u32 v8, s19, v2
	v_mad_co_u64_u32 v[4:5], null, s18, v2, 0
	s_delay_alu instid0(VALU_DEP_4)
	v_mul_lo_u32 v9, s18, v3
	v_dual_mov_b32 v18, 12 :: v_dual_mov_b32 v19, 16
	v_dual_mov_b32 v20, 20 :: v_dual_mov_b32 v21, 24
	s_wait_kmcnt 0x0
	s_and_b32 s0, s20, 0xffff
	s_lshl_b32 s20, s22, 8
	s_wait_alu 0xfffe
	v_mad_u32_u24 v6, v15, s0, v14
	v_add3_u32 v5, v5, v9, v8
	s_mul_u64 s[24:25], s[18:19], s[20:21]
	s_lshl_b64 s[22:23], s[20:21], 3
	s_lshl_b64 s[24:25], s[24:25], 3
	v_and_b32_e32 v10, 31, v6
	v_lshlrev_b64_e32 v[6:7], 3, v[0:1]
	v_lshlrev_b64_e32 v[8:9], 3, v[4:5]
	v_mov_b32_e32 v0, 28
	s_lshl_b64 s[18:19], s[18:19], 3
	v_add_co_u32 v2, vcc_lo, v2, v10
	s_delay_alu instid0(VALU_DEP_1) | instskip(NEXT) | instid1(VALU_DEP_4)
	v_add_co_ci_u32_e64 v3, null, 0, v3, vcc_lo
	v_add_co_u32 v22, vcc_lo, v8, v6
	s_wait_alu 0xfffd
	v_add_co_ci_u32_e64 v23, null, v9, v7, vcc_lo
	s_delay_alu instid0(VALU_DEP_3)
	v_lshlrev_b64_e32 v[4:5], 3, v[2:3]
	v_mov_b32_e32 v6, 0
	v_dual_mov_b32 v8, 0 :: v_dual_mov_b32 v7, 0
	v_cmp_gt_u32_e64 s0, 8, v10
	v_mov_b32_e32 v9, 0
	s_branch .LBB45_7
.LBB45_5:                               ;   in Loop: Header=BB45_7 Depth=1
	s_or_b32 exec_lo, exec_lo, s26
.LBB45_6:                               ;   in Loop: Header=BB45_7 Depth=1
	s_wait_alu 0xfffe
	s_or_b32 exec_lo, exec_lo, s1
	v_add_co_u32 v24, vcc_lo, s6, v22
	s_wait_alu 0xfffd
	v_add_co_ci_u32_e64 v25, null, s7, v23, vcc_lo
	s_wait_loadcnt 0x1
	ds_bpermute_b32 v56, v1, v12
	ds_bpermute_b32 v57, v1, v13
	s_wait_loadcnt 0x0
	ds_bpermute_b32 v58, v1, v10
	global_load_b64 v[26:27], v[24:25], off
	v_add_co_u32 v24, vcc_lo, v24, s18
	s_wait_alu 0xfffd
	v_add_co_ci_u32_e64 v25, null, s19, v25, vcc_lo
	v_add_co_u32 v28, vcc_lo, s4, v22
	s_wait_alu 0xfffd
	v_add_co_ci_u32_e64 v29, null, s5, v23, vcc_lo
	global_load_b64 v[30:31], v[24:25], off
	global_load_b64 v[32:33], v[28:29], off
	v_add_co_u32 v24, vcc_lo, v24, s18
	s_wait_alu 0xfffd
	v_add_co_ci_u32_e64 v25, null, s19, v25, vcc_lo
	v_add_co_u32 v28, vcc_lo, v28, s18
	s_wait_alu 0xfffd
	v_add_co_ci_u32_e64 v29, null, s19, v29, vcc_lo
	global_load_b64 v[34:35], v[24:25], off
	;; [unrolled: 8-line block ×7, first 2 shown]
	global_load_b64 v[54:55], v[28:29], off
	v_add_co_u32 v28, vcc_lo, v28, s18
	s_wait_alu 0xfffd
	v_add_co_ci_u32_e64 v29, null, s19, v29, vcc_lo
	ds_bpermute_b32 v59, v1, v11
	v_add_co_u32 v4, vcc_lo, v4, s22
	global_load_b64 v[28:29], v[28:29], off
	s_add_nc_u64 s[2:3], s[2:3], s[20:21]
	s_wait_alu 0xfffd
	v_add_co_ci_u32_e64 v5, null, s23, v5, vcc_lo
	v_add_co_u32 v2, vcc_lo, v2, s20
	s_wait_alu 0xfffe
	v_cmp_lt_i64_e64 s1, s[2:3], s[16:17]
	s_wait_alu 0xfffd
	v_add_co_ci_u32_e64 v3, null, 0, v3, vcc_lo
	v_add_co_u32 v22, vcc_lo, v22, s24
	s_wait_alu 0xfffd
	v_add_co_ci_u32_e64 v23, null, s25, v23, vcc_lo
	s_and_b32 vcc_lo, exec_lo, s1
	s_wait_loadcnt_dscnt 0xf02
	v_add_f64_e64 v[26:27], v[26:27], -v[56:57]
	ds_bpermute_b32 v56, v16, v12
	ds_bpermute_b32 v57, v16, v13
	s_wait_loadcnt 0xd
	v_add_f64_e32 v[8:9], v[8:9], v[32:33]
	s_wait_dscnt 0x0
	v_add_f64_e64 v[30:31], v[30:31], -v[56:57]
	ds_bpermute_b32 v56, v17, v12
	ds_bpermute_b32 v57, v17, v13
	v_mul_f64_e32 v[26:27], v[32:33], v[26:27]
	ds_bpermute_b32 v32, v16, v10
	ds_bpermute_b32 v33, v16, v11
	s_wait_loadcnt_dscnt 0xc02
	v_add_f64_e64 v[34:35], v[34:35], -v[56:57]
	s_wait_loadcnt 0xb
	v_add_f64_e32 v[8:9], v[8:9], v[36:37]
	v_mul_f64_e32 v[30:31], v[36:37], v[30:31]
	v_fma_f64 v[6:7], v[26:27], v[58:59], v[6:7]
	ds_bpermute_b32 v26, v18, v12
	ds_bpermute_b32 v27, v18, v13
	s_wait_loadcnt 0x9
	v_mul_f64_e32 v[34:35], v[40:41], v[34:35]
	v_add_f64_e32 v[8:9], v[8:9], v[40:41]
	s_wait_dscnt 0x0
	v_add_f64_e64 v[26:27], v[38:39], -v[26:27]
	v_fma_f64 v[6:7], v[30:31], v[32:33], v[6:7]
	ds_bpermute_b32 v30, v19, v12
	ds_bpermute_b32 v31, v19, v13
	;; [unrolled: 1-line block ×4, first 2 shown]
	s_wait_loadcnt 0x7
	v_add_f64_e32 v[8:9], v[8:9], v[44:45]
	s_wait_dscnt 0x2
	v_add_f64_e64 v[30:31], v[42:43], -v[30:31]
	v_mul_f64_e32 v[26:27], v[44:45], v[26:27]
	s_wait_dscnt 0x0
	v_fma_f64 v[6:7], v[34:35], v[32:33], v[6:7]
	ds_bpermute_b32 v32, v20, v12
	ds_bpermute_b32 v33, v20, v13
	;; [unrolled: 1-line block ×4, first 2 shown]
	s_wait_loadcnt 0x5
	v_add_f64_e32 v[8:9], v[8:9], v[48:49]
	s_wait_dscnt 0x2
	v_add_f64_e64 v[32:33], v[46:47], -v[32:33]
	v_mul_f64_e32 v[30:31], v[48:49], v[30:31]
	s_wait_dscnt 0x0
	v_fma_f64 v[6:7], v[26:27], v[34:35], v[6:7]
	ds_bpermute_b32 v26, v21, v12
	ds_bpermute_b32 v27, v21, v13
	;; [unrolled: 1-line block ×6, first 2 shown]
	s_wait_loadcnt 0x3
	v_add_f64_e32 v[8:9], v[8:9], v[52:53]
	s_wait_dscnt 0x4
	v_add_f64_e64 v[26:27], v[50:51], -v[26:27]
	v_mul_f64_e32 v[32:33], v[52:53], v[32:33]
	s_wait_loadcnt_dscnt 0x200
	v_add_f64_e64 v[12:13], v[24:25], -v[12:13]
	v_fma_f64 v[6:7], v[30:31], v[34:35], v[6:7]
	ds_bpermute_b32 v30, v20, v10
	ds_bpermute_b32 v31, v20, v11
	s_wait_loadcnt 0x1
	v_add_f64_e32 v[8:9], v[8:9], v[54:55]
	v_mul_f64_e32 v[24:25], v[54:55], v[26:27]
	ds_bpermute_b32 v26, v21, v10
	ds_bpermute_b32 v27, v21, v11
	;; [unrolled: 1-line block ×3, first 2 shown]
	s_wait_loadcnt 0x0
	v_mul_f64_e32 v[12:13], v[28:29], v[12:13]
	ds_bpermute_b32 v11, v0, v11
	s_wait_dscnt 0x4
	v_fma_f64 v[6:7], v[32:33], v[30:31], v[6:7]
	v_add_f64_e32 v[8:9], v[8:9], v[28:29]
	s_wait_dscnt 0x2
	s_delay_alu instid0(VALU_DEP_2) | instskip(SKIP_1) | instid1(VALU_DEP_1)
	v_fma_f64 v[6:7], v[24:25], v[26:27], v[6:7]
	s_wait_dscnt 0x0
	v_fma_f64 v[6:7], v[12:13], v[10:11], v[6:7]
	s_wait_alu 0xfffe
	s_cbranch_vccz .LBB45_10
.LBB45_7:                               ; =>This Inner Loop Header: Depth=1
	v_mov_b32_e32 v10, 0
	v_dual_mov_b32 v11, 0 :: v_dual_mov_b32 v12, 0
	v_mov_b32_e32 v13, 0
	s_and_saveexec_b32 s1, s0
	s_cbranch_execz .LBB45_6
; %bb.8:                                ;   in Loop: Header=BB45_7 Depth=1
	v_mov_b32_e32 v12, 0
	v_dual_mov_b32 v13, 0 :: v_dual_mov_b32 v10, 0
	v_mov_b32_e32 v11, 0
	s_mov_b32 s26, exec_lo
	v_cmpx_gt_i64_e64 s[16:17], v[2:3]
	s_cbranch_execz .LBB45_5
; %bb.9:                                ;   in Loop: Header=BB45_7 Depth=1
	v_add_co_u32 v10, vcc_lo, s8, v4
	s_wait_alu 0xfffd
	v_add_co_ci_u32_e64 v11, null, s9, v5, vcc_lo
	v_add_co_u32 v24, vcc_lo, s10, v4
	s_wait_alu 0xfffd
	v_add_co_ci_u32_e64 v25, null, s11, v5, vcc_lo
	global_load_b64 v[12:13], v[10:11], off
	global_load_b64 v[10:11], v[24:25], off
	s_branch .LBB45_5
.LBB45_10:
	v_mov_b32_e32 v1, v15
.LBB45_11:
	s_delay_alu instid0(VALU_DEP_1) | instskip(SKIP_2) | instid1(VALU_DEP_2)
	v_mad_u32_u24 v0, v1, 33, v14
	v_lshrrev_b32_e32 v2, 5, v14
	s_mov_b32 s0, exec_lo
	v_lshl_add_u32 v0, v0, 3, 0
	s_delay_alu instid0(VALU_DEP_2)
	v_add_nc_u32_e32 v10, v2, v1
	ds_store_b64 v0, v[6:7]
	ds_store_b64 v0, v[8:9] offset:8448
	s_wait_dscnt 0x0
	s_barrier_signal -1
	s_barrier_wait -1
	global_inv scope:SCOPE_SE
	v_cmpx_gt_u32_e32 32, v10
	s_cbranch_execz .LBB45_17
; %bb.12:
	v_and_b32_e32 v0, 31, v14
	v_mbcnt_lo_u32_b32 v8, -1, 0
	s_delay_alu instid0(VALU_DEP_2) | instskip(NEXT) | instid1(VALU_DEP_2)
	v_mad_u32_u24 v0, v0, 33, v10
	v_xor_b32_e32 v4, 16, v8
	s_delay_alu instid0(VALU_DEP_2) | instskip(NEXT) | instid1(VALU_DEP_2)
	v_lshl_add_u32 v2, v0, 3, 0
	v_cmp_gt_i32_e32 vcc_lo, 32, v4
	ds_load_b64 v[0:1], v2
	ds_load_b64 v[2:3], v2 offset:8448
	s_wait_alu 0xfffd
	v_cndmask_b32_e32 v4, v8, v4, vcc_lo
	s_delay_alu instid0(VALU_DEP_1)
	v_lshlrev_b32_e32 v7, 2, v4
	s_wait_dscnt 0x1
	ds_bpermute_b32 v4, v7, v0
	ds_bpermute_b32 v5, v7, v1
	s_wait_dscnt 0x2
	ds_bpermute_b32 v6, v7, v2
	ds_bpermute_b32 v7, v7, v3
	s_wait_dscnt 0x2
	v_add_f64_e32 v[0:1], v[0:1], v[4:5]
	v_xor_b32_e32 v4, 8, v8
	s_wait_dscnt 0x0
	v_add_f64_e32 v[2:3], v[2:3], v[6:7]
	s_delay_alu instid0(VALU_DEP_2) | instskip(SKIP_2) | instid1(VALU_DEP_1)
	v_cmp_gt_i32_e32 vcc_lo, 32, v4
	s_wait_alu 0xfffd
	v_cndmask_b32_e32 v4, v8, v4, vcc_lo
	v_lshlrev_b32_e32 v7, 2, v4
	ds_bpermute_b32 v4, v7, v0
	ds_bpermute_b32 v5, v7, v1
	ds_bpermute_b32 v6, v7, v2
	ds_bpermute_b32 v7, v7, v3
	s_wait_dscnt 0x2
	v_add_f64_e32 v[0:1], v[0:1], v[4:5]
	v_xor_b32_e32 v4, 4, v8
	s_wait_dscnt 0x0
	v_add_f64_e32 v[2:3], v[2:3], v[6:7]
	s_delay_alu instid0(VALU_DEP_2) | instskip(SKIP_2) | instid1(VALU_DEP_1)
	v_cmp_gt_i32_e32 vcc_lo, 32, v4
	s_wait_alu 0xfffd
	v_cndmask_b32_e32 v4, v8, v4, vcc_lo
	v_lshlrev_b32_e32 v7, 2, v4
	ds_bpermute_b32 v4, v7, v0
	ds_bpermute_b32 v5, v7, v1
	;; [unrolled: 14-line block ×3, first 2 shown]
	ds_bpermute_b32 v6, v7, v2
	ds_bpermute_b32 v7, v7, v3
	s_wait_dscnt 0x2
	v_add_f64_e32 v[4:5], v[0:1], v[4:5]
	s_wait_dscnt 0x0
	v_add_f64_e32 v[0:1], v[2:3], v[6:7]
	v_xor_b32_e32 v2, 1, v8
	s_delay_alu instid0(VALU_DEP_1) | instskip(SKIP_3) | instid1(VALU_DEP_2)
	v_cmp_gt_i32_e32 vcc_lo, 32, v2
	s_wait_alu 0xfffd
	v_cndmask_b32_e32 v2, v8, v2, vcc_lo
	v_cmp_eq_u32_e32 vcc_lo, 0, v14
	v_lshlrev_b32_e32 v3, 2, v2
	ds_bpermute_b32 v6, v3, v4
	ds_bpermute_b32 v7, v3, v5
	;; [unrolled: 1-line block ×4, first 2 shown]
	s_and_b32 exec_lo, exec_lo, vcc_lo
	s_cbranch_execz .LBB45_17
; %bb.13:
	s_wait_alu 0xfffe
	s_mov_b32 s0, ttmp9
	s_mov_b32 s1, 0
	s_wait_alu 0xfffe
	s_lshl_b64 s[0:1], s[0:1], 5
	s_wait_kmcnt 0x0
	s_cmp_eq_u64 s[12:13], 0
	s_wait_alu 0xfffe
	v_or_b32_e32 v8, s0, v10
	v_mov_b32_e32 v9, s1
	s_delay_alu instid0(VALU_DEP_1)
	v_lshlrev_b64_e32 v[8:9], 3, v[8:9]
	s_cbranch_scc1 .LBB45_15
; %bb.14:
	s_wait_dscnt 0x2
	v_add_f64_e32 v[4:5], v[4:5], v[6:7]
	s_delay_alu instid0(VALU_DEP_2)
	v_add_co_u32 v6, vcc_lo, s12, v8
	s_wait_alu 0xfffd
	v_add_co_ci_u32_e64 v7, null, s13, v9, vcc_lo
	global_store_b64 v[6:7], v[4:5], off
.LBB45_15:
	s_cmp_eq_u64 s[14:15], 0
	s_cbranch_scc1 .LBB45_17
; %bb.16:
	s_wait_dscnt 0x0
	v_add_f64_e32 v[0:1], v[0:1], v[2:3]
	v_add_co_u32 v2, vcc_lo, s14, v8
	s_wait_alu 0xfffd
	v_add_co_ci_u32_e64 v3, null, s15, v9, vcc_lo
	global_store_b64 v[2:3], v[0:1], off
.LBB45_17:
	s_endpgm
	.section	.rodata,"a",@progbits
	.p2align	6, 0x0
	.amdhsa_kernel _ZN2at6native12_GLOBAL__N_135GammaBetaBackwardCUDAKernelTemplateIddLj32ELj32ELj256ELb0ELb1ELb0EEEvllPKT_S5_PKT0_S8_PS3_S9_
		.amdhsa_group_segment_fixed_size 0
		.amdhsa_private_segment_fixed_size 0
		.amdhsa_kernarg_size 320
		.amdhsa_user_sgpr_count 2
		.amdhsa_user_sgpr_dispatch_ptr 0
		.amdhsa_user_sgpr_queue_ptr 0
		.amdhsa_user_sgpr_kernarg_segment_ptr 1
		.amdhsa_user_sgpr_dispatch_id 0
		.amdhsa_user_sgpr_private_segment_size 0
		.amdhsa_wavefront_size32 1
		.amdhsa_uses_dynamic_stack 0
		.amdhsa_enable_private_segment 0
		.amdhsa_system_sgpr_workgroup_id_x 1
		.amdhsa_system_sgpr_workgroup_id_y 1
		.amdhsa_system_sgpr_workgroup_id_z 0
		.amdhsa_system_sgpr_workgroup_info 0
		.amdhsa_system_vgpr_workitem_id 1
		.amdhsa_next_free_vgpr 60
		.amdhsa_next_free_sgpr 27
		.amdhsa_reserve_vcc 1
		.amdhsa_float_round_mode_32 0
		.amdhsa_float_round_mode_16_64 0
		.amdhsa_float_denorm_mode_32 3
		.amdhsa_float_denorm_mode_16_64 3
		.amdhsa_fp16_overflow 0
		.amdhsa_workgroup_processor_mode 1
		.amdhsa_memory_ordered 1
		.amdhsa_forward_progress 1
		.amdhsa_inst_pref_size 18
		.amdhsa_round_robin_scheduling 0
		.amdhsa_exception_fp_ieee_invalid_op 0
		.amdhsa_exception_fp_denorm_src 0
		.amdhsa_exception_fp_ieee_div_zero 0
		.amdhsa_exception_fp_ieee_overflow 0
		.amdhsa_exception_fp_ieee_underflow 0
		.amdhsa_exception_fp_ieee_inexact 0
		.amdhsa_exception_int_div_zero 0
	.end_amdhsa_kernel
	.section	.text._ZN2at6native12_GLOBAL__N_135GammaBetaBackwardCUDAKernelTemplateIddLj32ELj32ELj256ELb0ELb1ELb0EEEvllPKT_S5_PKT0_S8_PS3_S9_,"axG",@progbits,_ZN2at6native12_GLOBAL__N_135GammaBetaBackwardCUDAKernelTemplateIddLj32ELj32ELj256ELb0ELb1ELb0EEEvllPKT_S5_PKT0_S8_PS3_S9_,comdat
.Lfunc_end45:
	.size	_ZN2at6native12_GLOBAL__N_135GammaBetaBackwardCUDAKernelTemplateIddLj32ELj32ELj256ELb0ELb1ELb0EEEvllPKT_S5_PKT0_S8_PS3_S9_, .Lfunc_end45-_ZN2at6native12_GLOBAL__N_135GammaBetaBackwardCUDAKernelTemplateIddLj32ELj32ELj256ELb0ELb1ELb0EEEvllPKT_S5_PKT0_S8_PS3_S9_
                                        ; -- End function
	.set _ZN2at6native12_GLOBAL__N_135GammaBetaBackwardCUDAKernelTemplateIddLj32ELj32ELj256ELb0ELb1ELb0EEEvllPKT_S5_PKT0_S8_PS3_S9_.num_vgpr, 60
	.set _ZN2at6native12_GLOBAL__N_135GammaBetaBackwardCUDAKernelTemplateIddLj32ELj32ELj256ELb0ELb1ELb0EEEvllPKT_S5_PKT0_S8_PS3_S9_.num_agpr, 0
	.set _ZN2at6native12_GLOBAL__N_135GammaBetaBackwardCUDAKernelTemplateIddLj32ELj32ELj256ELb0ELb1ELb0EEEvllPKT_S5_PKT0_S8_PS3_S9_.numbered_sgpr, 27
	.set _ZN2at6native12_GLOBAL__N_135GammaBetaBackwardCUDAKernelTemplateIddLj32ELj32ELj256ELb0ELb1ELb0EEEvllPKT_S5_PKT0_S8_PS3_S9_.num_named_barrier, 0
	.set _ZN2at6native12_GLOBAL__N_135GammaBetaBackwardCUDAKernelTemplateIddLj32ELj32ELj256ELb0ELb1ELb0EEEvllPKT_S5_PKT0_S8_PS3_S9_.private_seg_size, 0
	.set _ZN2at6native12_GLOBAL__N_135GammaBetaBackwardCUDAKernelTemplateIddLj32ELj32ELj256ELb0ELb1ELb0EEEvllPKT_S5_PKT0_S8_PS3_S9_.uses_vcc, 1
	.set _ZN2at6native12_GLOBAL__N_135GammaBetaBackwardCUDAKernelTemplateIddLj32ELj32ELj256ELb0ELb1ELb0EEEvllPKT_S5_PKT0_S8_PS3_S9_.uses_flat_scratch, 0
	.set _ZN2at6native12_GLOBAL__N_135GammaBetaBackwardCUDAKernelTemplateIddLj32ELj32ELj256ELb0ELb1ELb0EEEvllPKT_S5_PKT0_S8_PS3_S9_.has_dyn_sized_stack, 0
	.set _ZN2at6native12_GLOBAL__N_135GammaBetaBackwardCUDAKernelTemplateIddLj32ELj32ELj256ELb0ELb1ELb0EEEvllPKT_S5_PKT0_S8_PS3_S9_.has_recursion, 0
	.set _ZN2at6native12_GLOBAL__N_135GammaBetaBackwardCUDAKernelTemplateIddLj32ELj32ELj256ELb0ELb1ELb0EEEvllPKT_S5_PKT0_S8_PS3_S9_.has_indirect_call, 0
	.section	.AMDGPU.csdata,"",@progbits
; Kernel info:
; codeLenInByte = 2300
; TotalNumSgprs: 29
; NumVgprs: 60
; ScratchSize: 0
; MemoryBound: 0
; FloatMode: 240
; IeeeMode: 1
; LDSByteSize: 0 bytes/workgroup (compile time only)
; SGPRBlocks: 0
; VGPRBlocks: 7
; NumSGPRsForWavesPerEU: 29
; NumVGPRsForWavesPerEU: 60
; Occupancy: 16
; WaveLimiterHint : 0
; COMPUTE_PGM_RSRC2:SCRATCH_EN: 0
; COMPUTE_PGM_RSRC2:USER_SGPR: 2
; COMPUTE_PGM_RSRC2:TRAP_HANDLER: 0
; COMPUTE_PGM_RSRC2:TGID_X_EN: 1
; COMPUTE_PGM_RSRC2:TGID_Y_EN: 1
; COMPUTE_PGM_RSRC2:TGID_Z_EN: 0
; COMPUTE_PGM_RSRC2:TIDIG_COMP_CNT: 1
	.section	.text._ZN2at6native12_GLOBAL__N_135GammaBetaBackwardCUDAKernelTemplateIddLj32ELj32ELj256ELb0ELb0ELb0EEEvllPKT_S5_PKT0_S8_PS3_S9_,"axG",@progbits,_ZN2at6native12_GLOBAL__N_135GammaBetaBackwardCUDAKernelTemplateIddLj32ELj32ELj256ELb0ELb0ELb0EEEvllPKT_S5_PKT0_S8_PS3_S9_,comdat
	.globl	_ZN2at6native12_GLOBAL__N_135GammaBetaBackwardCUDAKernelTemplateIddLj32ELj32ELj256ELb0ELb0ELb0EEEvllPKT_S5_PKT0_S8_PS3_S9_ ; -- Begin function _ZN2at6native12_GLOBAL__N_135GammaBetaBackwardCUDAKernelTemplateIddLj32ELj32ELj256ELb0ELb0ELb0EEEvllPKT_S5_PKT0_S8_PS3_S9_
	.p2align	8
	.type	_ZN2at6native12_GLOBAL__N_135GammaBetaBackwardCUDAKernelTemplateIddLj32ELj32ELj256ELb0ELb0ELb0EEEvllPKT_S5_PKT0_S8_PS3_S9_,@function
_ZN2at6native12_GLOBAL__N_135GammaBetaBackwardCUDAKernelTemplateIddLj32ELj32ELj256ELb0ELb0ELb0EEEvllPKT_S5_PKT0_S8_PS3_S9_: ; @_ZN2at6native12_GLOBAL__N_135GammaBetaBackwardCUDAKernelTemplateIddLj32ELj32ELj256ELb0ELb0ELb0EEEvllPKT_S5_PKT0_S8_PS3_S9_
; %bb.0:
	s_clause 0x1
	s_load_b256 s[4:11], s[0:1], 0x0
	s_load_b128 s[12:15], s[0:1], 0x20
	s_lshl_b32 s30, ttmp9, 5
	s_mov_b32 s17, 0
	s_or_b32 s16, s30, 31
	s_wait_kmcnt 0x0
	v_cmp_le_i64_e64 s2, s[6:7], s[16:17]
	s_lshl_b32 s16, ttmp7, 8
	s_wait_alu 0xfffe
	v_cmp_gt_i64_e64 s31, s[4:5], s[16:17]
	s_and_b32 vcc_lo, exec_lo, s2
	v_cndmask_b32_e64 v1, 0, 1, s31
	s_delay_alu instid0(VALU_DEP_1)
	v_cmp_ne_u32_e64 s2, 1, v1
	s_cbranch_vccz .LBB46_48
; %bb.1:
	v_mov_b32_e32 v36, 0
	v_dual_mov_b32 v37, 0 :: v_dual_mov_b32 v34, 0
	v_mov_b32_e32 v35, 0
	s_and_b32 vcc_lo, exec_lo, s2
	s_cbranch_vccnz .LBB46_49
; %bb.2:
	v_bfe_u32 v44, v0, 10, 10
	v_dual_mov_b32 v1, 0 :: v_dual_and_b32 v46, 0x3ff, v0
	s_load_b32 s3, s[0:1], 0x44
	s_mov_b32 s19, 0
	s_delay_alu instid0(VALU_DEP_2) | instskip(NEXT) | instid1(VALU_DEP_2)
	v_dual_mov_b32 v34, 0 :: v_dual_lshlrev_b32 v45, 3, v44
	v_dual_mov_b32 v3, v1 :: v_dual_add_nc_u32 v2, s30, v46
	s_mov_b32 s23, s19
	s_delay_alu instid0(VALU_DEP_2) | instskip(NEXT) | instid1(VALU_DEP_1)
	v_add_co_u32 v10, s2, v45, s16
	v_add_co_ci_u32_e64 v11, null, 0, 0, s2
	s_delay_alu instid0(VALU_DEP_3) | instskip(NEXT) | instid1(VALU_DEP_3)
	v_cmp_gt_i64_e64 s2, s[6:7], v[2:3]
	v_mul_lo_u32 v6, s7, v10
	v_mad_co_u64_u32 v[4:5], null, s6, v10, 0
	s_delay_alu instid0(VALU_DEP_4) | instskip(SKIP_1) | instid1(VALU_DEP_1)
	v_mul_lo_u32 v7, s6, v11
	v_add_co_u32 v8, vcc_lo, v10, 7
	v_add_co_ci_u32_e64 v9, null, 0, v11, vcc_lo
	v_lshlrev_b64_e32 v[38:39], 3, v[2:3]
	s_delay_alu instid0(VALU_DEP_3)
	v_mul_lo_u32 v12, s7, v8
	s_wait_kmcnt 0x0
	s_lshl_b32 s22, s3, 8
	v_add3_u32 v5, v5, v7, v6
	v_mad_co_u64_u32 v[6:7], null, s6, v8, 0
	v_add_co_u32 v8, vcc_lo, v10, 6
	v_mul_lo_u32 v13, s6, v9
	s_wait_alu 0xfffd
	v_add_co_ci_u32_e64 v9, null, 0, v11, vcc_lo
	v_lshlrev_b64_e32 v[2:3], 3, v[4:5]
	v_mul_lo_u32 v14, s7, v8
	v_dual_mov_b32 v35, 0 :: v_dual_mov_b32 v36, 0
	s_delay_alu instid0(VALU_DEP_4)
	v_mul_lo_u32 v15, s6, v9
	v_mad_co_u64_u32 v[8:9], null, s6, v8, 0
	v_add_co_u32 v47, vcc_lo, s8, v2
	s_wait_alu 0xfffd
	v_add_co_ci_u32_e64 v48, null, s9, v3, vcc_lo
	v_add_co_u32 v49, vcc_lo, s10, v2
	v_add3_u32 v7, v7, v13, v12
	s_wait_alu 0xfffd
	v_add_co_ci_u32_e64 v50, null, s11, v3, vcc_lo
	v_add_co_u32 v12, vcc_lo, v10, 5
	v_add3_u32 v9, v9, v15, v14
	s_wait_alu 0xfffd
	v_add_co_ci_u32_e64 v13, null, 0, v11, vcc_lo
	v_lshlrev_b64_e32 v[2:3], 3, v[6:7]
	v_mul_lo_u32 v14, s7, v12
	v_lshlrev_b64_e32 v[6:7], 3, v[8:9]
	s_delay_alu instid0(VALU_DEP_4)
	v_mul_lo_u32 v13, s6, v13
	v_mad_co_u64_u32 v[8:9], null, s6, v12, 0
	v_add_co_u32 v51, vcc_lo, s8, v2
	s_wait_alu 0xfffd
	v_add_co_ci_u32_e64 v52, null, s9, v3, vcc_lo
	v_add_co_u32 v53, vcc_lo, s10, v2
	s_wait_alu 0xfffd
	v_add_co_ci_u32_e64 v54, null, s11, v3, vcc_lo
	v_add_co_u32 v55, vcc_lo, s8, v6
	v_add3_u32 v9, v9, v13, v14
	s_wait_alu 0xfffd
	v_add_co_ci_u32_e64 v56, null, s9, v7, vcc_lo
	v_add_co_u32 v12, vcc_lo, v10, 4
	v_add_co_u32 v57, s3, s10, v6
	s_wait_alu 0xfffd
	v_add_co_ci_u32_e64 v6, null, 0, v11, vcc_lo
	v_lshlrev_b64_e32 v[2:3], 3, v[8:9]
	v_add_co_u32 v8, vcc_lo, v10, 3
	s_wait_alu 0xfffd
	v_add_co_ci_u32_e64 v9, null, 0, v11, vcc_lo
	s_wait_alu 0xf1ff
	v_add_co_ci_u32_e64 v58, null, s11, v7, s3
	v_mul_lo_u32 v13, s7, v12
	v_mul_lo_u32 v14, s6, v6
	v_mad_co_u64_u32 v[6:7], null, s6, v12, 0
	v_mul_lo_u32 v12, s7, v8
	v_mul_lo_u32 v15, s6, v9
	v_mad_co_u64_u32 v[8:9], null, s6, v8, 0
	v_add_co_u32 v59, vcc_lo, s8, v2
	s_wait_alu 0xfffd
	v_add_co_ci_u32_e64 v60, null, s9, v3, vcc_lo
	v_add3_u32 v7, v7, v14, v13
	v_add_co_u32 v61, vcc_lo, s10, v2
	s_wait_alu 0xfffd
	v_add_co_ci_u32_e64 v62, null, s11, v3, vcc_lo
	v_add_co_u32 v10, vcc_lo, v10, 2
	v_add3_u32 v9, v9, v15, v12
	s_wait_alu 0xfffd
	v_add_co_ci_u32_e64 v11, null, 0, v11, vcc_lo
	v_lshlrev_b64_e32 v[2:3], 3, v[6:7]
	v_mul_lo_u32 v12, s7, v10
	v_lshlrev_b64_e32 v[6:7], 3, v[8:9]
	s_delay_alu instid0(VALU_DEP_4)
	v_mul_lo_u32 v11, s6, v11
	v_mad_co_u64_u32 v[8:9], null, s6, v10, 0
	v_add_co_u32 v63, vcc_lo, s8, v2
	s_wait_alu 0xfffd
	v_add_co_ci_u32_e64 v64, null, s9, v3, vcc_lo
	v_add_co_u32 v65, vcc_lo, s10, v2
	s_wait_alu 0xfffd
	v_add_co_ci_u32_e64 v66, null, s11, v3, vcc_lo
	v_add_co_u32 v67, vcc_lo, s8, v6
	s_wait_alu 0xfffd
	v_add_co_ci_u32_e64 v68, null, s9, v7, vcc_lo
	v_add3_u32 v9, v9, v11, v12
	v_add_co_u32 v69, vcc_lo, s10, v6
	s_wait_alu 0xfffd
	v_add_co_ci_u32_e64 v70, null, s11, v7, vcc_lo
	v_add_co_u32 v4, vcc_lo, v4, s6
	s_wait_alu 0xfffd
	v_add_co_ci_u32_e64 v5, null, s7, v5, vcc_lo
	v_lshlrev_b64_e32 v[2:3], 3, v[8:9]
	v_mov_b32_e32 v37, 0
	s_mul_u64 s[24:25], s[6:7], s[22:23]
	s_delay_alu instid0(VALU_DEP_3)
	v_lshlrev_b64_e32 v[4:5], 3, v[4:5]
	s_add_nc_u64 s[20:21], s[0:1], 64
	s_lshl_b64 s[24:25], s[24:25], 3
	v_add_co_u32 v71, vcc_lo, s8, v2
	s_wait_alu 0xfffd
	v_add_co_ci_u32_e64 v72, null, s9, v3, vcc_lo
	v_add_co_u32 v73, vcc_lo, s10, v2
	s_wait_alu 0xfffd
	v_add_co_ci_u32_e64 v74, null, s11, v3, vcc_lo
	;; [unrolled: 3-line block ×4, first 2 shown]
	s_add_nc_u64 s[26:27], s[16:17], 0xff
	s_mov_b64 s[28:29], s[16:17]
	s_branch .LBB46_5
.LBB46_3:                               ;   in Loop: Header=BB46_5 Depth=1
	s_wait_alu 0xfffe
	s_or_b32 exec_lo, exec_lo, s3
	s_wait_loadcnt 0x1
	ds_bpermute_b32 v79, v1, v40
	ds_bpermute_b32 v80, v1, v41
	s_wait_loadcnt 0x0
	ds_bpermute_b32 v81, v1, v42
	ds_bpermute_b32 v82, v1, v43
	s_wait_dscnt 0x2
	v_add_f64_e64 v[18:19], v[18:19], -v[79:80]
	ds_bpermute_b32 v79, v1, v40 offset:4
	ds_bpermute_b32 v80, v1, v41 offset:4
	s_wait_dscnt 0x0
	v_add_f64_e64 v[20:21], v[20:21], -v[79:80]
	ds_bpermute_b32 v79, v1, v40 offset:8
	ds_bpermute_b32 v80, v1, v41 offset:8
	v_mul_f64_e32 v[18:19], v[2:3], v[18:19]
	v_add_f64_e32 v[2:3], v[36:37], v[2:3]
	ds_bpermute_b32 v36, v1, v42 offset:4
	ds_bpermute_b32 v37, v1, v43 offset:4
	s_wait_dscnt 0x2
	v_add_f64_e64 v[22:23], v[22:23], -v[79:80]
	v_mul_f64_e32 v[20:21], v[4:5], v[20:21]
	v_fma_f64 v[18:19], v[18:19], v[81:82], v[34:35]
	ds_bpermute_b32 v34, v1, v40 offset:12
	ds_bpermute_b32 v35, v1, v41 offset:12
	v_add_f64_e32 v[2:3], v[4:5], v[2:3]
	ds_bpermute_b32 v4, v1, v40 offset:16
	ds_bpermute_b32 v5, v1, v41 offset:16
	v_mul_f64_e32 v[22:23], v[6:7], v[22:23]
	s_wait_dscnt 0x2
	v_add_f64_e64 v[24:25], v[24:25], -v[34:35]
	s_wait_dscnt 0x0
	v_add_f64_e64 v[4:5], v[26:27], -v[4:5]
	v_fma_f64 v[18:19], v[20:21], v[36:37], v[18:19]
	ds_bpermute_b32 v20, v1, v42 offset:8
	ds_bpermute_b32 v21, v1, v43 offset:8
	v_add_f64_e32 v[2:3], v[6:7], v[2:3]
	ds_bpermute_b32 v6, v1, v40 offset:20
	ds_bpermute_b32 v7, v1, v41 offset:20
	v_mul_f64_e32 v[24:25], v[8:9], v[24:25]
	s_wait_dscnt 0x0
	v_add_f64_e64 v[6:7], v[28:29], -v[6:7]
	v_mul_f64_e32 v[4:5], v[10:11], v[4:5]
	v_fma_f64 v[18:19], v[22:23], v[20:21], v[18:19]
	ds_bpermute_b32 v20, v1, v42 offset:12
	ds_bpermute_b32 v21, v1, v43 offset:12
	v_add_f64_e32 v[2:3], v[8:9], v[2:3]
	ds_bpermute_b32 v8, v1, v40 offset:24
	ds_bpermute_b32 v9, v1, v41 offset:24
	s_wait_dscnt 0x0
	v_add_f64_e64 v[8:9], v[30:31], -v[8:9]
	v_mul_f64_e32 v[6:7], v[12:13], v[6:7]
	v_fma_f64 v[18:19], v[24:25], v[20:21], v[18:19]
	ds_bpermute_b32 v20, v1, v42 offset:16
	ds_bpermute_b32 v21, v1, v43 offset:16
	v_add_f64_e32 v[2:3], v[10:11], v[2:3]
	ds_bpermute_b32 v10, v1, v42 offset:20
	ds_bpermute_b32 v11, v1, v43 offset:20
	v_mul_f64_e32 v[8:9], v[14:15], v[8:9]
	s_wait_dscnt 0x2
	v_fma_f64 v[4:5], v[4:5], v[20:21], v[18:19]
	s_wait_dscnt 0x0
	s_delay_alu instid0(VALU_DEP_1)
	v_fma_f64 v[4:5], v[6:7], v[10:11], v[4:5]
	v_add_f64_e32 v[6:7], v[12:13], v[2:3]
	ds_bpermute_b32 v2, v1, v42 offset:24
	ds_bpermute_b32 v3, v1, v43 offset:24
	ds_bpermute_b32 v42, v1, v42 offset:28
	ds_bpermute_b32 v43, v1, v43 offset:28
	s_wait_dscnt 0x2
	v_fma_f64 v[2:3], v[8:9], v[2:3], v[4:5]
	v_add_f64_e32 v[4:5], v[14:15], v[6:7]
	ds_bpermute_b32 v6, v1, v40 offset:28
	ds_bpermute_b32 v7, v1, v41 offset:28
.LBB46_4:                               ;   in Loop: Header=BB46_5 Depth=1
	s_wait_dscnt 0x0
	v_add_f64_e64 v[6:7], v[32:33], -v[6:7]
	v_add_f64_e32 v[36:37], v[4:5], v[16:17]
	v_add_co_u32 v47, vcc_lo, v47, s24
	s_wait_alu 0xfffd
	v_add_co_ci_u32_e64 v48, null, s25, v48, vcc_lo
	v_add_co_u32 v49, vcc_lo, v49, s24
	s_wait_alu 0xfffd
	v_add_co_ci_u32_e64 v50, null, s25, v50, vcc_lo
	;; [unrolled: 3-line block ×9, first 2 shown]
	v_mul_f64_e32 v[6:7], v[16:17], v[6:7]
	v_add_co_u32 v65, vcc_lo, v65, s24
	s_wait_alu 0xfffd
	v_add_co_ci_u32_e64 v66, null, s25, v66, vcc_lo
	v_add_co_u32 v67, vcc_lo, v67, s24
	s_wait_alu 0xfffd
	v_add_co_ci_u32_e64 v68, null, s25, v68, vcc_lo
	;; [unrolled: 3-line block ×4, first 2 shown]
	v_add_co_u32 v73, vcc_lo, v73, s24
	s_add_nc_u64 s[28:29], s[28:29], s[22:23]
	s_wait_alu 0xfffd
	v_add_co_ci_u32_e64 v74, null, s25, v74, vcc_lo
	v_add_co_u32 v75, vcc_lo, v75, s24
	s_wait_alu 0xfffe
	v_cmp_lt_i64_e64 s3, s[28:29], s[4:5]
	s_wait_alu 0xfffd
	v_add_co_ci_u32_e64 v76, null, s25, v76, vcc_lo
	v_add_co_u32 v77, vcc_lo, v77, s24
	s_wait_alu 0xfffd
	v_add_co_ci_u32_e64 v78, null, s25, v78, vcc_lo
	s_and_b32 vcc_lo, exec_lo, s3
	s_add_nc_u64 s[26:27], s[26:27], s[22:23]
	v_fma_f64 v[34:35], v[6:7], v[42:43], v[2:3]
	s_wait_alu 0xfffe
	s_cbranch_vccz .LBB46_49
.LBB46_5:                               ; =>This Inner Loop Header: Depth=1
	v_cmp_ge_i64_e64 s3, s[26:27], s[4:5]
	v_add_co_u32 v79, s18, v45, s26
	s_wait_alu 0xf1ff
	v_add_co_ci_u32_e64 v80, null, 0, s27, s18
                                        ; implicit-def: $vgpr2_vgpr3_vgpr4_vgpr5_vgpr6_vgpr7_vgpr8_vgpr9_vgpr10_vgpr11_vgpr12_vgpr13_vgpr14_vgpr15_vgpr16_vgpr17
                                        ; implicit-def: $vgpr42_vgpr43
                                        ; implicit-def: $vgpr18_vgpr19_vgpr20_vgpr21_vgpr22_vgpr23_vgpr24_vgpr25_vgpr26_vgpr27_vgpr28_vgpr29_vgpr30_vgpr31_vgpr32_vgpr33
                                        ; implicit-def: $vgpr6
	s_and_b32 vcc_lo, exec_lo, s3
	s_mov_b32 s3, -1
                                        ; implicit-def: $vgpr4_vgpr5
                                        ; implicit-def: $vgpr2_vgpr3
	s_wait_alu 0xfffe
	s_cbranch_vccz .LBB46_27
; %bb.6:                                ;   in Loop: Header=BB46_5 Depth=1
	s_load_b32 s3, s[20:21], 0xc
	v_mov_b32_e32 v42, 0
	v_mov_b32_e32 v40, 0
	;; [unrolled: 1-line block ×4, first 2 shown]
	s_wait_kmcnt 0x0
	s_and_b32 s3, s3, 0xffff
	s_wait_alu 0xfffe
	v_mad_u32_u24 v2, v44, s3, v46
	s_mov_b32 s3, exec_lo
	s_delay_alu instid0(VALU_DEP_1) | instskip(NEXT) | instid1(VALU_DEP_1)
	v_and_b32_e32 v2, 31, v2
	v_cmpx_gt_u32_e32 8, v2
	s_cbranch_execz .LBB46_10
; %bb.7:                                ;   in Loop: Header=BB46_5 Depth=1
	v_add_co_u32 v2, vcc_lo, v79, v2
	s_wait_alu 0xfffd
	v_add_co_ci_u32_e64 v3, null, 0, v80, vcc_lo
	v_mov_b32_e32 v40, 0
	s_delay_alu instid0(VALU_DEP_3)
	v_add_co_u32 v2, vcc_lo, 0xffffff01, v2
	v_dual_mov_b32 v41, 0 :: v_dual_mov_b32 v42, 0
	s_wait_alu 0xfffd
	v_add_co_ci_u32_e64 v3, null, -1, v3, vcc_lo
	v_mov_b32_e32 v43, 0
	s_mov_b32 s18, exec_lo
	s_delay_alu instid0(VALU_DEP_2)
	v_cmpx_gt_i64_e64 s[4:5], v[2:3]
	s_cbranch_execz .LBB46_9
; %bb.8:                                ;   in Loop: Header=BB46_5 Depth=1
	v_lshlrev_b64_e32 v[2:3], 3, v[2:3]
	s_delay_alu instid0(VALU_DEP_1) | instskip(SKIP_1) | instid1(VALU_DEP_2)
	v_add_co_u32 v4, vcc_lo, s12, v2
	s_wait_alu 0xfffd
	v_add_co_ci_u32_e64 v5, null, s13, v3, vcc_lo
	v_add_co_u32 v2, vcc_lo, s14, v2
	s_wait_alu 0xfffd
	v_add_co_ci_u32_e64 v3, null, s15, v3, vcc_lo
	global_load_b64 v[40:41], v[4:5], off
	global_load_b64 v[42:43], v[2:3], off
.LBB46_9:                               ;   in Loop: Header=BB46_5 Depth=1
	s_wait_alu 0xfffe
	s_or_b32 exec_lo, exec_lo, s18
.LBB46_10:                              ;   in Loop: Header=BB46_5 Depth=1
	s_wait_alu 0xfffe
	s_or_b32 exec_lo, exec_lo, s3
	v_add_co_u32 v17, vcc_lo, 0xffffff01, v79
	s_wait_alu 0xfffd
	v_add_co_ci_u32_e64 v18, null, -1, v80, vcc_lo
	v_mov_b32_e32 v16, v1
	v_dual_mov_b32 v2, v1 :: v_dual_mov_b32 v3, v1
	v_dual_mov_b32 v4, v1 :: v_dual_mov_b32 v5, v1
	;; [unrolled: 1-line block ×7, first 2 shown]
	v_cmp_gt_i64_e32 vcc_lo, s[4:5], v[17:18]
	s_delay_alu instid0(VALU_DEP_3) | instskip(NEXT) | instid1(VALU_DEP_3)
	v_dual_mov_b32 v33, v16 :: v_dual_mov_b32 v30, v13
	v_dual_mov_b32 v31, v14 :: v_dual_mov_b32 v32, v15
	;; [unrolled: 1-line block ×8, first 2 shown]
	v_mov_b32_e32 v17, v16
	v_mov_b32_e32 v16, v15
	;; [unrolled: 1-line block ×16, first 2 shown]
	s_and_b32 s18, s2, vcc_lo
	s_wait_alu 0xfffe
	s_and_saveexec_b32 s3, s18
	s_cbranch_execz .LBB46_12
; %bb.11:                               ;   in Loop: Header=BB46_5 Depth=1
	v_add_co_u32 v2, vcc_lo, v47, v38
	s_wait_alu 0xfffd
	v_add_co_ci_u32_e64 v3, null, v48, v39, vcc_lo
	v_add_co_u32 v4, vcc_lo, v49, v38
	s_wait_alu 0xfffd
	v_add_co_ci_u32_e64 v5, null, v50, v39, vcc_lo
	global_load_b64 v[2:3], v[2:3], off
	global_load_b64 v[18:19], v[4:5], off
	v_dual_mov_b32 v4, v1 :: v_dual_mov_b32 v5, v1
	v_dual_mov_b32 v6, v1 :: v_dual_mov_b32 v7, v1
	;; [unrolled: 1-line block ×14, first 2 shown]
.LBB46_12:                              ;   in Loop: Header=BB46_5 Depth=1
	s_wait_alu 0xfffe
	s_or_b32 exec_lo, exec_lo, s3
	v_add_co_u32 v81, vcc_lo, 0xffffff02, v79
	s_wait_alu 0xfffd
	v_add_co_ci_u32_e64 v82, null, -1, v80, vcc_lo
	s_delay_alu instid0(VALU_DEP_1)
	v_cmp_gt_i64_e32 vcc_lo, s[4:5], v[81:82]
	s_and_b32 s18, s2, vcc_lo
	s_wait_alu 0xfffe
	s_and_saveexec_b32 s3, s18
	s_cbranch_execz .LBB46_14
; %bb.13:                               ;   in Loop: Header=BB46_5 Depth=1
	v_add_co_u32 v4, vcc_lo, v75, v38
	s_wait_alu 0xfffd
	v_add_co_ci_u32_e64 v5, null, v76, v39, vcc_lo
	v_add_co_u32 v20, vcc_lo, v77, v38
	s_wait_alu 0xfffd
	v_add_co_ci_u32_e64 v21, null, v78, v39, vcc_lo
	global_load_b64 v[4:5], v[4:5], off
	global_load_b64 v[20:21], v[20:21], off
.LBB46_14:                              ;   in Loop: Header=BB46_5 Depth=1
	s_wait_alu 0xfffe
	s_or_b32 exec_lo, exec_lo, s3
	v_add_co_u32 v81, vcc_lo, 0xffffff03, v79
	s_wait_alu 0xfffd
	v_add_co_ci_u32_e64 v82, null, -1, v80, vcc_lo
	s_delay_alu instid0(VALU_DEP_1)
	v_cmp_gt_i64_e32 vcc_lo, s[4:5], v[81:82]
	s_and_b32 s18, s2, vcc_lo
	s_wait_alu 0xfffe
	s_and_saveexec_b32 s3, s18
	s_cbranch_execz .LBB46_16
; %bb.15:                               ;   in Loop: Header=BB46_5 Depth=1
	v_add_co_u32 v6, vcc_lo, v71, v38
	s_wait_alu 0xfffd
	v_add_co_ci_u32_e64 v7, null, v72, v39, vcc_lo
	v_add_co_u32 v22, vcc_lo, v73, v38
	s_wait_alu 0xfffd
	v_add_co_ci_u32_e64 v23, null, v74, v39, vcc_lo
	global_load_b64 v[6:7], v[6:7], off
	global_load_b64 v[22:23], v[22:23], off
.LBB46_16:                              ;   in Loop: Header=BB46_5 Depth=1
	;; [unrolled: 21-line block ×7, first 2 shown]
	s_wait_alu 0xfffe
	s_or_b32 exec_lo, exec_lo, s3
	s_wait_loadcnt 0x1
	ds_bpermute_b32 v81, v1, v40
	ds_bpermute_b32 v82, v1, v41
	s_wait_loadcnt 0x0
	ds_bpermute_b32 v83, v1, v42
	ds_bpermute_b32 v84, v1, v43
	s_mov_b32 s3, 0
	s_wait_dscnt 0x2
	v_add_f64_e64 v[18:19], v[18:19], -v[81:82]
	ds_bpermute_b32 v81, v1, v40 offset:4
	ds_bpermute_b32 v82, v1, v41 offset:4
	s_wait_dscnt 0x0
	v_add_f64_e64 v[20:21], v[20:21], -v[81:82]
	ds_bpermute_b32 v81, v1, v40 offset:8
	ds_bpermute_b32 v82, v1, v41 offset:8
	v_mul_f64_e32 v[18:19], v[2:3], v[18:19]
	v_add_f64_e32 v[2:3], v[36:37], v[2:3]
	s_wait_dscnt 0x0
	v_add_f64_e64 v[22:23], v[22:23], -v[81:82]
	ds_bpermute_b32 v81, v1, v40 offset:12
	ds_bpermute_b32 v82, v1, v41 offset:12
	v_mul_f64_e32 v[20:21], v[4:5], v[20:21]
	s_wait_dscnt 0x0
	v_add_f64_e64 v[24:25], v[24:25], -v[81:82]
	v_fma_f64 v[18:19], v[18:19], v[83:84], v[34:35]
	ds_bpermute_b32 v83, v1, v42 offset:4
	ds_bpermute_b32 v84, v1, v43 offset:4
	v_add_f64_e32 v[2:3], v[4:5], v[2:3]
	ds_bpermute_b32 v4, v1, v40 offset:16
	ds_bpermute_b32 v5, v1, v41 offset:16
	v_mul_f64_e32 v[22:23], v[6:7], v[22:23]
	s_wait_dscnt 0x0
	v_add_f64_e64 v[4:5], v[26:27], -v[4:5]
	v_mul_f64_e32 v[24:25], v[8:9], v[24:25]
	v_fma_f64 v[18:19], v[20:21], v[83:84], v[18:19]
	ds_bpermute_b32 v20, v1, v42 offset:8
	ds_bpermute_b32 v21, v1, v43 offset:8
	v_add_f64_e32 v[2:3], v[6:7], v[2:3]
	ds_bpermute_b32 v6, v1, v40 offset:20
	ds_bpermute_b32 v7, v1, v41 offset:20
	s_wait_dscnt 0x0
	v_add_f64_e64 v[6:7], v[28:29], -v[6:7]
	v_mul_f64_e32 v[4:5], v[10:11], v[4:5]
	v_fma_f64 v[18:19], v[22:23], v[20:21], v[18:19]
	ds_bpermute_b32 v20, v1, v42 offset:12
	ds_bpermute_b32 v21, v1, v43 offset:12
	v_add_f64_e32 v[2:3], v[8:9], v[2:3]
	ds_bpermute_b32 v8, v1, v40 offset:24
	ds_bpermute_b32 v9, v1, v41 offset:24
	;; [unrolled: 9-line block ×3, first 2 shown]
	v_mul_f64_e32 v[8:9], v[14:15], v[8:9]
	s_wait_dscnt 0x2
	v_fma_f64 v[4:5], v[4:5], v[20:21], v[18:19]
	s_wait_dscnt 0x0
	s_delay_alu instid0(VALU_DEP_1)
	v_fma_f64 v[4:5], v[6:7], v[10:11], v[4:5]
	v_add_f64_e32 v[6:7], v[12:13], v[2:3]
	ds_bpermute_b32 v2, v1, v42 offset:24
	ds_bpermute_b32 v3, v1, v43 offset:24
	;; [unrolled: 1-line block ×4, first 2 shown]
	s_wait_dscnt 0x2
	v_fma_f64 v[2:3], v[8:9], v[2:3], v[4:5]
	v_add_f64_e32 v[4:5], v[14:15], v[6:7]
	ds_bpermute_b32 v6, v1, v40 offset:28
	ds_bpermute_b32 v7, v1, v41 offset:28
.LBB46_27:                              ;   in Loop: Header=BB46_5 Depth=1
	s_wait_alu 0xfffe
	s_and_b32 vcc_lo, exec_lo, s3
	s_wait_alu 0xfffe
	s_cbranch_vccz .LBB46_4
; %bb.28:                               ;   in Loop: Header=BB46_5 Depth=1
	s_load_b32 s3, s[20:21], 0x0
	s_wait_dscnt 0x2
	v_mov_b32_e32 v42, 0
	v_mov_b32_e32 v40, 0
	;; [unrolled: 1-line block ×4, first 2 shown]
	s_wait_kmcnt 0x0
	s_cmp_lt_u32 ttmp9, s3
	s_cselect_b32 s18, 12, 18
	s_wait_alu 0xfffe
	s_add_nc_u64 s[34:35], s[20:21], s[18:19]
	s_load_u16 s3, s[34:35], 0x0
	s_wait_kmcnt 0x0
	v_mad_u32_u24 v2, v44, s3, v46
	s_mov_b32 s3, exec_lo
	s_delay_alu instid0(VALU_DEP_1) | instskip(NEXT) | instid1(VALU_DEP_1)
	v_and_b32_e32 v2, 31, v2
	v_cmpx_gt_u32_e32 8, v2
	s_cbranch_execz .LBB46_32
; %bb.29:                               ;   in Loop: Header=BB46_5 Depth=1
	v_add_co_u32 v2, vcc_lo, v79, v2
	s_wait_alu 0xfffd
	v_add_co_ci_u32_e64 v3, null, 0, v80, vcc_lo
	v_mov_b32_e32 v40, 0
	s_delay_alu instid0(VALU_DEP_3)
	v_add_co_u32 v2, vcc_lo, 0xffffff01, v2
	v_dual_mov_b32 v41, 0 :: v_dual_mov_b32 v42, 0
	s_wait_alu 0xfffd
	v_add_co_ci_u32_e64 v3, null, -1, v3, vcc_lo
	v_mov_b32_e32 v43, 0
	s_mov_b32 s18, exec_lo
	s_delay_alu instid0(VALU_DEP_2)
	v_cmpx_gt_i64_e64 s[4:5], v[2:3]
	s_cbranch_execz .LBB46_31
; %bb.30:                               ;   in Loop: Header=BB46_5 Depth=1
	v_lshlrev_b64_e32 v[2:3], 3, v[2:3]
	s_delay_alu instid0(VALU_DEP_1) | instskip(SKIP_1) | instid1(VALU_DEP_2)
	v_add_co_u32 v4, vcc_lo, s12, v2
	s_wait_alu 0xfffd
	v_add_co_ci_u32_e64 v5, null, s13, v3, vcc_lo
	v_add_co_u32 v2, vcc_lo, s14, v2
	s_wait_alu 0xfffd
	v_add_co_ci_u32_e64 v3, null, s15, v3, vcc_lo
	global_load_b64 v[40:41], v[4:5], off
	global_load_b64 v[42:43], v[2:3], off
.LBB46_31:                              ;   in Loop: Header=BB46_5 Depth=1
	s_wait_alu 0xfffe
	s_or_b32 exec_lo, exec_lo, s18
.LBB46_32:                              ;   in Loop: Header=BB46_5 Depth=1
	s_wait_alu 0xfffe
	s_or_b32 exec_lo, exec_lo, s3
	v_mov_b32_e32 v16, v1
	v_dual_mov_b32 v2, v1 :: v_dual_mov_b32 v3, v1
	v_dual_mov_b32 v4, v1 :: v_dual_mov_b32 v5, v1
	s_wait_dscnt 0x0
	v_dual_mov_b32 v6, v1 :: v_dual_mov_b32 v7, v1
	v_dual_mov_b32 v8, v1 :: v_dual_mov_b32 v9, v1
	;; [unrolled: 1-line block ×5, first 2 shown]
	v_mov_b32_e32 v33, v16
	s_delay_alu instid0(VALU_DEP_3) | instskip(NEXT) | instid1(VALU_DEP_3)
	v_dual_mov_b32 v29, v12 :: v_dual_mov_b32 v28, v11
	v_dual_mov_b32 v31, v14 :: v_dual_mov_b32 v30, v13
	s_delay_alu instid0(VALU_DEP_4)
	v_dual_mov_b32 v32, v15 :: v_dual_mov_b32 v27, v10
	v_dual_mov_b32 v26, v9 :: v_dual_mov_b32 v25, v8
	;; [unrolled: 1-line block ×6, first 2 shown]
	v_mov_b32_e32 v16, v15
	v_mov_b32_e32 v15, v14
	;; [unrolled: 1-line block ×15, first 2 shown]
	s_and_saveexec_b32 s3, s2
	s_cbranch_execz .LBB46_40
; %bb.33:                               ;   in Loop: Header=BB46_5 Depth=1
	v_add_co_u32 v2, vcc_lo, v47, v38
	s_wait_alu 0xfffd
	v_add_co_ci_u32_e64 v3, null, v48, v39, vcc_lo
	v_add_co_u32 v4, vcc_lo, v49, v38
	s_wait_alu 0xfffd
	v_add_co_ci_u32_e64 v5, null, v50, v39, vcc_lo
	global_load_b64 v[2:3], v[2:3], off
	global_load_b64 v[18:19], v[4:5], off
	v_dual_mov_b32 v4, v1 :: v_dual_mov_b32 v5, v1
	v_dual_mov_b32 v6, v1 :: v_dual_mov_b32 v7, v1
	;; [unrolled: 1-line block ×14, first 2 shown]
	s_wait_alu 0xfffe
	s_or_b32 exec_lo, exec_lo, s3
	s_and_saveexec_b32 s3, s2
	s_cbranch_execnz .LBB46_41
.LBB46_34:                              ;   in Loop: Header=BB46_5 Depth=1
	s_wait_alu 0xfffe
	s_or_b32 exec_lo, exec_lo, s3
	s_and_saveexec_b32 s3, s2
	s_cbranch_execz .LBB46_42
.LBB46_35:                              ;   in Loop: Header=BB46_5 Depth=1
	v_add_co_u32 v6, vcc_lo, v71, v38
	s_wait_alu 0xfffd
	v_add_co_ci_u32_e64 v7, null, v72, v39, vcc_lo
	v_add_co_u32 v22, vcc_lo, v73, v38
	s_wait_alu 0xfffd
	v_add_co_ci_u32_e64 v23, null, v74, v39, vcc_lo
	global_load_b64 v[6:7], v[6:7], off
	global_load_b64 v[22:23], v[22:23], off
	s_wait_alu 0xfffe
	s_or_b32 exec_lo, exec_lo, s3
	s_and_saveexec_b32 s3, s2
	s_cbranch_execnz .LBB46_43
.LBB46_36:                              ;   in Loop: Header=BB46_5 Depth=1
	s_wait_alu 0xfffe
	s_or_b32 exec_lo, exec_lo, s3
	s_and_saveexec_b32 s3, s2
	s_cbranch_execz .LBB46_44
.LBB46_37:                              ;   in Loop: Header=BB46_5 Depth=1
	v_add_co_u32 v10, vcc_lo, v63, v38
	s_wait_alu 0xfffd
	v_add_co_ci_u32_e64 v11, null, v64, v39, vcc_lo
	v_add_co_u32 v26, vcc_lo, v65, v38
	s_wait_alu 0xfffd
	v_add_co_ci_u32_e64 v27, null, v66, v39, vcc_lo
	global_load_b64 v[10:11], v[10:11], off
	global_load_b64 v[26:27], v[26:27], off
	s_wait_alu 0xfffe
	s_or_b32 exec_lo, exec_lo, s3
	s_and_saveexec_b32 s3, s2
	s_cbranch_execnz .LBB46_45
.LBB46_38:                              ;   in Loop: Header=BB46_5 Depth=1
	s_wait_alu 0xfffe
	s_or_b32 exec_lo, exec_lo, s3
	s_and_saveexec_b32 s3, s2
	s_cbranch_execz .LBB46_46
.LBB46_39:                              ;   in Loop: Header=BB46_5 Depth=1
	v_add_co_u32 v14, vcc_lo, v55, v38
	s_wait_alu 0xfffd
	v_add_co_ci_u32_e64 v15, null, v56, v39, vcc_lo
	v_add_co_u32 v30, vcc_lo, v57, v38
	s_wait_alu 0xfffd
	v_add_co_ci_u32_e64 v31, null, v58, v39, vcc_lo
	global_load_b64 v[14:15], v[14:15], off
	global_load_b64 v[30:31], v[30:31], off
	s_wait_alu 0xfffe
	s_or_b32 exec_lo, exec_lo, s3
	s_and_saveexec_b32 s3, s2
	s_cbranch_execz .LBB46_3
	s_branch .LBB46_47
.LBB46_40:                              ;   in Loop: Header=BB46_5 Depth=1
	s_wait_alu 0xfffe
	s_or_b32 exec_lo, exec_lo, s3
	s_and_saveexec_b32 s3, s2
	s_cbranch_execz .LBB46_34
.LBB46_41:                              ;   in Loop: Header=BB46_5 Depth=1
	v_add_co_u32 v4, vcc_lo, v75, v38
	s_wait_alu 0xfffd
	v_add_co_ci_u32_e64 v5, null, v76, v39, vcc_lo
	v_add_co_u32 v20, vcc_lo, v77, v38
	s_wait_alu 0xfffd
	v_add_co_ci_u32_e64 v21, null, v78, v39, vcc_lo
	global_load_b64 v[4:5], v[4:5], off
	global_load_b64 v[20:21], v[20:21], off
	s_wait_alu 0xfffe
	s_or_b32 exec_lo, exec_lo, s3
	s_and_saveexec_b32 s3, s2
	s_cbranch_execnz .LBB46_35
.LBB46_42:                              ;   in Loop: Header=BB46_5 Depth=1
	s_wait_alu 0xfffe
	s_or_b32 exec_lo, exec_lo, s3
	s_and_saveexec_b32 s3, s2
	s_cbranch_execz .LBB46_36
.LBB46_43:                              ;   in Loop: Header=BB46_5 Depth=1
	v_add_co_u32 v8, vcc_lo, v67, v38
	s_wait_alu 0xfffd
	v_add_co_ci_u32_e64 v9, null, v68, v39, vcc_lo
	v_add_co_u32 v24, vcc_lo, v69, v38
	s_wait_alu 0xfffd
	v_add_co_ci_u32_e64 v25, null, v70, v39, vcc_lo
	global_load_b64 v[8:9], v[8:9], off
	global_load_b64 v[24:25], v[24:25], off
	s_wait_alu 0xfffe
	s_or_b32 exec_lo, exec_lo, s3
	s_and_saveexec_b32 s3, s2
	s_cbranch_execnz .LBB46_37
.LBB46_44:                              ;   in Loop: Header=BB46_5 Depth=1
	s_wait_alu 0xfffe
	s_or_b32 exec_lo, exec_lo, s3
	s_and_saveexec_b32 s3, s2
	s_cbranch_execz .LBB46_38
.LBB46_45:                              ;   in Loop: Header=BB46_5 Depth=1
	v_add_co_u32 v12, vcc_lo, v59, v38
	s_wait_alu 0xfffd
	v_add_co_ci_u32_e64 v13, null, v60, v39, vcc_lo
	v_add_co_u32 v28, vcc_lo, v61, v38
	s_wait_alu 0xfffd
	v_add_co_ci_u32_e64 v29, null, v62, v39, vcc_lo
	global_load_b64 v[12:13], v[12:13], off
	global_load_b64 v[28:29], v[28:29], off
	s_wait_alu 0xfffe
	s_or_b32 exec_lo, exec_lo, s3
	s_and_saveexec_b32 s3, s2
	s_cbranch_execnz .LBB46_39
.LBB46_46:                              ;   in Loop: Header=BB46_5 Depth=1
	s_wait_alu 0xfffe
	s_or_b32 exec_lo, exec_lo, s3
	s_and_saveexec_b32 s3, s2
	s_cbranch_execz .LBB46_3
.LBB46_47:                              ;   in Loop: Header=BB46_5 Depth=1
	v_add_co_u32 v16, vcc_lo, v51, v38
	s_wait_alu 0xfffd
	v_add_co_ci_u32_e64 v17, null, v52, v39, vcc_lo
	v_add_co_u32 v32, vcc_lo, v53, v38
	s_wait_alu 0xfffd
	v_add_co_ci_u32_e64 v33, null, v54, v39, vcc_lo
	global_load_b64 v[16:17], v[16:17], off
	global_load_b64 v[32:33], v[32:33], off
	s_branch .LBB46_3
.LBB46_48:
                                        ; implicit-def: $vgpr36_vgpr37
                                        ; implicit-def: $vgpr34_vgpr35
	s_branch .LBB46_50
.LBB46_49:
	s_cbranch_execnz .LBB46_81
.LBB46_50:
	v_mov_b32_e32 v36, 0
	v_dual_mov_b32 v37, 0 :: v_dual_mov_b32 v34, 0
	v_mov_b32_e32 v35, 0
	s_and_not1_b32 vcc_lo, exec_lo, s31
	s_wait_alu 0xfffe
	s_cbranch_vccnz .LBB46_81
; %bb.51:
	v_bfe_u32 v72, v0, 10, 10
	v_dual_mov_b32 v1, 0 :: v_dual_and_b32 v74, 0x3ff, v0
	s_lshl_b64 s[20:21], s[16:17], 3
	s_mov_b32 s3, 0
	s_delay_alu instid0(VALU_DEP_2) | instskip(SKIP_2) | instid1(VALU_DEP_3)
	v_dual_mov_b32 v34, 0 :: v_dual_lshlrev_b32 v73, 3, v72
	v_dual_mov_b32 v35, 0 :: v_dual_lshlrev_b32 v8, 6, v72
	v_dual_mov_b32 v5, v1 :: v_dual_add_nc_u32 v4, s30, v74
	v_add_co_u32 v10, s2, v73, s16
	s_wait_alu 0xf1ff
	v_add_co_ci_u32_e64 v11, null, 0, 0, s2
	s_delay_alu instid0(VALU_DEP_3) | instskip(NEXT) | instid1(VALU_DEP_3)
	v_lshlrev_b64_e32 v[38:39], 3, v[4:5]
	v_mul_lo_u32 v6, s7, v10
	v_mad_co_u64_u32 v[2:3], null, s6, v10, 0
	s_delay_alu instid0(VALU_DEP_4) | instskip(SKIP_4) | instid1(VALU_DEP_3)
	v_mul_lo_u32 v7, s6, v11
	s_load_b32 s2, s[0:1], 0x44
	s_mov_b32 s19, s3
	v_mov_b32_e32 v36, 0
	v_mov_b32_e32 v37, 0
	v_add3_u32 v3, v3, v7, v6
	v_add_co_u32 v6, s18, v8, s20
	s_wait_alu 0xf1ff
	v_add_co_ci_u32_e64 v7, null, 0, s21, s18
	s_delay_alu instid0(VALU_DEP_3) | instskip(NEXT) | instid1(VALU_DEP_3)
	v_lshlrev_b64_e32 v[4:5], 3, v[2:3]
	v_add_co_u32 v8, vcc_lo, v6, 8
	s_wait_alu 0xfffd
	s_delay_alu instid0(VALU_DEP_3) | instskip(NEXT) | instid1(VALU_DEP_3)
	v_add_co_ci_u32_e64 v9, null, 0, v7, vcc_lo
	v_add_co_u32 v75, vcc_lo, s8, v4
	s_wait_alu 0xfffd
	v_add_co_ci_u32_e64 v76, null, s9, v5, vcc_lo
	v_add_co_u32 v77, vcc_lo, s10, v4
	s_wait_alu 0xfffd
	;; [unrolled: 3-line block ×5, first 2 shown]
	v_add_co_ci_u32_e64 v18, null, 0, v7, vcc_lo
	v_add_co_u32 v19, vcc_lo, v6, 40
	v_mad_co_u64_u32 v[42:43], null, s6, v4, s[8:9]
	v_mul_lo_u32 v5, s6, v5
	v_mul_lo_u32 v15, s7, v4
	v_mad_co_u64_u32 v[56:57], null, s6, v4, s[10:11]
	s_wait_alu 0xfffd
	v_add_co_ci_u32_e64 v20, null, 0, v7, vcc_lo
	v_add_co_u32 v22, vcc_lo, v6, 48
	s_wait_alu 0xfffd
	v_add_co_ci_u32_e64 v24, null, 0, v7, vcc_lo
	v_add_co_u32 v6, vcc_lo, v6, 56
	v_mad_co_u64_u32 v[40:41], null, s6, v8, s[8:9]
	v_mul_lo_u32 v9, s6, v9
	v_mul_lo_u32 v12, s7, v8
	v_mad_co_u64_u32 v[54:55], null, s6, v8, s[10:11]
	s_wait_alu 0xfffd
	v_add_co_ci_u32_e64 v7, null, 0, v7, vcc_lo
	v_add_co_u32 v4, vcc_lo, v10, 7
	v_add3_u32 v43, v15, v43, v5
	v_add3_u32 v57, v15, v57, v5
	s_wait_alu 0xfffd
	v_add_co_ci_u32_e64 v5, null, 0, v11, vcc_lo
	v_mul_lo_u32 v26, s6, v7
	v_add_co_u32 v7, vcc_lo, v10, 6
	v_add3_u32 v41, v12, v41, v9
	v_add3_u32 v55, v12, v55, v9
	s_wait_alu 0xfffd
	v_add_co_ci_u32_e64 v12, null, 0, v11, vcc_lo
	v_mul_lo_u32 v8, s7, v4
	v_mul_lo_u32 v9, s6, v5
	v_mad_co_u64_u32 v[4:5], null, s6, v4, 0
	v_mad_co_u64_u32 v[44:45], null, s6, v13, s[8:9]
	v_mul_lo_u32 v17, s7, v13
	v_mad_co_u64_u32 v[52:53], null, s6, v6, s[8:9]
	v_mul_lo_u32 v27, s7, v6
	v_mad_co_u64_u32 v[58:59], null, s6, v13, s[10:11]
	v_mad_co_u64_u32 v[66:67], null, s6, v6, s[10:11]
	v_mul_lo_u32 v13, s7, v7
	v_mul_lo_u32 v12, s6, v12
	v_mad_co_u64_u32 v[6:7], null, s6, v7, 0
	v_add3_u32 v5, v5, v9, v8
	v_add_co_u32 v8, vcc_lo, v10, 5
	s_wait_alu 0xfffd
	v_add_co_ci_u32_e64 v9, null, 0, v11, vcc_lo
	s_delay_alu instid0(VALU_DEP_3) | instskip(SKIP_2) | instid1(VALU_DEP_4)
	v_lshlrev_b64_e32 v[4:5], 3, v[4:5]
	v_add3_u32 v7, v7, v12, v13
	v_mul_lo_u32 v12, s7, v8
	v_mul_lo_u32 v13, s6, v9
	v_mad_co_u64_u32 v[8:9], null, s6, v8, 0
	s_delay_alu instid0(VALU_DEP_4)
	v_lshlrev_b64_e32 v[6:7], 3, v[6:7]
	v_add_co_u32 v79, vcc_lo, s8, v4
	s_wait_alu 0xfffd
	v_add_co_ci_u32_e64 v80, null, s9, v5, vcc_lo
	v_add_co_u32 v81, vcc_lo, s10, v4
	s_wait_alu 0xfffd
	v_add_co_ci_u32_e64 v82, null, s11, v5, vcc_lo
	v_add_co_u32 v83, vcc_lo, s8, v6
	v_mul_lo_u32 v14, s6, v14
	v_add3_u32 v9, v9, v13, v12
	s_wait_alu 0xfffd
	v_add_co_ci_u32_e64 v84, null, s9, v7, vcc_lo
	v_add_co_u32 v12, vcc_lo, v10, 4
	s_wait_kmcnt 0x0
	s_lshl_b32 s18, s2, 8
	v_add_co_u32 v85, s2, s10, v6
	s_wait_alu 0xfffd
	v_add_co_ci_u32_e64 v6, null, 0, v11, vcc_lo
	v_lshlrev_b64_e32 v[4:5], 3, v[8:9]
	v_add_co_u32 v8, vcc_lo, v10, 3
	s_wait_alu 0xfffd
	v_add_co_ci_u32_e64 v9, null, 0, v11, vcc_lo
	v_add3_u32 v45, v17, v45, v14
	v_add3_u32 v59, v17, v59, v14
	s_wait_alu 0xf1ff
	v_add_co_ci_u32_e64 v86, null, s11, v7, s2
	v_mul_lo_u32 v13, s7, v12
	v_mul_lo_u32 v14, s6, v6
	v_mad_co_u64_u32 v[6:7], null, s6, v12, 0
	v_mul_lo_u32 v12, s7, v8
	v_mul_lo_u32 v15, s6, v9
	v_mad_co_u64_u32 v[8:9], null, s6, v8, 0
	v_add_co_u32 v87, vcc_lo, s8, v4
	s_wait_alu 0xfffd
	v_add_co_ci_u32_e64 v88, null, s9, v5, vcc_lo
	v_add3_u32 v7, v7, v14, v13
	v_add_co_u32 v89, vcc_lo, s10, v4
	s_wait_alu 0xfffd
	v_add_co_ci_u32_e64 v90, null, s11, v5, vcc_lo
	v_add_co_u32 v10, vcc_lo, v10, 2
	v_add3_u32 v9, v9, v15, v12
	s_wait_alu 0xfffd
	v_add_co_ci_u32_e64 v11, null, 0, v11, vcc_lo
	v_lshlrev_b64_e32 v[4:5], 3, v[6:7]
	v_mul_lo_u32 v12, s7, v10
	v_lshlrev_b64_e32 v[6:7], 3, v[8:9]
	s_delay_alu instid0(VALU_DEP_4)
	v_mul_lo_u32 v11, s6, v11
	v_mad_co_u64_u32 v[8:9], null, s6, v10, 0
	v_add_co_u32 v91, vcc_lo, s8, v4
	s_wait_alu 0xfffd
	v_add_co_ci_u32_e64 v92, null, s9, v5, vcc_lo
	v_add_co_u32 v93, vcc_lo, s10, v4
	s_wait_alu 0xfffd
	v_add_co_ci_u32_e64 v94, null, s11, v5, vcc_lo
	;; [unrolled: 3-line block ×3, first 2 shown]
	v_add3_u32 v9, v9, v11, v12
	v_add_co_u32 v97, vcc_lo, s10, v6
	s_wait_alu 0xfffd
	v_add_co_ci_u32_e64 v98, null, s11, v7, vcc_lo
	v_add_co_u32 v2, vcc_lo, v2, s6
	s_wait_alu 0xfffd
	v_add_co_ci_u32_e64 v3, null, s7, v3, vcc_lo
	v_lshlrev_b64_e32 v[4:5], 3, v[8:9]
	v_mad_co_u64_u32 v[46:47], null, s6, v16, s[8:9]
	s_delay_alu instid0(VALU_DEP_3)
	v_lshlrev_b64_e32 v[2:3], 3, v[2:3]
	v_mul_lo_u32 v18, s6, v18
	v_mul_lo_u32 v21, s7, v16
	v_mad_co_u64_u32 v[48:49], null, s6, v19, s[8:9]
	v_mul_lo_u32 v20, s6, v20
	v_mul_lo_u32 v23, s7, v19
	v_mad_co_u64_u32 v[50:51], null, s6, v22, s[8:9]
	;; [unrolled: 3-line block ×3, first 2 shown]
	v_mad_co_u64_u32 v[62:63], null, s6, v19, s[10:11]
	v_mad_co_u64_u32 v[64:65], null, s6, v22, s[10:11]
	v_add_co_u32 v99, vcc_lo, s8, v4
	s_wait_alu 0xfffd
	v_add_co_ci_u32_e64 v100, null, s9, v5, vcc_lo
	v_add_co_u32 v101, vcc_lo, s10, v4
	s_wait_alu 0xfffd
	v_add_co_ci_u32_e64 v102, null, s11, v5, vcc_lo
	v_add_co_u32 v103, vcc_lo, s8, v2
	s_wait_alu 0xfffd
	v_add_co_ci_u32_e64 v104, null, s9, v3, vcc_lo
	v_add_co_u32 v105, vcc_lo, s10, v2
	v_add3_u32 v47, v21, v47, v18
	v_add3_u32 v49, v23, v49, v20
	;; [unrolled: 1-line block ×8, first 2 shown]
	s_wait_alu 0xfffd
	v_add_co_ci_u32_e64 v106, null, s11, v3, vcc_lo
	s_wait_alu 0xfffe
	s_mul_u64 s[20:21], s[6:7], s[18:19]
	s_add_nc_u64 s[8:9], s[0:1], 64
	s_wait_alu 0xfffe
	s_lshl_b64 s[10:11], s[20:21], 3
	s_add_nc_u64 s[20:21], s[16:17], 0xff
	s_branch .LBB46_55
.LBB46_52:                              ;   in Loop: Header=BB46_55 Depth=1
	s_wait_alu 0xfffe
	s_or_b32 exec_lo, exec_lo, s22
.LBB46_53:                              ;   in Loop: Header=BB46_55 Depth=1
	s_wait_alu 0xfffe
	s_or_b32 exec_lo, exec_lo, s2
	v_add_co_u32 v6, vcc_lo, v77, v38
	s_wait_alu 0xfffd
	v_add_co_ci_u32_e64 v7, null, v78, v39, vcc_lo
	v_add_co_u32 v8, vcc_lo, v54, v38
	s_wait_alu 0xfffd
	v_add_co_ci_u32_e64 v9, null, v55, v39, vcc_lo
	global_load_b64 v[6:7], v[6:7], off
	v_add_co_u32 v10, vcc_lo, v75, v38
	s_wait_alu 0xfffd
	v_add_co_ci_u32_e64 v11, null, v76, v39, vcc_lo
	global_load_b64 v[8:9], v[8:9], off
	global_load_b64 v[10:11], v[10:11], off
	v_add_co_u32 v12, vcc_lo, v56, v38
	s_wait_alu 0xfffd
	v_add_co_ci_u32_e64 v13, null, v57, v39, vcc_lo
	v_add_co_u32 v14, vcc_lo, v40, v38
	s_wait_alu 0xfffd
	v_add_co_ci_u32_e64 v15, null, v41, v39, vcc_lo
	global_load_b64 v[12:13], v[12:13], off
	global_load_b64 v[14:15], v[14:15], off
	v_add_co_u32 v16, vcc_lo, v58, v38
	s_wait_alu 0xfffd
	v_add_co_ci_u32_e64 v17, null, v59, v39, vcc_lo
	;; [unrolled: 8-line block ×5, first 2 shown]
	v_add_co_u32 v30, vcc_lo, v64, v38
	s_wait_alu 0xfffd
	v_add_co_ci_u32_e64 v31, null, v65, v39, vcc_lo
	v_add_co_u32 v32, vcc_lo, v66, v38
	s_wait_alu 0xfffd
	v_add_co_ci_u32_e64 v33, null, v67, v39, vcc_lo
	global_load_b64 v[30:31], v[30:31], off
	global_load_b64 v[68:69], v[16:17], off
	;; [unrolled: 1-line block ×3, first 2 shown]
	v_add_co_u32 v16, vcc_lo, v50, v38
	s_wait_alu 0xfffd
	v_add_co_ci_u32_e64 v17, null, v51, v39, vcc_lo
	v_add_co_u32 v70, vcc_lo, v52, v38
	s_wait_alu 0xfffd
	v_add_co_ci_u32_e64 v71, null, v53, v39, vcc_lo
	global_load_b64 v[107:108], v[16:17], off
	global_load_b64 v[16:17], v[70:71], off
	s_wait_loadcnt 0x11
	ds_bpermute_b32 v70, v1, v4
	ds_bpermute_b32 v71, v1, v5
	s_wait_loadcnt 0x10
	ds_bpermute_b32 v109, v1, v2
	ds_bpermute_b32 v110, v1, v3
	s_wait_loadcnt_dscnt 0xf02
	v_add_f64_e64 v[6:7], v[6:7], -v[70:71]
	ds_bpermute_b32 v70, v1, v4 offset:4
	ds_bpermute_b32 v71, v1, v5 offset:4
	s_wait_loadcnt_dscnt 0xe00
	v_add_f64_e64 v[8:9], v[8:9], -v[70:71]
	ds_bpermute_b32 v70, v1, v4 offset:8
	ds_bpermute_b32 v71, v1, v5 offset:8
	s_wait_loadcnt 0xd
	v_mul_f64_e32 v[6:7], v[10:11], v[6:7]
	v_add_f64_e32 v[10:11], v[36:37], v[10:11]
	ds_bpermute_b32 v36, v1, v2 offset:4
	ds_bpermute_b32 v37, v1, v3 offset:4
	s_wait_loadcnt_dscnt 0xc02
	v_add_f64_e64 v[12:13], v[12:13], -v[70:71]
	s_wait_loadcnt 0xb
	v_mul_f64_e32 v[8:9], v[14:15], v[8:9]
	v_fma_f64 v[6:7], v[6:7], v[109:110], v[34:35]
	ds_bpermute_b32 v34, v1, v4 offset:12
	ds_bpermute_b32 v35, v1, v5 offset:12
	v_add_f64_e32 v[10:11], v[10:11], v[14:15]
	ds_bpermute_b32 v14, v1, v2 offset:8
	ds_bpermute_b32 v15, v1, v3 offset:8
	s_wait_loadcnt 0x9
	v_mul_f64_e32 v[12:13], v[18:19], v[12:13]
	s_wait_dscnt 0x2
	v_add_f64_e64 v[20:21], v[20:21], -v[34:35]
	v_fma_f64 v[6:7], v[8:9], v[36:37], v[6:7]
	ds_bpermute_b32 v8, v1, v4 offset:16
	ds_bpermute_b32 v9, v1, v5 offset:16
	v_add_f64_e32 v[10:11], v[10:11], v[18:19]
	ds_bpermute_b32 v18, v1, v2 offset:16
	ds_bpermute_b32 v19, v1, v3 offset:16
	s_wait_loadcnt_dscnt 0x802
	v_add_f64_e64 v[8:9], v[24:25], -v[8:9]
	s_wait_loadcnt 0x7
	v_mul_f64_e32 v[20:21], v[22:23], v[20:21]
	v_fma_f64 v[6:7], v[12:13], v[14:15], v[6:7]
	ds_bpermute_b32 v12, v1, v4 offset:20
	ds_bpermute_b32 v13, v1, v5 offset:20
	;; [unrolled: 1-line block ×4, first 2 shown]
	v_add_f64_e32 v[10:11], v[10:11], v[22:23]
	s_wait_loadcnt_dscnt 0x602
	v_add_f64_e64 v[12:13], v[28:29], -v[12:13]
	s_wait_loadcnt 0x5
	v_mul_f64_e32 v[8:9], v[26:27], v[8:9]
	s_wait_dscnt 0x0
	v_fma_f64 v[6:7], v[20:21], v[14:15], v[6:7]
	ds_bpermute_b32 v14, v1, v4 offset:24
	ds_bpermute_b32 v15, v1, v5 offset:24
	;; [unrolled: 1-line block ×4, first 2 shown]
	v_add_f64_e32 v[10:11], v[10:11], v[26:27]
	s_wait_loadcnt_dscnt 0x402
	v_add_f64_e64 v[14:15], v[30:31], -v[14:15]
	s_wait_loadcnt 0x3
	v_mul_f64_e32 v[12:13], v[68:69], v[12:13]
	s_wait_loadcnt_dscnt 0x200
	v_add_f64_e64 v[4:5], v[32:33], -v[4:5]
	v_fma_f64 v[6:7], v[8:9], v[18:19], v[6:7]
	ds_bpermute_b32 v8, v1, v2 offset:20
	ds_bpermute_b32 v9, v1, v3 offset:20
	v_add_f64_e32 v[10:11], v[10:11], v[68:69]
	s_wait_loadcnt 0x1
	v_mul_f64_e32 v[14:15], v[107:108], v[14:15]
	s_wait_loadcnt 0x0
	v_mul_f64_e32 v[4:5], v[16:17], v[4:5]
	s_wait_dscnt 0x0
	v_fma_f64 v[6:7], v[12:13], v[8:9], v[6:7]
	ds_bpermute_b32 v8, v1, v2 offset:24
	ds_bpermute_b32 v9, v1, v3 offset:24
	ds_bpermute_b32 v12, v1, v2 offset:28
	ds_bpermute_b32 v13, v1, v3 offset:28
	v_add_f64_e32 v[2:3], v[10:11], v[107:108]
	s_wait_dscnt 0x0
	v_mul_f64_e32 v[4:5], v[4:5], v[12:13]
	v_fma_f64 v[6:7], v[14:15], v[8:9], v[6:7]
.LBB46_54:                              ;   in Loop: Header=BB46_55 Depth=1
	v_add_co_u32 v75, vcc_lo, v75, s10
	s_wait_alu 0xfffd
	v_add_co_ci_u32_e64 v76, null, s11, v76, vcc_lo
	v_add_co_u32 v77, vcc_lo, v77, s10
	s_wait_alu 0xfffd
	v_add_co_ci_u32_e64 v78, null, s11, v78, vcc_lo
	;; [unrolled: 3-line block ×13, first 2 shown]
	v_add_co_u32 v62, vcc_lo, v62, s10
	v_add_f64_e32 v[34:35], v[6:7], v[4:5]
	v_add_f64_e32 v[36:37], v[2:3], v[16:17]
	s_wait_alu 0xfffd
	v_add_co_ci_u32_e64 v63, null, s11, v63, vcc_lo
	v_add_co_u32 v64, vcc_lo, v64, s10
	s_wait_alu 0xfffd
	v_add_co_ci_u32_e64 v65, null, s11, v65, vcc_lo
	v_add_co_u32 v66, vcc_lo, v66, s10
	;; [unrolled: 3-line block ×14, first 2 shown]
	s_add_nc_u64 s[16:17], s[16:17], s[18:19]
	s_wait_alu 0xfffd
	v_add_co_ci_u32_e64 v102, null, s11, v102, vcc_lo
	v_add_co_u32 v103, vcc_lo, v103, s10
	s_wait_alu 0xfffe
	v_cmp_ge_i64_e64 s2, s[16:17], s[4:5]
	s_wait_alu 0xfffd
	v_add_co_ci_u32_e64 v104, null, s11, v104, vcc_lo
	v_add_co_u32 v105, vcc_lo, v105, s10
	s_wait_alu 0xfffd
	v_add_co_ci_u32_e64 v106, null, s11, v106, vcc_lo
	s_and_b32 vcc_lo, exec_lo, s2
	s_add_nc_u64 s[20:21], s[20:21], s[18:19]
	s_wait_alu 0xfffe
	s_cbranch_vccnz .LBB46_81
.LBB46_55:                              ; =>This Inner Loop Header: Depth=1
	s_wait_alu 0xfffe
	v_cmp_ge_i64_e64 s2, s[20:21], s[4:5]
	v_add_co_u32 v107, s22, v73, s20
	s_wait_alu 0xf1ff
	v_add_co_ci_u32_e64 v108, null, 0, s21, s22
                                        ; implicit-def: $vgpr16_vgpr17
                                        ; implicit-def: $vgpr4_vgpr5
                                        ; implicit-def: $vgpr2_vgpr3
                                        ; implicit-def: $vgpr6_vgpr7
	s_and_b32 vcc_lo, exec_lo, s2
	s_mov_b32 s2, -1
	s_wait_alu 0xfffe
	s_cbranch_vccz .LBB46_77
; %bb.56:                               ;   in Loop: Header=BB46_55 Depth=1
	s_load_b32 s2, s[8:9], 0xc
	v_mov_b32_e32 v68, 0
	v_mov_b32_e32 v70, 0
	v_mov_b32_e32 v71, 0
	v_mov_b32_e32 v69, 0
	s_wait_kmcnt 0x0
	s_and_b32 s2, s2, 0xffff
	s_wait_alu 0xfffe
	v_mad_u32_u24 v2, v72, s2, v74
	s_mov_b32 s2, exec_lo
	s_delay_alu instid0(VALU_DEP_1) | instskip(NEXT) | instid1(VALU_DEP_1)
	v_and_b32_e32 v2, 31, v2
	v_cmpx_gt_u32_e32 8, v2
	s_cbranch_execz .LBB46_60
; %bb.57:                               ;   in Loop: Header=BB46_55 Depth=1
	v_add_co_u32 v2, vcc_lo, v107, v2
	s_wait_alu 0xfffd
	v_add_co_ci_u32_e64 v3, null, 0, v108, vcc_lo
	v_mov_b32_e32 v70, 0
	s_delay_alu instid0(VALU_DEP_3)
	v_add_co_u32 v2, vcc_lo, 0xffffff01, v2
	v_dual_mov_b32 v71, 0 :: v_dual_mov_b32 v68, 0
	s_wait_alu 0xfffd
	v_add_co_ci_u32_e64 v3, null, -1, v3, vcc_lo
	v_mov_b32_e32 v69, 0
	s_mov_b32 s22, exec_lo
	s_delay_alu instid0(VALU_DEP_2)
	v_cmpx_gt_i64_e64 s[4:5], v[2:3]
	s_cbranch_execz .LBB46_59
; %bb.58:                               ;   in Loop: Header=BB46_55 Depth=1
	v_lshlrev_b64_e32 v[2:3], 3, v[2:3]
	s_delay_alu instid0(VALU_DEP_1) | instskip(SKIP_1) | instid1(VALU_DEP_2)
	v_add_co_u32 v4, vcc_lo, s12, v2
	s_wait_alu 0xfffd
	v_add_co_ci_u32_e64 v5, null, s13, v3, vcc_lo
	v_add_co_u32 v2, vcc_lo, s14, v2
	s_wait_alu 0xfffd
	v_add_co_ci_u32_e64 v3, null, s15, v3, vcc_lo
	global_load_b64 v[70:71], v[4:5], off
	global_load_b64 v[68:69], v[2:3], off
.LBB46_59:                              ;   in Loop: Header=BB46_55 Depth=1
	s_wait_alu 0xfffe
	s_or_b32 exec_lo, exec_lo, s22
.LBB46_60:                              ;   in Loop: Header=BB46_55 Depth=1
	s_wait_alu 0xfffe
	s_or_b32 exec_lo, exec_lo, s2
	v_add_co_u32 v17, vcc_lo, 0xffffff01, v107
	s_wait_alu 0xfffd
	v_add_co_ci_u32_e64 v18, null, -1, v108, vcc_lo
	v_mov_b32_e32 v16, v1
	v_dual_mov_b32 v2, v1 :: v_dual_mov_b32 v3, v1
	v_dual_mov_b32 v4, v1 :: v_dual_mov_b32 v5, v1
	;; [unrolled: 1-line block ×7, first 2 shown]
	v_cmp_gt_i64_e32 vcc_lo, s[4:5], v[17:18]
	s_delay_alu instid0(VALU_DEP_3) | instskip(NEXT) | instid1(VALU_DEP_3)
	v_dual_mov_b32 v33, v16 :: v_dual_mov_b32 v30, v13
	v_dual_mov_b32 v31, v14 :: v_dual_mov_b32 v32, v15
	;; [unrolled: 1-line block ×8, first 2 shown]
	v_mov_b32_e32 v17, v16
	v_mov_b32_e32 v16, v15
	;; [unrolled: 1-line block ×16, first 2 shown]
	s_and_saveexec_b32 s2, vcc_lo
	s_cbranch_execz .LBB46_62
; %bb.61:                               ;   in Loop: Header=BB46_55 Depth=1
	v_add_co_u32 v2, vcc_lo, v75, v38
	s_wait_alu 0xfffd
	v_add_co_ci_u32_e64 v3, null, v76, v39, vcc_lo
	v_add_co_u32 v4, vcc_lo, v77, v38
	s_wait_alu 0xfffd
	v_add_co_ci_u32_e64 v5, null, v78, v39, vcc_lo
	global_load_b64 v[2:3], v[2:3], off
	global_load_b64 v[18:19], v[4:5], off
	v_dual_mov_b32 v4, v1 :: v_dual_mov_b32 v5, v1
	v_dual_mov_b32 v6, v1 :: v_dual_mov_b32 v7, v1
	v_dual_mov_b32 v8, v1 :: v_dual_mov_b32 v9, v1
	v_dual_mov_b32 v10, v1 :: v_dual_mov_b32 v11, v1
	v_dual_mov_b32 v12, v1 :: v_dual_mov_b32 v13, v1
	v_dual_mov_b32 v14, v1 :: v_dual_mov_b32 v15, v1
	v_dual_mov_b32 v16, v1 :: v_dual_mov_b32 v17, v1
	v_dual_mov_b32 v20, v1 :: v_dual_mov_b32 v21, v1
	v_dual_mov_b32 v22, v1 :: v_dual_mov_b32 v23, v1
	v_dual_mov_b32 v24, v1 :: v_dual_mov_b32 v25, v1
	v_dual_mov_b32 v26, v1 :: v_dual_mov_b32 v27, v1
	v_dual_mov_b32 v28, v1 :: v_dual_mov_b32 v29, v1
	v_dual_mov_b32 v30, v1 :: v_dual_mov_b32 v31, v1
	v_dual_mov_b32 v32, v1 :: v_dual_mov_b32 v33, v1
.LBB46_62:                              ;   in Loop: Header=BB46_55 Depth=1
	s_wait_alu 0xfffe
	s_or_b32 exec_lo, exec_lo, s2
	v_add_co_u32 v109, vcc_lo, 0xffffff02, v107
	s_wait_alu 0xfffd
	v_add_co_ci_u32_e64 v110, null, -1, v108, vcc_lo
	s_mov_b32 s2, exec_lo
	v_cmpx_gt_i64_e64 s[4:5], v[109:110]
	s_cbranch_execz .LBB46_64
; %bb.63:                               ;   in Loop: Header=BB46_55 Depth=1
	v_add_co_u32 v4, vcc_lo, v103, v38
	s_wait_alu 0xfffd
	v_add_co_ci_u32_e64 v5, null, v104, v39, vcc_lo
	v_add_co_u32 v20, vcc_lo, v105, v38
	s_wait_alu 0xfffd
	v_add_co_ci_u32_e64 v21, null, v106, v39, vcc_lo
	global_load_b64 v[4:5], v[4:5], off
	global_load_b64 v[20:21], v[20:21], off
.LBB46_64:                              ;   in Loop: Header=BB46_55 Depth=1
	s_wait_alu 0xfffe
	s_or_b32 exec_lo, exec_lo, s2
	v_add_co_u32 v109, vcc_lo, 0xffffff03, v107
	s_wait_alu 0xfffd
	v_add_co_ci_u32_e64 v110, null, -1, v108, vcc_lo
	s_mov_b32 s2, exec_lo
	v_cmpx_gt_i64_e64 s[4:5], v[109:110]
	s_cbranch_execz .LBB46_66
; %bb.65:                               ;   in Loop: Header=BB46_55 Depth=1
	v_add_co_u32 v6, vcc_lo, v99, v38
	s_wait_alu 0xfffd
	v_add_co_ci_u32_e64 v7, null, v100, v39, vcc_lo
	v_add_co_u32 v22, vcc_lo, v101, v38
	s_wait_alu 0xfffd
	v_add_co_ci_u32_e64 v23, null, v102, v39, vcc_lo
	global_load_b64 v[6:7], v[6:7], off
	global_load_b64 v[22:23], v[22:23], off
.LBB46_66:                              ;   in Loop: Header=BB46_55 Depth=1
	s_wait_alu 0xfffe
	s_or_b32 exec_lo, exec_lo, s2
	v_add_co_u32 v109, vcc_lo, 0xffffff04, v107
	s_wait_alu 0xfffd
	v_add_co_ci_u32_e64 v110, null, -1, v108, vcc_lo
	s_mov_b32 s2, exec_lo
	v_cmpx_gt_i64_e64 s[4:5], v[109:110]
	s_cbranch_execz .LBB46_68
; %bb.67:                               ;   in Loop: Header=BB46_55 Depth=1
	v_add_co_u32 v8, vcc_lo, v95, v38
	s_wait_alu 0xfffd
	v_add_co_ci_u32_e64 v9, null, v96, v39, vcc_lo
	v_add_co_u32 v24, vcc_lo, v97, v38
	s_wait_alu 0xfffd
	v_add_co_ci_u32_e64 v25, null, v98, v39, vcc_lo
	global_load_b64 v[8:9], v[8:9], off
	global_load_b64 v[24:25], v[24:25], off
.LBB46_68:                              ;   in Loop: Header=BB46_55 Depth=1
	s_wait_alu 0xfffe
	s_or_b32 exec_lo, exec_lo, s2
	v_add_co_u32 v109, vcc_lo, 0xffffff05, v107
	s_wait_alu 0xfffd
	v_add_co_ci_u32_e64 v110, null, -1, v108, vcc_lo
	s_mov_b32 s2, exec_lo
	v_cmpx_gt_i64_e64 s[4:5], v[109:110]
	s_cbranch_execz .LBB46_70
; %bb.69:                               ;   in Loop: Header=BB46_55 Depth=1
	v_add_co_u32 v10, vcc_lo, v91, v38
	s_wait_alu 0xfffd
	v_add_co_ci_u32_e64 v11, null, v92, v39, vcc_lo
	v_add_co_u32 v26, vcc_lo, v93, v38
	s_wait_alu 0xfffd
	v_add_co_ci_u32_e64 v27, null, v94, v39, vcc_lo
	global_load_b64 v[10:11], v[10:11], off
	global_load_b64 v[26:27], v[26:27], off
.LBB46_70:                              ;   in Loop: Header=BB46_55 Depth=1
	s_wait_alu 0xfffe
	s_or_b32 exec_lo, exec_lo, s2
	v_add_co_u32 v109, vcc_lo, 0xffffff06, v107
	s_wait_alu 0xfffd
	v_add_co_ci_u32_e64 v110, null, -1, v108, vcc_lo
	s_mov_b32 s2, exec_lo
	v_cmpx_gt_i64_e64 s[4:5], v[109:110]
	s_cbranch_execz .LBB46_72
; %bb.71:                               ;   in Loop: Header=BB46_55 Depth=1
	v_add_co_u32 v12, vcc_lo, v87, v38
	s_wait_alu 0xfffd
	v_add_co_ci_u32_e64 v13, null, v88, v39, vcc_lo
	v_add_co_u32 v28, vcc_lo, v89, v38
	s_wait_alu 0xfffd
	v_add_co_ci_u32_e64 v29, null, v90, v39, vcc_lo
	global_load_b64 v[12:13], v[12:13], off
	global_load_b64 v[28:29], v[28:29], off
.LBB46_72:                              ;   in Loop: Header=BB46_55 Depth=1
	s_wait_alu 0xfffe
	s_or_b32 exec_lo, exec_lo, s2
	v_add_co_u32 v109, vcc_lo, 0xffffff07, v107
	s_wait_alu 0xfffd
	v_add_co_ci_u32_e64 v110, null, -1, v108, vcc_lo
	s_mov_b32 s2, exec_lo
	v_cmpx_gt_i64_e64 s[4:5], v[109:110]
	s_cbranch_execz .LBB46_74
; %bb.73:                               ;   in Loop: Header=BB46_55 Depth=1
	v_add_co_u32 v14, vcc_lo, v83, v38
	s_wait_alu 0xfffd
	v_add_co_ci_u32_e64 v15, null, v84, v39, vcc_lo
	v_add_co_u32 v30, vcc_lo, v85, v38
	s_wait_alu 0xfffd
	v_add_co_ci_u32_e64 v31, null, v86, v39, vcc_lo
	global_load_b64 v[14:15], v[14:15], off
	global_load_b64 v[30:31], v[30:31], off
.LBB46_74:                              ;   in Loop: Header=BB46_55 Depth=1
	s_wait_alu 0xfffe
	s_or_b32 exec_lo, exec_lo, s2
	v_add_co_u32 v109, vcc_lo, 0xffffff08, v107
	s_wait_alu 0xfffd
	v_add_co_ci_u32_e64 v110, null, -1, v108, vcc_lo
	s_mov_b32 s2, exec_lo
	v_cmpx_gt_i64_e64 s[4:5], v[109:110]
	s_cbranch_execz .LBB46_76
; %bb.75:                               ;   in Loop: Header=BB46_55 Depth=1
	v_add_co_u32 v16, vcc_lo, v79, v38
	s_wait_alu 0xfffd
	v_add_co_ci_u32_e64 v17, null, v80, v39, vcc_lo
	v_add_co_u32 v32, vcc_lo, v81, v38
	s_wait_alu 0xfffd
	v_add_co_ci_u32_e64 v33, null, v82, v39, vcc_lo
	global_load_b64 v[16:17], v[16:17], off
	global_load_b64 v[32:33], v[32:33], off
.LBB46_76:                              ;   in Loop: Header=BB46_55 Depth=1
	s_wait_alu 0xfffe
	s_or_b32 exec_lo, exec_lo, s2
	s_wait_loadcnt 0x1
	ds_bpermute_b32 v109, v1, v70
	ds_bpermute_b32 v110, v1, v71
	s_wait_loadcnt 0x0
	ds_bpermute_b32 v111, v1, v68
	ds_bpermute_b32 v112, v1, v69
	s_mov_b32 s2, 0
	s_wait_dscnt 0x2
	v_add_f64_e64 v[18:19], v[18:19], -v[109:110]
	ds_bpermute_b32 v109, v1, v70 offset:4
	ds_bpermute_b32 v110, v1, v71 offset:4
	s_wait_dscnt 0x0
	v_add_f64_e64 v[20:21], v[20:21], -v[109:110]
	ds_bpermute_b32 v109, v1, v70 offset:8
	ds_bpermute_b32 v110, v1, v71 offset:8
	v_mul_f64_e32 v[18:19], v[2:3], v[18:19]
	v_add_f64_e32 v[2:3], v[36:37], v[2:3]
	s_wait_dscnt 0x0
	v_add_f64_e64 v[22:23], v[22:23], -v[109:110]
	ds_bpermute_b32 v109, v1, v70 offset:12
	ds_bpermute_b32 v110, v1, v71 offset:12
	v_mul_f64_e32 v[20:21], v[4:5], v[20:21]
	s_wait_dscnt 0x0
	v_add_f64_e64 v[24:25], v[24:25], -v[109:110]
	v_fma_f64 v[18:19], v[18:19], v[111:112], v[34:35]
	ds_bpermute_b32 v111, v1, v68 offset:4
	ds_bpermute_b32 v112, v1, v69 offset:4
	v_add_f64_e32 v[2:3], v[4:5], v[2:3]
	v_mul_f64_e32 v[4:5], v[6:7], v[22:23]
	ds_bpermute_b32 v22, v1, v68 offset:8
	ds_bpermute_b32 v23, v1, v69 offset:8
	v_mul_f64_e32 v[24:25], v[8:9], v[24:25]
	s_wait_dscnt 0x2
	v_fma_f64 v[18:19], v[20:21], v[111:112], v[18:19]
	ds_bpermute_b32 v20, v1, v70 offset:16
	ds_bpermute_b32 v21, v1, v71 offset:16
	v_add_f64_e32 v[2:3], v[6:7], v[2:3]
	ds_bpermute_b32 v6, v1, v70 offset:20
	ds_bpermute_b32 v7, v1, v71 offset:20
	s_wait_dscnt 0x2
	v_add_f64_e64 v[20:21], v[26:27], -v[20:21]
	s_wait_dscnt 0x0
	v_add_f64_e64 v[6:7], v[28:29], -v[6:7]
	v_fma_f64 v[4:5], v[4:5], v[22:23], v[18:19]
	ds_bpermute_b32 v18, v1, v68 offset:12
	ds_bpermute_b32 v19, v1, v69 offset:12
	v_add_f64_e32 v[2:3], v[8:9], v[2:3]
	ds_bpermute_b32 v8, v1, v70 offset:24
	ds_bpermute_b32 v9, v1, v71 offset:24
	;; [unrolled: 1-line block ×4, first 2 shown]
	v_mul_f64_e32 v[20:21], v[10:11], v[20:21]
	s_wait_dscnt 0x2
	v_add_f64_e64 v[8:9], v[30:31], -v[8:9]
	v_mul_f64_e32 v[6:7], v[12:13], v[6:7]
	v_fma_f64 v[4:5], v[24:25], v[18:19], v[4:5]
	ds_bpermute_b32 v18, v1, v68 offset:16
	ds_bpermute_b32 v19, v1, v69 offset:16
	v_add_f64_e32 v[2:3], v[10:11], v[2:3]
	s_wait_dscnt 0x2
	v_add_f64_e64 v[10:11], v[32:33], -v[22:23]
	v_mul_f64_e32 v[8:9], v[14:15], v[8:9]
	s_wait_dscnt 0x0
	v_fma_f64 v[4:5], v[20:21], v[18:19], v[4:5]
	ds_bpermute_b32 v18, v1, v68 offset:20
	ds_bpermute_b32 v19, v1, v69 offset:20
	v_add_f64_e32 v[2:3], v[12:13], v[2:3]
	v_mul_f64_e32 v[10:11], v[16:17], v[10:11]
	ds_bpermute_b32 v12, v1, v68 offset:28
	ds_bpermute_b32 v13, v1, v69 offset:28
	s_wait_dscnt 0x2
	v_fma_f64 v[4:5], v[6:7], v[18:19], v[4:5]
	ds_bpermute_b32 v6, v1, v68 offset:24
	ds_bpermute_b32 v7, v1, v69 offset:24
	v_add_f64_e32 v[2:3], v[14:15], v[2:3]
	s_wait_dscnt 0x0
	v_fma_f64 v[6:7], v[8:9], v[6:7], v[4:5]
	v_mul_f64_e32 v[4:5], v[10:11], v[12:13]
.LBB46_77:                              ;   in Loop: Header=BB46_55 Depth=1
	s_wait_alu 0xfffe
	s_and_b32 vcc_lo, exec_lo, s2
	s_wait_alu 0xfffe
	s_cbranch_vccz .LBB46_54
; %bb.78:                               ;   in Loop: Header=BB46_55 Depth=1
	s_load_b32 s2, s[8:9], 0x0
	v_mov_b32_e32 v4, 0
	v_mov_b32_e32 v5, 0
	s_wait_kmcnt 0x0
	s_cmp_lt_u32 ttmp9, s2
	s_cselect_b32 s2, 12, 18
	s_wait_alu 0xfffe
	s_add_nc_u64 s[22:23], s[8:9], s[2:3]
	s_load_u16 s2, s[22:23], 0x0
	s_wait_kmcnt 0x0
	v_mad_u32_u24 v2, v72, s2, v74
	s_mov_b32 s2, exec_lo
	s_delay_alu instid0(VALU_DEP_1) | instskip(SKIP_2) | instid1(VALU_DEP_3)
	v_and_b32_e32 v6, 31, v2
	v_mov_b32_e32 v2, 0
	v_mov_b32_e32 v3, 0
	v_cmpx_gt_u32_e32 8, v6
	s_cbranch_execz .LBB46_53
; %bb.79:                               ;   in Loop: Header=BB46_55 Depth=1
	v_add_co_u32 v2, vcc_lo, v107, v6
	s_wait_alu 0xfffd
	v_add_co_ci_u32_e64 v3, null, 0, v108, vcc_lo
	v_mov_b32_e32 v4, 0
	s_delay_alu instid0(VALU_DEP_3) | instskip(SKIP_1) | instid1(VALU_DEP_3)
	v_add_co_u32 v6, vcc_lo, 0xffffff01, v2
	s_wait_alu 0xfffd
	v_add_co_ci_u32_e64 v7, null, -1, v3, vcc_lo
	v_dual_mov_b32 v5, 0 :: v_dual_mov_b32 v2, 0
	v_mov_b32_e32 v3, 0
	s_mov_b32 s22, exec_lo
	s_delay_alu instid0(VALU_DEP_3)
	v_cmpx_gt_i64_e64 s[4:5], v[6:7]
	s_cbranch_execz .LBB46_52
; %bb.80:                               ;   in Loop: Header=BB46_55 Depth=1
	v_lshlrev_b64_e32 v[2:3], 3, v[6:7]
	s_delay_alu instid0(VALU_DEP_1) | instskip(SKIP_1) | instid1(VALU_DEP_2)
	v_add_co_u32 v4, vcc_lo, s12, v2
	s_wait_alu 0xfffd
	v_add_co_ci_u32_e64 v5, null, s13, v3, vcc_lo
	v_add_co_u32 v2, vcc_lo, s14, v2
	s_wait_alu 0xfffd
	v_add_co_ci_u32_e64 v3, null, s15, v3, vcc_lo
	global_load_b64 v[4:5], v[4:5], off
	global_load_b64 v[2:3], v[2:3], off
	s_branch .LBB46_52
.LBB46_81:
	v_and_b32_e32 v10, 0x3ff, v0
	v_bfe_u32 v1, v0, 10, 10
	v_bfe_u32 v0, v0, 5, 5
	s_mov_b32 s3, 0
	s_mov_b32 s2, exec_lo
	s_delay_alu instid0(VALU_DEP_2) | instskip(NEXT) | instid1(VALU_DEP_2)
	v_mad_u32_u24 v2, v1, 33, v10
	v_add_nc_u32_e32 v8, v0, v1
	s_delay_alu instid0(VALU_DEP_2)
	v_lshl_add_u32 v0, v2, 3, 0
	ds_store_b64 v0, v[34:35]
	ds_store_b64 v0, v[36:37] offset:8448
	s_wait_dscnt 0x0
	s_barrier_signal -1
	s_barrier_wait -1
	global_inv scope:SCOPE_SE
	v_cmpx_gt_u32_e32 32, v8
	s_cbranch_execz .LBB46_87
; %bb.82:
	s_mov_b32 s2, ttmp9
	v_mbcnt_lo_u32_b32 v9, -1, 0
	s_wait_alu 0xfffe
	s_lshl_b64 s[2:3], s[2:3], 5
	v_and_b32_e32 v0, 31, v10
	s_delay_alu instid0(VALU_DEP_2) | instskip(NEXT) | instid1(VALU_DEP_2)
	v_xor_b32_e32 v4, 16, v9
	v_mad_u32_u24 v0, v0, 33, v8
	s_wait_alu 0xfffe
	v_or_b32_e32 v8, s2, v8
	v_cmp_eq_u32_e64 s2, 0, v10
	v_cmp_gt_i32_e32 vcc_lo, 32, v4
	v_lshl_add_u32 v2, v0, 3, 0
	ds_load_b64 v[0:1], v2
	ds_load_b64 v[2:3], v2 offset:8448
	s_wait_alu 0xfffd
	v_cndmask_b32_e32 v4, v9, v4, vcc_lo
	s_delay_alu instid0(VALU_DEP_1)
	v_lshlrev_b32_e32 v7, 2, v4
	s_wait_dscnt 0x1
	ds_bpermute_b32 v4, v7, v0
	ds_bpermute_b32 v5, v7, v1
	s_wait_dscnt 0x2
	ds_bpermute_b32 v6, v7, v2
	ds_bpermute_b32 v7, v7, v3
	s_wait_dscnt 0x2
	v_add_f64_e32 v[0:1], v[0:1], v[4:5]
	v_xor_b32_e32 v4, 8, v9
	s_wait_dscnt 0x0
	v_add_f64_e32 v[2:3], v[2:3], v[6:7]
	s_delay_alu instid0(VALU_DEP_2) | instskip(SKIP_2) | instid1(VALU_DEP_1)
	v_cmp_gt_i32_e32 vcc_lo, 32, v4
	s_wait_alu 0xfffd
	v_cndmask_b32_e32 v4, v9, v4, vcc_lo
	v_lshlrev_b32_e32 v7, 2, v4
	ds_bpermute_b32 v4, v7, v0
	ds_bpermute_b32 v5, v7, v1
	ds_bpermute_b32 v6, v7, v2
	ds_bpermute_b32 v7, v7, v3
	s_wait_dscnt 0x2
	v_add_f64_e32 v[0:1], v[0:1], v[4:5]
	v_xor_b32_e32 v4, 4, v9
	s_wait_dscnt 0x0
	v_add_f64_e32 v[2:3], v[2:3], v[6:7]
	s_delay_alu instid0(VALU_DEP_2) | instskip(SKIP_2) | instid1(VALU_DEP_1)
	v_cmp_gt_i32_e32 vcc_lo, 32, v4
	s_wait_alu 0xfffd
	v_cndmask_b32_e32 v4, v9, v4, vcc_lo
	v_lshlrev_b32_e32 v7, 2, v4
	ds_bpermute_b32 v4, v7, v0
	ds_bpermute_b32 v5, v7, v1
	;; [unrolled: 14-line block ×3, first 2 shown]
	ds_bpermute_b32 v6, v7, v2
	ds_bpermute_b32 v7, v7, v3
	s_wait_dscnt 0x2
	v_add_f64_e32 v[4:5], v[0:1], v[4:5]
	s_wait_dscnt 0x0
	v_add_f64_e32 v[0:1], v[2:3], v[6:7]
	v_xor_b32_e32 v2, 1, v9
	s_delay_alu instid0(VALU_DEP_1) | instskip(SKIP_2) | instid1(VALU_DEP_1)
	v_cmp_gt_i32_e32 vcc_lo, 32, v2
	s_wait_alu 0xfffd
	v_dual_cndmask_b32 v2, v9, v2 :: v_dual_mov_b32 v9, s3
	v_lshlrev_b32_e32 v3, 2, v2
	s_delay_alu instid0(VALU_DEP_2)
	v_cmp_gt_i64_e32 vcc_lo, s[6:7], v[8:9]
	s_and_b32 s2, s2, vcc_lo
	ds_bpermute_b32 v6, v3, v4
	ds_bpermute_b32 v7, v3, v5
	;; [unrolled: 1-line block ×4, first 2 shown]
	s_wait_alu 0xfffe
	s_and_b32 exec_lo, exec_lo, s2
	s_cbranch_execz .LBB46_87
; %bb.83:
	s_load_b128 s[0:3], s[0:1], 0x30
	v_lshlrev_b64_e32 v[8:9], 3, v[8:9]
	s_wait_kmcnt 0x0
	s_cmp_eq_u64 s[0:1], 0
	s_cbranch_scc1 .LBB46_85
; %bb.84:
	s_wait_dscnt 0x2
	v_add_f64_e32 v[4:5], v[4:5], v[6:7]
	v_add_co_u32 v6, vcc_lo, s0, v8
	s_wait_alu 0xfffd
	v_add_co_ci_u32_e64 v7, null, s1, v9, vcc_lo
	global_store_b64 v[6:7], v[4:5], off
.LBB46_85:
	s_cmp_eq_u64 s[2:3], 0
	s_cbranch_scc1 .LBB46_87
; %bb.86:
	s_wait_dscnt 0x0
	v_add_f64_e32 v[0:1], v[0:1], v[2:3]
	v_add_co_u32 v2, vcc_lo, s2, v8
	s_wait_alu 0xfffd
	v_add_co_ci_u32_e64 v3, null, s3, v9, vcc_lo
	global_store_b64 v[2:3], v[0:1], off
.LBB46_87:
	s_nop 0
	s_sendmsg sendmsg(MSG_DEALLOC_VGPRS)
	s_endpgm
	.section	.rodata,"a",@progbits
	.p2align	6, 0x0
	.amdhsa_kernel _ZN2at6native12_GLOBAL__N_135GammaBetaBackwardCUDAKernelTemplateIddLj32ELj32ELj256ELb0ELb0ELb0EEEvllPKT_S5_PKT0_S8_PS3_S9_
		.amdhsa_group_segment_fixed_size 0
		.amdhsa_private_segment_fixed_size 0
		.amdhsa_kernarg_size 320
		.amdhsa_user_sgpr_count 2
		.amdhsa_user_sgpr_dispatch_ptr 0
		.amdhsa_user_sgpr_queue_ptr 0
		.amdhsa_user_sgpr_kernarg_segment_ptr 1
		.amdhsa_user_sgpr_dispatch_id 0
		.amdhsa_user_sgpr_private_segment_size 0
		.amdhsa_wavefront_size32 1
		.amdhsa_uses_dynamic_stack 0
		.amdhsa_enable_private_segment 0
		.amdhsa_system_sgpr_workgroup_id_x 1
		.amdhsa_system_sgpr_workgroup_id_y 1
		.amdhsa_system_sgpr_workgroup_id_z 0
		.amdhsa_system_sgpr_workgroup_info 0
		.amdhsa_system_vgpr_workitem_id 1
		.amdhsa_next_free_vgpr 113
		.amdhsa_next_free_sgpr 36
		.amdhsa_reserve_vcc 1
		.amdhsa_float_round_mode_32 0
		.amdhsa_float_round_mode_16_64 0
		.amdhsa_float_denorm_mode_32 3
		.amdhsa_float_denorm_mode_16_64 3
		.amdhsa_fp16_overflow 0
		.amdhsa_workgroup_processor_mode 1
		.amdhsa_memory_ordered 1
		.amdhsa_forward_progress 1
		.amdhsa_inst_pref_size 88
		.amdhsa_round_robin_scheduling 0
		.amdhsa_exception_fp_ieee_invalid_op 0
		.amdhsa_exception_fp_denorm_src 0
		.amdhsa_exception_fp_ieee_div_zero 0
		.amdhsa_exception_fp_ieee_overflow 0
		.amdhsa_exception_fp_ieee_underflow 0
		.amdhsa_exception_fp_ieee_inexact 0
		.amdhsa_exception_int_div_zero 0
	.end_amdhsa_kernel
	.section	.text._ZN2at6native12_GLOBAL__N_135GammaBetaBackwardCUDAKernelTemplateIddLj32ELj32ELj256ELb0ELb0ELb0EEEvllPKT_S5_PKT0_S8_PS3_S9_,"axG",@progbits,_ZN2at6native12_GLOBAL__N_135GammaBetaBackwardCUDAKernelTemplateIddLj32ELj32ELj256ELb0ELb0ELb0EEEvllPKT_S5_PKT0_S8_PS3_S9_,comdat
.Lfunc_end46:
	.size	_ZN2at6native12_GLOBAL__N_135GammaBetaBackwardCUDAKernelTemplateIddLj32ELj32ELj256ELb0ELb0ELb0EEEvllPKT_S5_PKT0_S8_PS3_S9_, .Lfunc_end46-_ZN2at6native12_GLOBAL__N_135GammaBetaBackwardCUDAKernelTemplateIddLj32ELj32ELj256ELb0ELb0ELb0EEEvllPKT_S5_PKT0_S8_PS3_S9_
                                        ; -- End function
	.set _ZN2at6native12_GLOBAL__N_135GammaBetaBackwardCUDAKernelTemplateIddLj32ELj32ELj256ELb0ELb0ELb0EEEvllPKT_S5_PKT0_S8_PS3_S9_.num_vgpr, 113
	.set _ZN2at6native12_GLOBAL__N_135GammaBetaBackwardCUDAKernelTemplateIddLj32ELj32ELj256ELb0ELb0ELb0EEEvllPKT_S5_PKT0_S8_PS3_S9_.num_agpr, 0
	.set _ZN2at6native12_GLOBAL__N_135GammaBetaBackwardCUDAKernelTemplateIddLj32ELj32ELj256ELb0ELb0ELb0EEEvllPKT_S5_PKT0_S8_PS3_S9_.numbered_sgpr, 36
	.set _ZN2at6native12_GLOBAL__N_135GammaBetaBackwardCUDAKernelTemplateIddLj32ELj32ELj256ELb0ELb0ELb0EEEvllPKT_S5_PKT0_S8_PS3_S9_.num_named_barrier, 0
	.set _ZN2at6native12_GLOBAL__N_135GammaBetaBackwardCUDAKernelTemplateIddLj32ELj32ELj256ELb0ELb0ELb0EEEvllPKT_S5_PKT0_S8_PS3_S9_.private_seg_size, 0
	.set _ZN2at6native12_GLOBAL__N_135GammaBetaBackwardCUDAKernelTemplateIddLj32ELj32ELj256ELb0ELb0ELb0EEEvllPKT_S5_PKT0_S8_PS3_S9_.uses_vcc, 1
	.set _ZN2at6native12_GLOBAL__N_135GammaBetaBackwardCUDAKernelTemplateIddLj32ELj32ELj256ELb0ELb0ELb0EEEvllPKT_S5_PKT0_S8_PS3_S9_.uses_flat_scratch, 0
	.set _ZN2at6native12_GLOBAL__N_135GammaBetaBackwardCUDAKernelTemplateIddLj32ELj32ELj256ELb0ELb0ELb0EEEvllPKT_S5_PKT0_S8_PS3_S9_.has_dyn_sized_stack, 0
	.set _ZN2at6native12_GLOBAL__N_135GammaBetaBackwardCUDAKernelTemplateIddLj32ELj32ELj256ELb0ELb0ELb0EEEvllPKT_S5_PKT0_S8_PS3_S9_.has_recursion, 0
	.set _ZN2at6native12_GLOBAL__N_135GammaBetaBackwardCUDAKernelTemplateIddLj32ELj32ELj256ELb0ELb0ELb0EEEvllPKT_S5_PKT0_S8_PS3_S9_.has_indirect_call, 0
	.section	.AMDGPU.csdata,"",@progbits
; Kernel info:
; codeLenInByte = 11260
; TotalNumSgprs: 38
; NumVgprs: 113
; ScratchSize: 0
; MemoryBound: 1
; FloatMode: 240
; IeeeMode: 1
; LDSByteSize: 0 bytes/workgroup (compile time only)
; SGPRBlocks: 0
; VGPRBlocks: 14
; NumSGPRsForWavesPerEU: 38
; NumVGPRsForWavesPerEU: 113
; Occupancy: 12
; WaveLimiterHint : 0
; COMPUTE_PGM_RSRC2:SCRATCH_EN: 0
; COMPUTE_PGM_RSRC2:USER_SGPR: 2
; COMPUTE_PGM_RSRC2:TRAP_HANDLER: 0
; COMPUTE_PGM_RSRC2:TGID_X_EN: 1
; COMPUTE_PGM_RSRC2:TGID_Y_EN: 1
; COMPUTE_PGM_RSRC2:TGID_Z_EN: 0
; COMPUTE_PGM_RSRC2:TIDIG_COMP_CNT: 1
	.section	.text._ZN2at6native12_GLOBAL__N_118cuComputeGradInputIffLb0EEEvPKT_S5_llPKT0_S8_S5_PS3_,"axG",@progbits,_ZN2at6native12_GLOBAL__N_118cuComputeGradInputIffLb0EEEvPKT_S5_llPKT0_S8_S5_PS3_,comdat
	.globl	_ZN2at6native12_GLOBAL__N_118cuComputeGradInputIffLb0EEEvPKT_S5_llPKT0_S8_S5_PS3_ ; -- Begin function _ZN2at6native12_GLOBAL__N_118cuComputeGradInputIffLb0EEEvPKT_S5_llPKT0_S8_S5_PS3_
	.p2align	8
	.type	_ZN2at6native12_GLOBAL__N_118cuComputeGradInputIffLb0EEEvPKT_S5_llPKT0_S8_S5_PS3_,@function
_ZN2at6native12_GLOBAL__N_118cuComputeGradInputIffLb0EEEvPKT_S5_llPKT0_S8_S5_PS3_: ; @_ZN2at6native12_GLOBAL__N_118cuComputeGradInputIffLb0EEEvPKT_S5_llPKT0_S8_S5_PS3_
; %bb.0:
	s_load_b128 s[16:19], s[0:1], 0x10
	s_mov_b32 s4, ttmp7
	s_ashr_i32 s5, ttmp7, 31
	s_wait_kmcnt 0x0
	v_cmp_le_i64_e64 s2, s[16:17], s[4:5]
	s_and_b32 vcc_lo, exec_lo, s2
	s_cbranch_vccnz .LBB47_47
; %bb.1:
	s_clause 0x1
	s_load_b32 s2, s[0:1], 0x4c
	s_load_b256 s[8:15], s[0:1], 0x20
	s_cls_i32 s3, s19
	v_bfe_u32 v12, v0, 10, 10
	s_clause 0x1
	s_load_b32 s35, s[0:1], 0x44
	s_load_b128 s[20:23], s[0:1], 0x0
	v_cmp_gt_i64_e64 s36, s[18:19], 0
	v_mbcnt_lo_u32_b32 v14, -1, 0
	s_mov_b32 s28, ttmp7
	v_cmp_eq_u32_e64 s0, 0, v12
	v_cmp_ne_u32_e64 s1, 0, v12
	v_cndmask_b32_e64 v13, 0, 1, s36
	s_wait_kmcnt 0x0
	s_lshr_b32 s29, s2, 16
	s_and_b32 s30, s2, 0xffff
	s_cmp_lg_u64 s[12:13], 0
	s_mul_i32 s37, s29, s30
	s_cselect_b32 s31, -1, 0
	s_cmp_gt_u32 s30, 1
	s_cselect_b32 s33, -1, 0
	s_cmp_gt_u32 s29, 1
	s_cselect_b32 s34, -1, 0
	s_xor_b32 s2, s18, s19
	s_add_co_i32 s3, s3, -1
	s_ashr_i32 s2, s2, 31
	s_wait_alu 0xfffe
	s_ashr_i32 s38, s37, 31
	s_add_co_i32 s2, s2, 32
	s_delay_alu instid0(SALU_CYCLE_1) | instskip(NEXT) | instid1(SALU_CYCLE_1)
	s_min_u32 s6, s3, s2
	s_lshl_b64 s[2:3], s[18:19], s6
	s_delay_alu instid0(SALU_CYCLE_1) | instskip(NEXT) | instid1(SALU_CYCLE_1)
	s_min_u32 s2, s2, 1
	s_or_b32 s2, s3, s2
	s_sub_co_i32 s3, 32, s6
	s_cvt_f32_i32 s2, s2
	s_delay_alu instid0(SALU_CYCLE_3) | instskip(NEXT) | instid1(VALU_DEP_1)
	v_ldexp_f32 v10, s2, s3
	v_div_scale_f32 v1, null, v10, v10, 1.0
	v_div_scale_f32 v4, vcc_lo, 1.0, v10, 1.0
	s_delay_alu instid0(VALU_DEP_2)
	v_rcp_f32_e32 v2, v1
	v_xor_b32_e32 v3, 0x80000000, v1
	s_delay_alu instid0(TRANS32_DEP_1) | instid1(VALU_DEP_1)
	v_fma_f32 v1, v3, v2, 1.0
	s_delay_alu instid0(VALU_DEP_1) | instskip(NEXT) | instid1(VALU_DEP_1)
	v_dual_fmac_f32 v2, v1, v2 :: v_dual_and_b32 v11, 0x3ff, v0
	v_mad_u32_u24 v0, v12, s30, v11
	v_dual_mov_b32 v1, 0 :: v_dual_lshlrev_b32 v6, 3, v11
	s_delay_alu instid0(VALU_DEP_2) | instskip(NEXT) | instid1(VALU_DEP_2)
	v_dual_mul_f32 v5, v4, v2 :: v_dual_lshlrev_b32 v8, 3, v0
	v_cmp_gt_i64_e64 s2, s[18:19], v[0:1]
	s_delay_alu instid0(VALU_DEP_3) | instskip(NEXT) | instid1(VALU_DEP_3)
	v_add_nc_u32_e32 v17, 0, v6
	v_fma_f32 v7, v3, v5, v4
	s_delay_alu instid0(VALU_DEP_4) | instskip(NEXT) | instid1(VALU_DEP_2)
	v_add_nc_u32_e32 v15, 0, v8
	v_fmac_f32_e32 v5, v7, v2
	s_delay_alu instid0(VALU_DEP_1) | instskip(NEXT) | instid1(VALU_DEP_1)
	v_dual_fmac_f32 v4, v3, v5 :: v_dual_add_nc_u32 v7, s37, v0
	v_ashrrev_i32_e32 v3, 31, v7
	s_delay_alu instid0(VALU_DEP_2) | instskip(SKIP_2) | instid1(VALU_DEP_3)
	v_div_fmas_f32 v4, v4, v2, v5
	v_sub_co_u32 v2, vcc_lo, v7, s37
	s_wait_alu 0xfffd
	v_subrev_co_ci_u32_e64 v3, null, s38, v3, vcc_lo
	s_delay_alu instid0(VALU_DEP_3)
	v_div_fixup_f32 v16, v4, v10, 1.0
	s_branch .LBB47_4
.LBB47_2:                               ;   in Loop: Header=BB47_4 Depth=1
	s_or_b32 exec_lo, exec_lo, s26
.LBB47_3:                               ;   in Loop: Header=BB47_4 Depth=1
	s_add_co_i32 s4, s35, s28
	s_wait_storecnt 0x0
	s_wait_loadcnt_dscnt 0x0
	s_wait_alu 0xfffe
	s_ashr_i32 s5, s4, 31
	s_mov_b32 s28, s4
	s_wait_alu 0xfffe
	v_cmp_le_i64_e64 s3, s[16:17], s[4:5]
	s_barrier_signal -1
	s_barrier_wait -1
	global_inv scope:SCOPE_SE
	s_and_b32 vcc_lo, exec_lo, s3
	s_wait_alu 0xfffe
	s_cbranch_vccnz .LBB47_47
.LBB47_4:                               ; =>This Loop Header: Depth=1
                                        ;     Child Loop BB47_8 Depth 2
                                        ;     Child Loop BB47_19 Depth 2
	;; [unrolled: 1-line block ×6, first 2 shown]
	s_lshl_b64 s[6:7], s[4:5], 2
	s_mul_u64 s[4:5], s[4:5], s[18:19]
	s_wait_alu 0xfffe
	s_add_nc_u64 s[24:25], s[8:9], s[6:7]
	s_add_nc_u64 s[6:7], s[10:11], s[6:7]
	s_load_b32 s39, s[24:25], 0x0
	s_load_b32 s40, s[6:7], 0x0
	v_cmp_ne_u32_e64 s3, 1, v13
	s_lshl_b64 s[26:27], s[4:5], 2
	s_and_not1_b32 vcc_lo, exec_lo, s31
	s_add_nc_u64 s[6:7], s[22:23], s[26:27]
	s_add_nc_u64 s[24:25], s[20:21], s[26:27]
	s_mov_b32 s4, -1
                                        ; implicit-def: $vgpr4
	s_wait_alu 0xfffe
	s_cbranch_vccnz .LBB47_15
; %bb.5:                                ;   in Loop: Header=BB47_4 Depth=1
	v_mov_b32_e32 v4, 0
	s_and_b32 vcc_lo, exec_lo, s3
	s_delay_alu instid0(VALU_DEP_1)
	v_mov_b32_e32 v5, v4
	s_wait_alu 0xfffe
	s_cbranch_vccnz .LBB47_14
; %bb.6:                                ;   in Loop: Header=BB47_4 Depth=1
	s_mov_b32 s4, 0
	s_branch .LBB47_8
.LBB47_7:                               ;   in Loop: Header=BB47_8 Depth=2
	s_wait_alu 0xfffe
	s_or_b32 exec_lo, exec_lo, s3
	s_wait_loadcnt 0x0
	s_wait_kmcnt 0x0
	v_dual_mul_f32 v6, v8, v9 :: v_dual_subrev_f32 v7, s39, v18
	s_add_co_i32 s4, s4, s37
	s_wait_alu 0xfffe
	s_ashr_i32 s5, s4, 31
	s_delay_alu instid0(VALU_DEP_1) | instskip(SKIP_2) | instid1(VALU_DEP_2)
	v_mul_f32_e32 v6, v7, v6
	s_wait_alu 0xfffe
	v_cmp_le_i64_e64 s3, s[18:19], s[4:5]
	v_dual_fmac_f32 v4, v8, v9 :: v_dual_fmac_f32 v5, s40, v6
	s_and_b32 vcc_lo, exec_lo, s3
	s_wait_alu 0xfffe
	s_cbranch_vccnz .LBB47_14
.LBB47_8:                               ;   Parent Loop BB47_4 Depth=1
                                        ; =>  This Inner Loop Header: Depth=2
	s_wait_alu 0xfffe
	v_add_nc_u32_e32 v6, s4, v0
	v_mov_b32_e32 v8, 0
	s_delay_alu instid0(VALU_DEP_2) | instskip(NEXT) | instid1(VALU_DEP_1)
	v_ashrrev_i32_e32 v7, 31, v6
	v_cmp_gt_i64_e32 vcc_lo, s[18:19], v[6:7]
	v_lshlrev_b64_e32 v[6:7], 2, v[6:7]
	s_and_saveexec_b32 s5, vcc_lo
	s_cbranch_execz .LBB47_10
; %bb.9:                                ;   in Loop: Header=BB47_8 Depth=2
	s_delay_alu instid0(VALU_DEP_1) | instskip(SKIP_1) | instid1(VALU_DEP_2)
	v_add_co_u32 v8, s3, s12, v6
	s_wait_alu 0xf1ff
	v_add_co_ci_u32_e64 v9, null, s13, v7, s3
	global_load_b32 v8, v[8:9], off
.LBB47_10:                              ;   in Loop: Header=BB47_8 Depth=2
	s_wait_alu 0xfffe
	s_or_b32 exec_lo, exec_lo, s5
	v_dual_mov_b32 v9, 0 :: v_dual_mov_b32 v18, 0
	s_and_saveexec_b32 s5, vcc_lo
	s_cbranch_execz .LBB47_12
; %bb.11:                               ;   in Loop: Header=BB47_8 Depth=2
	v_add_co_u32 v18, s3, s6, v6
	s_wait_alu 0xf1ff
	v_add_co_ci_u32_e64 v19, null, s7, v7, s3
	global_load_b32 v18, v[18:19], off
.LBB47_12:                              ;   in Loop: Header=BB47_8 Depth=2
	s_wait_alu 0xfffe
	s_or_b32 exec_lo, exec_lo, s5
	s_and_saveexec_b32 s3, vcc_lo
	s_cbranch_execz .LBB47_7
; %bb.13:                               ;   in Loop: Header=BB47_8 Depth=2
	v_add_co_u32 v6, vcc_lo, s24, v6
	s_wait_alu 0xfffd
	v_add_co_ci_u32_e64 v7, null, s25, v7, vcc_lo
	global_load_b32 v9, v[6:7], off
	s_branch .LBB47_7
.LBB47_14:                              ;   in Loop: Header=BB47_4 Depth=1
	s_mov_b32 s4, 0
.LBB47_15:                              ;   in Loop: Header=BB47_4 Depth=1
	s_wait_alu 0xfffe
	s_and_not1_b32 vcc_lo, exec_lo, s4
	s_wait_alu 0xfffe
	s_cbranch_vccnz .LBB47_23
; %bb.16:                               ;   in Loop: Header=BB47_4 Depth=1
	v_mov_b32_e32 v4, 0
	s_and_not1_b32 vcc_lo, exec_lo, s36
	s_delay_alu instid0(VALU_DEP_1)
	v_mov_b32_e32 v5, v4
	s_wait_alu 0xfffe
	s_cbranch_vccnz .LBB47_23
; %bb.17:                               ;   in Loop: Header=BB47_4 Depth=1
	s_mov_b32 s4, 0
	s_branch .LBB47_19
.LBB47_18:                              ;   in Loop: Header=BB47_19 Depth=2
	s_wait_alu 0xfffe
	s_or_b32 exec_lo, exec_lo, s3
	s_wait_loadcnt 0x0
	s_wait_kmcnt 0x0
	v_subrev_f32_e32 v6, s39, v8
	s_add_co_i32 s4, s4, s37
	s_wait_alu 0xfffe
	s_ashr_i32 s5, s4, 31
	s_wait_alu 0xfffe
	v_cmp_le_i64_e64 s3, s[18:19], s[4:5]
	v_mul_f32_e32 v6, v6, v9
	s_delay_alu instid0(VALU_DEP_1)
	v_dual_add_f32 v4, v4, v9 :: v_dual_fmac_f32 v5, s40, v6
	s_and_b32 vcc_lo, exec_lo, s3
	s_wait_alu 0xfffe
	s_cbranch_vccnz .LBB47_23
.LBB47_19:                              ;   Parent Loop BB47_4 Depth=1
                                        ; =>  This Inner Loop Header: Depth=2
	s_wait_alu 0xfffe
	v_add_nc_u32_e32 v6, s4, v0
	v_mov_b32_e32 v8, 0
	s_delay_alu instid0(VALU_DEP_2) | instskip(NEXT) | instid1(VALU_DEP_1)
	v_ashrrev_i32_e32 v7, 31, v6
	v_cmp_gt_i64_e32 vcc_lo, s[18:19], v[6:7]
	v_lshlrev_b64_e32 v[6:7], 2, v[6:7]
	s_and_saveexec_b32 s5, vcc_lo
	s_cbranch_execz .LBB47_21
; %bb.20:                               ;   in Loop: Header=BB47_19 Depth=2
	s_delay_alu instid0(VALU_DEP_1) | instskip(SKIP_1) | instid1(VALU_DEP_2)
	v_add_co_u32 v8, s3, s6, v6
	s_wait_alu 0xf1ff
	v_add_co_ci_u32_e64 v9, null, s7, v7, s3
	global_load_b32 v8, v[8:9], off
.LBB47_21:                              ;   in Loop: Header=BB47_19 Depth=2
	s_wait_alu 0xfffe
	s_or_b32 exec_lo, exec_lo, s5
	v_mov_b32_e32 v9, 0
	s_and_saveexec_b32 s3, vcc_lo
	s_cbranch_execz .LBB47_18
; %bb.22:                               ;   in Loop: Header=BB47_19 Depth=2
	v_add_co_u32 v6, vcc_lo, s24, v6
	s_wait_alu 0xfffd
	v_add_co_ci_u32_e64 v7, null, s25, v7, vcc_lo
	global_load_b32 v9, v[6:7], off
	s_branch .LBB47_18
.LBB47_23:                              ;   in Loop: Header=BB47_4 Depth=1
	s_and_not1_b32 vcc_lo, exec_lo, s33
	s_wait_alu 0xfffe
	s_cbranch_vccnz .LBB47_26
; %bb.24:                               ;   in Loop: Header=BB47_4 Depth=1
	s_mov_b32 s3, s30
.LBB47_25:                              ;   Parent Loop BB47_4 Depth=1
                                        ; =>  This Inner Loop Header: Depth=2
	s_wait_alu 0xfffe
	s_lshr_b32 s4, s3, 1
	s_cmp_lt_u32 s3, 4
	s_wait_alu 0xfffe
	v_xor_b32_e32 v6, s4, v14
	s_mov_b32 s3, s4
	s_delay_alu instid0(VALU_DEP_1) | instskip(SKIP_2) | instid1(VALU_DEP_1)
	v_cmp_gt_i32_e32 vcc_lo, 32, v6
	s_wait_alu 0xfffd
	v_cndmask_b32_e32 v6, v14, v6, vcc_lo
	v_lshlrev_b32_e32 v6, 2, v6
	ds_bpermute_b32 v7, v6, v4
	ds_bpermute_b32 v6, v6, v5
	s_wait_dscnt 0x0
	v_dual_add_f32 v4, v4, v7 :: v_dual_add_f32 v5, v5, v6
	s_cbranch_scc0 .LBB47_25
.LBB47_26:                              ;   in Loop: Header=BB47_4 Depth=1
	s_and_not1_b32 vcc_lo, exec_lo, s34
	s_mov_b32 s5, s29
	s_wait_alu 0xfffe
	s_cbranch_vccnz .LBB47_38
.LBB47_27:                              ;   Parent Loop BB47_4 Depth=1
                                        ; =>  This Inner Loop Header: Depth=2
	s_wait_alu 0xfffe
	s_lshr_b32 s41, s5, 1
	s_and_b32 s4, s5, 0xfffe
	s_wait_alu 0xfffe
	v_cmp_le_u32_e64 s3, s41, v12
	v_cmp_gt_u32_e64 s4, s4, v12
	v_cmp_gt_u32_e32 vcc_lo, s41, v12
	s_and_b32 s4, s3, s4
	s_wait_alu 0xfffe
	s_and_saveexec_b32 s3, s4
	s_cbranch_execz .LBB47_29
; %bb.28:                               ;   in Loop: Header=BB47_27 Depth=2
	v_subrev_nc_u32_e32 v6, s41, v12
	s_delay_alu instid0(VALU_DEP_1) | instskip(NEXT) | instid1(VALU_DEP_1)
	v_mad_u32_u24 v6, v6, s30, v11
	v_lshl_add_u32 v6, v6, 3, 0
	ds_store_b64 v6, v[4:5]
.LBB47_29:                              ;   in Loop: Header=BB47_27 Depth=2
	s_wait_alu 0xfffe
	s_or_b32 exec_lo, exec_lo, s3
	s_wait_dscnt 0x0
	s_barrier_signal -1
	s_barrier_wait -1
	global_inv scope:SCOPE_SE
	s_and_saveexec_b32 s3, vcc_lo
	s_cbranch_execz .LBB47_31
; %bb.30:                               ;   in Loop: Header=BB47_27 Depth=2
	ds_load_b64 v[6:7], v15
	s_wait_dscnt 0x0
	v_dual_add_f32 v4, v4, v6 :: v_dual_add_f32 v5, v5, v7
.LBB47_31:                              ;   in Loop: Header=BB47_27 Depth=2
	s_wait_alu 0xfffe
	s_or_b32 exec_lo, exec_lo, s3
	s_cmp_lt_u32 s5, 4
	s_wait_loadcnt 0x0
	s_barrier_signal -1
	s_barrier_wait -1
	global_inv scope:SCOPE_SE
	s_cbranch_scc1 .LBB47_33
; %bb.32:                               ;   in Loop: Header=BB47_27 Depth=2
	s_mov_b32 s5, s41
	s_branch .LBB47_27
.LBB47_33:                              ;   in Loop: Header=BB47_4 Depth=1
	s_and_saveexec_b32 s3, s0
; %bb.34:                               ;   in Loop: Header=BB47_4 Depth=1
	ds_store_b64 v17, v[4:5]
; %bb.35:                               ;   in Loop: Header=BB47_4 Depth=1
	s_wait_alu 0xfffe
	s_or_b32 exec_lo, exec_lo, s3
	s_wait_loadcnt_dscnt 0x0
	s_barrier_signal -1
	s_barrier_wait -1
	global_inv scope:SCOPE_SE
	s_and_saveexec_b32 s3, s1
; %bb.36:                               ;   in Loop: Header=BB47_4 Depth=1
	ds_load_b64 v[4:5], v17
; %bb.37:                               ;   in Loop: Header=BB47_4 Depth=1
	s_wait_alu 0xfffe
	s_or_b32 exec_lo, exec_lo, s3
.LBB47_38:                              ;   in Loop: Header=BB47_4 Depth=1
	s_wait_kmcnt 0x0
	v_mul_f32_e32 v18, s40, v16
	s_and_not1_b32 vcc_lo, exec_lo, s31
	s_add_nc_u64 s[4:5], s[14:15], s[26:27]
	s_wait_alu 0xfffe
	s_cbranch_vccnz .LBB47_43
; %bb.39:                               ;   in Loop: Header=BB47_4 Depth=1
	s_and_saveexec_b32 s26, s2
	s_cbranch_execz .LBB47_42
; %bb.40:                               ;   in Loop: Header=BB47_4 Depth=1
	v_dual_mov_b32 v7, v3 :: v_dual_mov_b32 v6, v2
	v_dual_mov_b32 v9, v1 :: v_dual_mov_b32 v8, v0
	s_mov_b32 s27, 0
.LBB47_41:                              ;   Parent Loop BB47_4 Depth=1
                                        ; =>  This Inner Loop Header: Depth=2
	s_delay_alu instid0(VALU_DEP_1) | instskip(NEXT) | instid1(VALU_DEP_1)
	v_lshlrev_b64_e32 v[19:20], 2, v[8:9]
	v_add_co_u32 v8, vcc_lo, s6, v19
	s_wait_alu 0xfffd
	s_delay_alu instid0(VALU_DEP_2)
	v_add_co_ci_u32_e64 v9, null, s7, v20, vcc_lo
	v_add_co_u32 v21, vcc_lo, s24, v19
	s_wait_alu 0xfffd
	v_add_co_ci_u32_e64 v22, null, s25, v20, vcc_lo
	v_add_co_u32 v23, vcc_lo, s12, v19
	s_wait_alu 0xfffd
	v_add_co_ci_u32_e64 v24, null, s13, v20, vcc_lo
	global_load_b32 v21, v[21:22], off
	global_load_b32 v8, v[8:9], off
	;; [unrolled: 1-line block ×3, first 2 shown]
	v_add_co_u32 v6, vcc_lo, v6, s37
	s_wait_alu 0xfffd
	v_add_co_ci_u32_e64 v7, null, s38, v7, vcc_lo
	v_add_co_u32 v19, s3, s4, v19
	s_wait_alu 0xf1ff
	v_add_co_ci_u32_e64 v20, null, s5, v20, s3
	s_delay_alu instid0(VALU_DEP_3) | instskip(SKIP_4) | instid1(VALU_DEP_1)
	v_cmp_le_i64_e32 vcc_lo, s[18:19], v[6:7]
	s_or_b32 s27, vcc_lo, s27
	s_wait_loadcnt 0x1
	v_dual_mul_f32 v21, v21, v10 :: v_dual_subrev_f32 v8, s39, v8
	s_wait_loadcnt_dscnt 0x0
	v_fma_f32 v21, v21, v9, -v4
	s_delay_alu instid0(VALU_DEP_2) | instskip(SKIP_1) | instid1(VALU_DEP_2)
	v_mul_f32_e32 v8, s40, v8
	v_ashrrev_i32_e32 v9, 31, v6
	v_fma_f32 v8, -v5, v8, v21
	s_delay_alu instid0(VALU_DEP_1)
	v_mul_f32_e32 v21, v18, v8
	v_mov_b32_e32 v8, v6
	global_store_b32 v[19:20], v21, off
	s_and_not1_b32 exec_lo, exec_lo, s27
	s_cbranch_execnz .LBB47_41
.LBB47_42:                              ;   in Loop: Header=BB47_4 Depth=1
	s_or_b32 exec_lo, exec_lo, s26
	s_cbranch_execnz .LBB47_3
	s_branch .LBB47_44
.LBB47_43:                              ;   in Loop: Header=BB47_4 Depth=1
.LBB47_44:                              ;   in Loop: Header=BB47_4 Depth=1
	s_and_saveexec_b32 s26, s2
	s_cbranch_execz .LBB47_2
; %bb.45:                               ;   in Loop: Header=BB47_4 Depth=1
	v_dual_mov_b32 v7, v3 :: v_dual_mov_b32 v6, v2
	v_dual_mov_b32 v9, v1 :: v_dual_mov_b32 v8, v0
	s_mov_b32 s27, 0
.LBB47_46:                              ;   Parent Loop BB47_4 Depth=1
                                        ; =>  This Inner Loop Header: Depth=2
	s_delay_alu instid0(VALU_DEP_1) | instskip(NEXT) | instid1(VALU_DEP_1)
	v_lshlrev_b64_e32 v[19:20], 2, v[8:9]
	v_add_co_u32 v8, vcc_lo, s6, v19
	s_wait_alu 0xfffd
	s_delay_alu instid0(VALU_DEP_2)
	v_add_co_ci_u32_e64 v9, null, s7, v20, vcc_lo
	v_add_co_u32 v21, vcc_lo, s24, v19
	s_wait_alu 0xfffd
	v_add_co_ci_u32_e64 v22, null, s25, v20, vcc_lo
	global_load_b32 v8, v[8:9], off
	global_load_b32 v9, v[21:22], off
	v_add_co_u32 v6, vcc_lo, v6, s37
	s_wait_alu 0xfffd
	v_add_co_ci_u32_e64 v7, null, s38, v7, vcc_lo
	v_add_co_u32 v19, s3, s4, v19
	s_wait_alu 0xf1ff
	v_add_co_ci_u32_e64 v20, null, s5, v20, s3
	s_delay_alu instid0(VALU_DEP_3)
	v_cmp_le_i64_e32 vcc_lo, s[18:19], v[6:7]
	s_or_b32 s27, vcc_lo, s27
	s_wait_loadcnt 0x1
	v_subrev_f32_e32 v8, s39, v8
	s_wait_loadcnt_dscnt 0x0
	v_fma_f32 v21, v9, v10, -v4
	v_ashrrev_i32_e32 v9, 31, v6
	s_delay_alu instid0(VALU_DEP_3) | instskip(NEXT) | instid1(VALU_DEP_1)
	v_mul_f32_e32 v8, s40, v8
	v_fma_f32 v8, -v5, v8, v21
	s_delay_alu instid0(VALU_DEP_1)
	v_mul_f32_e32 v21, v18, v8
	v_mov_b32_e32 v8, v6
	global_store_b32 v[19:20], v21, off
	s_and_not1_b32 exec_lo, exec_lo, s27
	s_cbranch_execnz .LBB47_46
	s_branch .LBB47_2
.LBB47_47:
	s_endpgm
	.section	.rodata,"a",@progbits
	.p2align	6, 0x0
	.amdhsa_kernel _ZN2at6native12_GLOBAL__N_118cuComputeGradInputIffLb0EEEvPKT_S5_llPKT0_S8_S5_PS3_
		.amdhsa_group_segment_fixed_size 0
		.amdhsa_private_segment_fixed_size 0
		.amdhsa_kernarg_size 320
		.amdhsa_user_sgpr_count 2
		.amdhsa_user_sgpr_dispatch_ptr 0
		.amdhsa_user_sgpr_queue_ptr 0
		.amdhsa_user_sgpr_kernarg_segment_ptr 1
		.amdhsa_user_sgpr_dispatch_id 0
		.amdhsa_user_sgpr_private_segment_size 0
		.amdhsa_wavefront_size32 1
		.amdhsa_uses_dynamic_stack 0
		.amdhsa_enable_private_segment 0
		.amdhsa_system_sgpr_workgroup_id_x 1
		.amdhsa_system_sgpr_workgroup_id_y 1
		.amdhsa_system_sgpr_workgroup_id_z 0
		.amdhsa_system_sgpr_workgroup_info 0
		.amdhsa_system_vgpr_workitem_id 1
		.amdhsa_next_free_vgpr 25
		.amdhsa_next_free_sgpr 42
		.amdhsa_reserve_vcc 1
		.amdhsa_float_round_mode_32 0
		.amdhsa_float_round_mode_16_64 0
		.amdhsa_float_denorm_mode_32 3
		.amdhsa_float_denorm_mode_16_64 3
		.amdhsa_fp16_overflow 0
		.amdhsa_workgroup_processor_mode 1
		.amdhsa_memory_ordered 1
		.amdhsa_forward_progress 1
		.amdhsa_inst_pref_size 16
		.amdhsa_round_robin_scheduling 0
		.amdhsa_exception_fp_ieee_invalid_op 0
		.amdhsa_exception_fp_denorm_src 0
		.amdhsa_exception_fp_ieee_div_zero 0
		.amdhsa_exception_fp_ieee_overflow 0
		.amdhsa_exception_fp_ieee_underflow 0
		.amdhsa_exception_fp_ieee_inexact 0
		.amdhsa_exception_int_div_zero 0
	.end_amdhsa_kernel
	.section	.text._ZN2at6native12_GLOBAL__N_118cuComputeGradInputIffLb0EEEvPKT_S5_llPKT0_S8_S5_PS3_,"axG",@progbits,_ZN2at6native12_GLOBAL__N_118cuComputeGradInputIffLb0EEEvPKT_S5_llPKT0_S8_S5_PS3_,comdat
.Lfunc_end47:
	.size	_ZN2at6native12_GLOBAL__N_118cuComputeGradInputIffLb0EEEvPKT_S5_llPKT0_S8_S5_PS3_, .Lfunc_end47-_ZN2at6native12_GLOBAL__N_118cuComputeGradInputIffLb0EEEvPKT_S5_llPKT0_S8_S5_PS3_
                                        ; -- End function
	.set _ZN2at6native12_GLOBAL__N_118cuComputeGradInputIffLb0EEEvPKT_S5_llPKT0_S8_S5_PS3_.num_vgpr, 25
	.set _ZN2at6native12_GLOBAL__N_118cuComputeGradInputIffLb0EEEvPKT_S5_llPKT0_S8_S5_PS3_.num_agpr, 0
	.set _ZN2at6native12_GLOBAL__N_118cuComputeGradInputIffLb0EEEvPKT_S5_llPKT0_S8_S5_PS3_.numbered_sgpr, 42
	.set _ZN2at6native12_GLOBAL__N_118cuComputeGradInputIffLb0EEEvPKT_S5_llPKT0_S8_S5_PS3_.num_named_barrier, 0
	.set _ZN2at6native12_GLOBAL__N_118cuComputeGradInputIffLb0EEEvPKT_S5_llPKT0_S8_S5_PS3_.private_seg_size, 0
	.set _ZN2at6native12_GLOBAL__N_118cuComputeGradInputIffLb0EEEvPKT_S5_llPKT0_S8_S5_PS3_.uses_vcc, 1
	.set _ZN2at6native12_GLOBAL__N_118cuComputeGradInputIffLb0EEEvPKT_S5_llPKT0_S8_S5_PS3_.uses_flat_scratch, 0
	.set _ZN2at6native12_GLOBAL__N_118cuComputeGradInputIffLb0EEEvPKT_S5_llPKT0_S8_S5_PS3_.has_dyn_sized_stack, 0
	.set _ZN2at6native12_GLOBAL__N_118cuComputeGradInputIffLb0EEEvPKT_S5_llPKT0_S8_S5_PS3_.has_recursion, 0
	.set _ZN2at6native12_GLOBAL__N_118cuComputeGradInputIffLb0EEEvPKT_S5_llPKT0_S8_S5_PS3_.has_indirect_call, 0
	.section	.AMDGPU.csdata,"",@progbits
; Kernel info:
; codeLenInByte = 2020
; TotalNumSgprs: 44
; NumVgprs: 25
; ScratchSize: 0
; MemoryBound: 0
; FloatMode: 240
; IeeeMode: 1
; LDSByteSize: 0 bytes/workgroup (compile time only)
; SGPRBlocks: 0
; VGPRBlocks: 3
; NumSGPRsForWavesPerEU: 44
; NumVGPRsForWavesPerEU: 25
; Occupancy: 16
; WaveLimiterHint : 0
; COMPUTE_PGM_RSRC2:SCRATCH_EN: 0
; COMPUTE_PGM_RSRC2:USER_SGPR: 2
; COMPUTE_PGM_RSRC2:TRAP_HANDLER: 0
; COMPUTE_PGM_RSRC2:TGID_X_EN: 1
; COMPUTE_PGM_RSRC2:TGID_Y_EN: 1
; COMPUTE_PGM_RSRC2:TGID_Z_EN: 0
; COMPUTE_PGM_RSRC2:TIDIG_COMP_CNT: 1
	.section	.text._ZN2at6native12_GLOBAL__N_128layer_norm_grad_input_kernelIffLb0EEEvPKT_S5_PKT0_S8_S5_PS3_i,"axG",@progbits,_ZN2at6native12_GLOBAL__N_128layer_norm_grad_input_kernelIffLb0EEEvPKT_S5_PKT0_S8_S5_PS3_i,comdat
	.globl	_ZN2at6native12_GLOBAL__N_128layer_norm_grad_input_kernelIffLb0EEEvPKT_S5_PKT0_S8_S5_PS3_i ; -- Begin function _ZN2at6native12_GLOBAL__N_128layer_norm_grad_input_kernelIffLb0EEEvPKT_S5_PKT0_S8_S5_PS3_i
	.p2align	8
	.type	_ZN2at6native12_GLOBAL__N_128layer_norm_grad_input_kernelIffLb0EEEvPKT_S5_PKT0_S8_S5_PS3_i,@function
_ZN2at6native12_GLOBAL__N_128layer_norm_grad_input_kernelIffLb0EEEvPKT_S5_PKT0_S8_S5_PS3_i: ; @_ZN2at6native12_GLOBAL__N_128layer_norm_grad_input_kernelIffLb0EEEvPKT_S5_PKT0_S8_S5_PS3_i
; %bb.0:
	s_clause 0x1
	s_load_b256 s[4:11], s[0:1], 0x0
	s_load_b32 s12, s[0:1], 0x30
	s_mov_b32 s2, ttmp9
	s_mov_b32 s3, 0
	s_load_b64 s[14:15], s[0:1], 0x20
	s_lshl_b64 s[16:17], s[2:3], 2
	v_dual_mov_b32 v10, 0 :: v_dual_lshlrev_b32 v1, 2, v0
	v_mov_b32_e32 v9, 0
	s_delay_alu instid0(VALU_DEP_2)
	v_or_b32_e32 v2, 3, v1
	s_wait_kmcnt 0x0
	s_add_nc_u64 s[8:9], s[8:9], s[16:17]
	s_add_nc_u64 s[10:11], s[10:11], s[16:17]
	s_load_b32 s18, s[8:9], 0x0
	s_load_b32 s19, s[10:11], 0x0
	s_ashr_i32 s13, s12, 31
	s_delay_alu instid0(SALU_CYCLE_1) | instskip(SKIP_2) | instid1(SALU_CYCLE_1)
	s_mul_u64 s[8:9], s[12:13], s[2:3]
	s_mov_b32 s2, exec_lo
	s_lshl_b64 s[16:17], s[8:9], 2
	s_add_nc_u64 s[8:9], s[6:7], s[16:17]
	s_add_nc_u64 s[10:11], s[4:5], s[16:17]
	v_cmpx_gt_u32_e64 s12, v2
	s_cbranch_execz .LBB48_12
; %bb.1:
	s_load_b32 s20, s[0:1], 0x44
	s_cmp_lg_u64 s[14:15], 0
	v_dual_mov_b32 v2, 0 :: v_dual_mov_b32 v9, 0
	v_mov_b32_e32 v10, 0
	s_cselect_b32 s13, -1, 0
	s_wait_kmcnt 0x0
	s_and_b32 s20, s20, 0xffff
	s_delay_alu instid0(SALU_CYCLE_1)
	s_lshl_b32 s20, s20, 2
	s_branch .LBB48_3
.LBB48_2:                               ;   in Loop: Header=BB48_3 Depth=1
	global_load_b32 v5, v[5:6], off offset:12
	global_load_b32 v3, v[3:4], off offset:12
	s_wait_loadcnt 0x4
	v_dual_mul_f32 v4, v12, v13 :: v_dual_mul_f32 v7, v11, v16
	v_subrev_f32_e32 v6, s18, v15
	v_dual_subrev_f32 v8, s18, v19 :: v_dual_add_nc_u32 v1, s20, v1
	s_delay_alu instid0(VALU_DEP_1) | instskip(SKIP_1) | instid1(VALU_DEP_1)
	v_dual_mul_f32 v4, v6, v4 :: v_dual_mul_f32 v7, v8, v7
	s_wait_loadcnt 0x2
	v_dual_mul_f32 v6, v17, v18 :: v_dual_fmac_f32 v9, s19, v4
	v_fmac_f32_e32 v10, v12, v13
	s_delay_alu instid0(VALU_DEP_2) | instskip(SKIP_1) | instid1(VALU_DEP_1)
	v_dual_subrev_f32 v12, s18, v20 :: v_dual_fmac_f32 v9, s19, v7
	v_add_nc_u32_e32 v7, 3, v1
	v_cmp_le_u32_e32 vcc_lo, s12, v7
	s_or_b32 s3, vcc_lo, s3
	s_wait_loadcnt 0x0
	v_dual_subrev_f32 v3, s18, v3 :: v_dual_mul_f32 v4, v12, v6
	s_delay_alu instid0(VALU_DEP_1) | instskip(NEXT) | instid1(VALU_DEP_1)
	v_dual_mul_f32 v6, v14, v5 :: v_dual_fmac_f32 v9, s19, v4
	v_mul_f32_e32 v3, v3, v6
	s_delay_alu instid0(VALU_DEP_1) | instskip(NEXT) | instid1(VALU_DEP_1)
	v_dual_fmac_f32 v10, v11, v16 :: v_dual_fmac_f32 v9, s19, v3
	v_fmac_f32_e32 v10, v17, v18
	s_delay_alu instid0(VALU_DEP_1)
	v_fmac_f32_e32 v10, v14, v5
	s_and_not1_b32 exec_lo, exec_lo, s3
	s_cbranch_execz .LBB48_11
.LBB48_3:                               ; =>This Inner Loop Header: Depth=1
	v_lshlrev_b64_e32 v[7:8], 2, v[1:2]
	v_dual_mov_b32 v11, 1.0 :: v_dual_mov_b32 v12, 1.0
	s_wait_alu 0xfffe
	s_and_b32 vcc_lo, exec_lo, s13
	s_wait_alu 0xfffe
	s_cbranch_vccz .LBB48_5
; %bb.4:                                ;   in Loop: Header=BB48_3 Depth=1
	v_add_co_u32 v3, vcc_lo, s14, v7
	s_wait_alu 0xfffd
	v_add_co_ci_u32_e64 v4, null, s15, v8, vcc_lo
	global_load_b32 v12, v[3:4], off
.LBB48_5:                               ;   in Loop: Header=BB48_3 Depth=1
	v_add_co_u32 v3, vcc_lo, s8, v7
	s_wait_alu 0xfffd
	v_add_co_ci_u32_e64 v4, null, s9, v8, vcc_lo
	v_add_co_u32 v5, vcc_lo, s10, v7
	s_wait_alu 0xfffd
	v_add_co_ci_u32_e64 v6, null, s11, v8, vcc_lo
	global_load_b32 v15, v[3:4], off
	global_load_b32 v13, v[5:6], off
	s_and_not1_b32 vcc_lo, exec_lo, s13
	s_wait_alu 0xfffe
	s_cbranch_vccnz .LBB48_7
; %bb.6:                                ;   in Loop: Header=BB48_3 Depth=1
	v_add_co_u32 v16, vcc_lo, s14, v7
	s_wait_alu 0xfffd
	v_add_co_ci_u32_e64 v17, null, s15, v8, vcc_lo
	global_load_b32 v11, v[16:17], off offset:4
.LBB48_7:                               ;   in Loop: Header=BB48_3 Depth=1
	global_load_b32 v19, v[3:4], off offset:4
	global_load_b32 v16, v[5:6], off offset:4
	v_dual_mov_b32 v14, 1.0 :: v_dual_mov_b32 v17, 1.0
	s_and_not1_b32 vcc_lo, exec_lo, s13
	s_wait_alu 0xfffe
	s_cbranch_vccnz .LBB48_9
; %bb.8:                                ;   in Loop: Header=BB48_3 Depth=1
	v_add_co_u32 v17, vcc_lo, s14, v7
	s_wait_alu 0xfffd
	v_add_co_ci_u32_e64 v18, null, s15, v8, vcc_lo
	global_load_b32 v17, v[17:18], off offset:8
.LBB48_9:                               ;   in Loop: Header=BB48_3 Depth=1
	global_load_b32 v20, v[3:4], off offset:8
	global_load_b32 v18, v[5:6], off offset:8
	s_and_not1_b32 vcc_lo, exec_lo, s13
	s_wait_alu 0xfffe
	s_cbranch_vccnz .LBB48_2
; %bb.10:                               ;   in Loop: Header=BB48_3 Depth=1
	v_add_co_u32 v7, vcc_lo, s14, v7
	s_wait_alu 0xfffd
	v_add_co_ci_u32_e64 v8, null, s15, v8, vcc_lo
	global_load_b32 v14, v[7:8], off offset:12
	s_branch .LBB48_2
.LBB48_11:
	s_or_b32 exec_lo, exec_lo, s3
.LBB48_12:
	s_delay_alu instid0(SALU_CYCLE_1) | instskip(NEXT) | instid1(SALU_CYCLE_1)
	s_or_b32 exec_lo, exec_lo, s2
	s_mov_b32 s3, exec_lo
	v_cmpx_gt_u32_e64 s12, v1
	s_cbranch_execz .LBB48_19
; %bb.13:
	v_mov_b32_e32 v2, 0
	s_cmp_lg_u64 s[14:15], 0
	s_delay_alu instid0(VALU_DEP_1) | instskip(NEXT) | instid1(VALU_DEP_1)
	v_lshlrev_b64_e32 v[2:3], 2, v[1:2]
	v_add_co_u32 v6, vcc_lo, s16, v2
	s_wait_alu 0xfffd
	s_delay_alu instid0(VALU_DEP_2)
	v_add_co_ci_u32_e64 v7, null, s17, v3, vcc_lo
	v_add_co_u32 v2, vcc_lo, s14, v2
	s_wait_alu 0xfffd
	v_add_co_ci_u32_e64 v3, null, s15, v3, vcc_lo
	v_add_co_u32 v4, vcc_lo, s6, v6
	s_wait_alu 0xfffd
	;; [unrolled: 3-line block ×3, first 2 shown]
	v_add_co_ci_u32_e64 v7, null, s5, v7, vcc_lo
	s_cselect_b32 s4, -1, 0
	s_mov_b32 s5, 0
	s_branch .LBB48_16
.LBB48_14:                              ;   in Loop: Header=BB48_16 Depth=1
	global_load_b32 v8, v[2:3], off
.LBB48_15:                              ;   in Loop: Header=BB48_16 Depth=1
	global_load_b32 v11, v[6:7], off
	global_load_b32 v12, v[4:5], off
	v_add_nc_u32_e32 v1, 1, v1
	v_add_co_u32 v2, vcc_lo, v2, 4
	s_wait_alu 0xfffd
	v_add_co_ci_u32_e64 v3, null, 0, v3, vcc_lo
	v_add_co_u32 v4, vcc_lo, v4, 4
	s_wait_alu 0xfffd
	v_add_co_ci_u32_e64 v5, null, 0, v5, vcc_lo
	v_add_co_u32 v6, s2, v6, 4
	s_wait_alu 0xf1ff
	v_add_co_ci_u32_e64 v7, null, 0, v7, s2
	s_wait_loadcnt 0x0
	s_wait_kmcnt 0x0
	v_dual_mul_f32 v13, v8, v11 :: v_dual_subrev_f32 v12, s18, v12
	v_cmp_le_u32_e32 vcc_lo, s12, v1
	s_delay_alu instid0(VALU_DEP_2) | instskip(SKIP_2) | instid1(VALU_DEP_2)
	v_mul_f32_e32 v12, v12, v13
	v_fmac_f32_e32 v10, v8, v11
	s_or_b32 s5, vcc_lo, s5
	v_fmac_f32_e32 v9, s19, v12
	s_wait_alu 0xfffe
	s_and_not1_b32 exec_lo, exec_lo, s5
	s_cbranch_execz .LBB48_18
.LBB48_16:                              ; =>This Inner Loop Header: Depth=1
	s_wait_alu 0xfffe
	s_and_not1_b32 vcc_lo, exec_lo, s4
	s_wait_alu 0xfffe
	s_cbranch_vccz .LBB48_14
; %bb.17:                               ;   in Loop: Header=BB48_16 Depth=1
	v_mov_b32_e32 v8, 1.0
	s_branch .LBB48_15
.LBB48_18:
	s_or_b32 exec_lo, exec_lo, s5
.LBB48_19:
	s_delay_alu instid0(SALU_CYCLE_1)
	s_or_b32 exec_lo, exec_lo, s3
	v_mbcnt_lo_u32_b32 v1, -1, 0
	s_barrier_signal -1
	s_barrier_wait -1
	global_inv scope:SCOPE_SE
	v_lshl_or_b32 v3, v1, 2, 64
	v_cmp_gt_u32_e32 vcc_lo, 24, v1
	ds_bpermute_b32 v2, v3, v10
	s_wait_alu 0xfffd
	v_cndmask_b32_e64 v4, 0, 8, vcc_lo
	v_cmp_gt_u32_e32 vcc_lo, 28, v1
	s_delay_alu instid0(VALU_DEP_2) | instskip(SKIP_3) | instid1(VALU_DEP_2)
	v_add_lshl_u32 v4, v4, v1, 2
	s_wait_alu 0xfffd
	v_cndmask_b32_e64 v5, 0, 4, vcc_lo
	v_cmp_gt_u32_e32 vcc_lo, 30, v1
	v_add_lshl_u32 v5, v5, v1, 2
	s_wait_dscnt 0x0
	v_add_f32_e32 v2, v10, v2
	ds_bpermute_b32 v6, v4, v2
	s_wait_dscnt 0x0
	v_add_f32_e32 v2, v2, v6
	s_wait_alu 0xfffd
	v_cndmask_b32_e64 v6, 0, 2, vcc_lo
	v_cmp_ne_u32_e32 vcc_lo, 31, v1
	ds_bpermute_b32 v7, v5, v2
	v_add_lshl_u32 v6, v6, v1, 2
	s_wait_alu 0xfffd
	v_add_co_ci_u32_e64 v8, null, 0, v1, vcc_lo
	s_wait_dscnt 0x0
	v_add_f32_e32 v2, v2, v7
	ds_bpermute_b32 v7, v6, v2
	s_wait_dscnt 0x0
	v_add_f32_e32 v1, v2, v7
	v_lshlrev_b32_e32 v7, 2, v8
	v_and_b32_e32 v8, 31, v0
	v_lshrrev_b32_e32 v2, 3, v0
	ds_bpermute_b32 v10, v7, v1
	v_cmp_eq_u32_e32 vcc_lo, 0, v8
	s_and_saveexec_b32 s2, vcc_lo
	s_cbranch_execz .LBB48_21
; %bb.20:
	v_add_nc_u32_e32 v11, 0, v2
	s_wait_dscnt 0x0
	v_add_f32_e32 v1, v1, v10
	ds_store_b32 v11, v1
.LBB48_21:
	s_wait_alu 0xfffe
	s_or_b32 exec_lo, exec_lo, s2
	s_wait_loadcnt_dscnt 0x0
	s_barrier_signal -1
	s_barrier_wait -1
	global_inv scope:SCOPE_SE
	s_load_b32 s4, s[0:1], 0x44
	v_mov_b32_e32 v1, 0
	v_lshl_add_u32 v8, v8, 2, 0
	s_wait_kmcnt 0x0
	s_bfe_u32 s2, s4, 0xb0005
	s_wait_alu 0xfffe
	v_cmp_gt_u32_e64 s2, s2, v0
	s_and_saveexec_b32 s3, s2
; %bb.22:
	ds_load_b32 v1, v8
; %bb.23:
	s_wait_alu 0xfffe
	s_or_b32 exec_lo, exec_lo, s3
	v_cmp_gt_u32_e64 s3, 32, v0
	s_and_saveexec_b32 s5, s3
	s_cbranch_execz .LBB48_25
; %bb.24:
	s_wait_dscnt 0x0
	ds_bpermute_b32 v10, v3, v1
	s_wait_dscnt 0x0
	v_add_f32_e32 v1, v1, v10
	ds_bpermute_b32 v10, v4, v1
	s_wait_dscnt 0x0
	v_add_f32_e32 v1, v1, v10
	;; [unrolled: 3-line block ×5, first 2 shown]
.LBB48_25:
	s_wait_alu 0xfffe
	s_or_b32 exec_lo, exec_lo, s5
	ds_bpermute_b32 v10, v3, v9
	s_wait_loadcnt_dscnt 0x0
	s_barrier_signal -1
	s_barrier_wait -1
	global_inv scope:SCOPE_SE
	v_add_f32_e32 v9, v9, v10
	ds_bpermute_b32 v10, v4, v9
	s_wait_dscnt 0x0
	v_add_f32_e32 v9, v9, v10
	ds_bpermute_b32 v10, v5, v9
	s_wait_dscnt 0x0
	v_add_f32_e32 v9, v9, v10
	ds_bpermute_b32 v10, v6, v9
	s_wait_dscnt 0x0
	v_add_f32_e32 v9, v9, v10
	ds_bpermute_b32 v10, v7, v9
	s_and_saveexec_b32 s5, vcc_lo
	s_cbranch_execz .LBB48_27
; %bb.26:
	v_add_nc_u32_e32 v2, 0, v2
	s_wait_dscnt 0x0
	v_add_f32_e32 v9, v9, v10
	ds_store_b32 v2, v9
.LBB48_27:
	s_wait_alu 0xfffe
	s_or_b32 exec_lo, exec_lo, s5
	v_mov_b32_e32 v2, 0
	s_wait_loadcnt_dscnt 0x0
	s_barrier_signal -1
	s_barrier_wait -1
	global_inv scope:SCOPE_SE
	s_and_saveexec_b32 s5, s2
; %bb.28:
	ds_load_b32 v2, v8
; %bb.29:
	s_wait_alu 0xfffe
	s_or_b32 exec_lo, exec_lo, s5
	s_and_saveexec_b32 s2, s3
	s_cbranch_execz .LBB48_31
; %bb.30:
	s_wait_dscnt 0x0
	ds_bpermute_b32 v3, v3, v2
	s_wait_dscnt 0x0
	v_add_f32_e32 v2, v2, v3
	ds_bpermute_b32 v3, v4, v2
	s_wait_dscnt 0x0
	v_add_f32_e32 v2, v2, v3
	ds_bpermute_b32 v3, v5, v2
	s_wait_dscnt 0x0
	v_add_f32_e32 v2, v2, v3
	ds_bpermute_b32 v3, v6, v2
	s_wait_dscnt 0x0
	v_add_f32_e32 v2, v2, v3
	ds_bpermute_b32 v3, v7, v2
	s_wait_dscnt 0x0
	v_add_f32_e32 v2, v2, v3
.LBB48_31:
	s_wait_alu 0xfffe
	s_or_b32 exec_lo, exec_lo, s2
	s_delay_alu instid0(SALU_CYCLE_1)
	s_mov_b32 s2, exec_lo
	v_cmpx_eq_u32_e32 0, v0
	s_cbranch_execz .LBB48_33
; %bb.32:
	v_mov_b32_e32 v3, 0
	s_wait_dscnt 0x0
	ds_store_b64 v3, v[1:2]
.LBB48_33:
	s_wait_alu 0xfffe
	s_or_b32 exec_lo, exec_lo, s2
	s_wait_loadcnt_dscnt 0x0
	s_barrier_signal -1
	s_barrier_wait -1
	global_inv scope:SCOPE_SE
	s_mov_b32 s2, exec_lo
	v_cmpx_gt_i32_e64 s12, v0
	s_cbranch_execz .LBB48_39
; %bb.34:
	s_cvt_f32_i32 s5, s12
	s_load_b64 s[2:3], s[0:1], 0x28
	s_and_b32 s1, 0xffff, s4
	s_cmp_lg_u64 s[14:15], 0
	v_div_scale_f32 v1, null, s5, s5, 1.0
	v_div_scale_f32 v5, vcc_lo, 1.0, s5, 1.0
	s_cselect_b32 s4, -1, 0
	v_rcp_f32_e32 v4, v1
	v_xor_b32_e32 v1, 0x80000000, v1
	s_mov_b32 s6, 0
	s_delay_alu instid0(TRANS32_DEP_1) | instid1(VALU_DEP_1)
	v_fma_f32 v2, v1, v4, 1.0
	s_wait_kmcnt 0x0
	s_add_nc_u64 s[2:3], s[2:3], s[16:17]
	s_delay_alu instid0(VALU_DEP_1) | instskip(NEXT) | instid1(VALU_DEP_1)
	v_fmac_f32_e32 v4, v2, v4
	v_mul_f32_e32 v6, v5, v4
	s_delay_alu instid0(VALU_DEP_1) | instskip(NEXT) | instid1(VALU_DEP_1)
	v_fma_f32 v2, v1, v6, v5
	v_fmac_f32_e32 v6, v2, v4
	s_delay_alu instid0(VALU_DEP_1) | instskip(SKIP_3) | instid1(VALU_DEP_1)
	v_dual_mov_b32 v2, 0 :: v_dual_fmac_f32 v5, v1, v6
	ds_load_b64 v[2:3], v2
	s_wait_alu 0xfffd
	v_div_fmas_f32 v1, v5, v4, v6
	v_div_fixup_f32 v1, v1, s5, 1.0
	s_delay_alu instid0(VALU_DEP_1)
	v_mul_f32_e32 v6, s19, v1
	s_branch .LBB48_37
.LBB48_35:                              ;   in Loop: Header=BB48_37 Depth=1
	v_add_co_u32 v8, vcc_lo, s14, v4
	s_wait_alu 0xfffd
	v_add_co_ci_u32_e64 v9, null, s15, v5, vcc_lo
	global_load_b32 v8, v[8:9], off
.LBB48_36:                              ;   in Loop: Header=BB48_37 Depth=1
	s_wait_loadcnt 0x0
	s_delay_alu instid0(VALU_DEP_1) | instskip(SKIP_3) | instid1(VALU_DEP_3)
	v_dual_subrev_f32 v7, s18, v7 :: v_dual_mul_f32 v8, s5, v8
	v_add_co_u32 v4, s0, s2, v4
	s_wait_alu 0xf1ff
	v_add_co_ci_u32_e64 v5, null, s3, v5, s0
	v_dual_mul_f32 v7, s19, v7 :: v_dual_add_nc_u32 v0, s1, v0
	s_wait_dscnt 0x0
	s_delay_alu instid0(VALU_DEP_1) | instskip(NEXT) | instid1(VALU_DEP_2)
	v_mul_f32_e32 v7, v3, v7
	v_cmp_le_i32_e32 vcc_lo, s12, v0
	s_delay_alu instid0(VALU_DEP_2) | instskip(SKIP_1) | instid1(VALU_DEP_1)
	v_fma_f32 v1, v1, v8, -v7
	s_or_b32 s6, vcc_lo, s6
	v_sub_f32_e32 v1, v1, v2
	s_delay_alu instid0(VALU_DEP_1)
	v_mul_f32_e32 v1, v6, v1
	global_store_b32 v[4:5], v1, off
	s_wait_alu 0xfffe
	s_and_not1_b32 exec_lo, exec_lo, s6
	s_cbranch_execz .LBB48_39
.LBB48_37:                              ; =>This Inner Loop Header: Depth=1
	v_ashrrev_i32_e32 v1, 31, v0
	s_delay_alu instid0(VALU_DEP_1) | instskip(NEXT) | instid1(VALU_DEP_1)
	v_lshlrev_b64_e32 v[4:5], 2, v[0:1]
	v_add_co_u32 v7, vcc_lo, s8, v4
	s_wait_alu 0xfffd
	s_delay_alu instid0(VALU_DEP_2)
	v_add_co_ci_u32_e64 v8, null, s9, v5, vcc_lo
	v_add_co_u32 v9, vcc_lo, s10, v4
	s_wait_alu 0xfffd
	v_add_co_ci_u32_e64 v10, null, s11, v5, vcc_lo
	global_load_b32 v7, v[7:8], off
	global_load_b32 v1, v[9:10], off
	s_wait_alu 0xfffe
	s_and_not1_b32 vcc_lo, exec_lo, s4
	s_wait_alu 0xfffe
	s_cbranch_vccz .LBB48_35
; %bb.38:                               ;   in Loop: Header=BB48_37 Depth=1
	v_mov_b32_e32 v8, 1.0
	s_branch .LBB48_36
.LBB48_39:
	s_endpgm
	.section	.rodata,"a",@progbits
	.p2align	6, 0x0
	.amdhsa_kernel _ZN2at6native12_GLOBAL__N_128layer_norm_grad_input_kernelIffLb0EEEvPKT_S5_PKT0_S8_S5_PS3_i
		.amdhsa_group_segment_fixed_size 0
		.amdhsa_private_segment_fixed_size 0
		.amdhsa_kernarg_size 312
		.amdhsa_user_sgpr_count 2
		.amdhsa_user_sgpr_dispatch_ptr 0
		.amdhsa_user_sgpr_queue_ptr 0
		.amdhsa_user_sgpr_kernarg_segment_ptr 1
		.amdhsa_user_sgpr_dispatch_id 0
		.amdhsa_user_sgpr_private_segment_size 0
		.amdhsa_wavefront_size32 1
		.amdhsa_uses_dynamic_stack 0
		.amdhsa_enable_private_segment 0
		.amdhsa_system_sgpr_workgroup_id_x 1
		.amdhsa_system_sgpr_workgroup_id_y 0
		.amdhsa_system_sgpr_workgroup_id_z 0
		.amdhsa_system_sgpr_workgroup_info 0
		.amdhsa_system_vgpr_workitem_id 0
		.amdhsa_next_free_vgpr 21
		.amdhsa_next_free_sgpr 21
		.amdhsa_reserve_vcc 1
		.amdhsa_float_round_mode_32 0
		.amdhsa_float_round_mode_16_64 0
		.amdhsa_float_denorm_mode_32 3
		.amdhsa_float_denorm_mode_16_64 3
		.amdhsa_fp16_overflow 0
		.amdhsa_workgroup_processor_mode 1
		.amdhsa_memory_ordered 1
		.amdhsa_forward_progress 1
		.amdhsa_inst_pref_size 18
		.amdhsa_round_robin_scheduling 0
		.amdhsa_exception_fp_ieee_invalid_op 0
		.amdhsa_exception_fp_denorm_src 0
		.amdhsa_exception_fp_ieee_div_zero 0
		.amdhsa_exception_fp_ieee_overflow 0
		.amdhsa_exception_fp_ieee_underflow 0
		.amdhsa_exception_fp_ieee_inexact 0
		.amdhsa_exception_int_div_zero 0
	.end_amdhsa_kernel
	.section	.text._ZN2at6native12_GLOBAL__N_128layer_norm_grad_input_kernelIffLb0EEEvPKT_S5_PKT0_S8_S5_PS3_i,"axG",@progbits,_ZN2at6native12_GLOBAL__N_128layer_norm_grad_input_kernelIffLb0EEEvPKT_S5_PKT0_S8_S5_PS3_i,comdat
.Lfunc_end48:
	.size	_ZN2at6native12_GLOBAL__N_128layer_norm_grad_input_kernelIffLb0EEEvPKT_S5_PKT0_S8_S5_PS3_i, .Lfunc_end48-_ZN2at6native12_GLOBAL__N_128layer_norm_grad_input_kernelIffLb0EEEvPKT_S5_PKT0_S8_S5_PS3_i
                                        ; -- End function
	.set _ZN2at6native12_GLOBAL__N_128layer_norm_grad_input_kernelIffLb0EEEvPKT_S5_PKT0_S8_S5_PS3_i.num_vgpr, 21
	.set _ZN2at6native12_GLOBAL__N_128layer_norm_grad_input_kernelIffLb0EEEvPKT_S5_PKT0_S8_S5_PS3_i.num_agpr, 0
	.set _ZN2at6native12_GLOBAL__N_128layer_norm_grad_input_kernelIffLb0EEEvPKT_S5_PKT0_S8_S5_PS3_i.numbered_sgpr, 21
	.set _ZN2at6native12_GLOBAL__N_128layer_norm_grad_input_kernelIffLb0EEEvPKT_S5_PKT0_S8_S5_PS3_i.num_named_barrier, 0
	.set _ZN2at6native12_GLOBAL__N_128layer_norm_grad_input_kernelIffLb0EEEvPKT_S5_PKT0_S8_S5_PS3_i.private_seg_size, 0
	.set _ZN2at6native12_GLOBAL__N_128layer_norm_grad_input_kernelIffLb0EEEvPKT_S5_PKT0_S8_S5_PS3_i.uses_vcc, 1
	.set _ZN2at6native12_GLOBAL__N_128layer_norm_grad_input_kernelIffLb0EEEvPKT_S5_PKT0_S8_S5_PS3_i.uses_flat_scratch, 0
	.set _ZN2at6native12_GLOBAL__N_128layer_norm_grad_input_kernelIffLb0EEEvPKT_S5_PKT0_S8_S5_PS3_i.has_dyn_sized_stack, 0
	.set _ZN2at6native12_GLOBAL__N_128layer_norm_grad_input_kernelIffLb0EEEvPKT_S5_PKT0_S8_S5_PS3_i.has_recursion, 0
	.set _ZN2at6native12_GLOBAL__N_128layer_norm_grad_input_kernelIffLb0EEEvPKT_S5_PKT0_S8_S5_PS3_i.has_indirect_call, 0
	.section	.AMDGPU.csdata,"",@progbits
; Kernel info:
; codeLenInByte = 2200
; TotalNumSgprs: 23
; NumVgprs: 21
; ScratchSize: 0
; MemoryBound: 0
; FloatMode: 240
; IeeeMode: 1
; LDSByteSize: 0 bytes/workgroup (compile time only)
; SGPRBlocks: 0
; VGPRBlocks: 2
; NumSGPRsForWavesPerEU: 23
; NumVGPRsForWavesPerEU: 21
; Occupancy: 16
; WaveLimiterHint : 0
; COMPUTE_PGM_RSRC2:SCRATCH_EN: 0
; COMPUTE_PGM_RSRC2:USER_SGPR: 2
; COMPUTE_PGM_RSRC2:TRAP_HANDLER: 0
; COMPUTE_PGM_RSRC2:TGID_X_EN: 1
; COMPUTE_PGM_RSRC2:TGID_Y_EN: 0
; COMPUTE_PGM_RSRC2:TGID_Z_EN: 0
; COMPUTE_PGM_RSRC2:TIDIG_COMP_CNT: 0
	.section	.text._ZN2at6native12_GLOBAL__N_133GammaBetaBackwardSimpleCUDAKernelIffLb0EEEvllPKT_S5_PKT0_S8_PS3_S9_,"axG",@progbits,_ZN2at6native12_GLOBAL__N_133GammaBetaBackwardSimpleCUDAKernelIffLb0EEEvllPKT_S5_PKT0_S8_PS3_S9_,comdat
	.globl	_ZN2at6native12_GLOBAL__N_133GammaBetaBackwardSimpleCUDAKernelIffLb0EEEvllPKT_S5_PKT0_S8_PS3_S9_ ; -- Begin function _ZN2at6native12_GLOBAL__N_133GammaBetaBackwardSimpleCUDAKernelIffLb0EEEvllPKT_S5_PKT0_S8_PS3_S9_
	.p2align	8
	.type	_ZN2at6native12_GLOBAL__N_133GammaBetaBackwardSimpleCUDAKernelIffLb0EEEvllPKT_S5_PKT0_S8_PS3_S9_,@function
_ZN2at6native12_GLOBAL__N_133GammaBetaBackwardSimpleCUDAKernelIffLb0EEEvllPKT_S5_PKT0_S8_PS3_S9_: ; @_ZN2at6native12_GLOBAL__N_133GammaBetaBackwardSimpleCUDAKernelIffLb0EEEvllPKT_S5_PKT0_S8_PS3_S9_
; %bb.0:
	s_clause 0x1
	s_load_b32 s16, s[0:1], 0x4c
	s_load_b512 s[0:15], s[0:1], 0x0
	v_mov_b32_e32 v1, 0
	s_wait_kmcnt 0x0
	s_and_b32 s16, s16, 0xffff
	s_delay_alu instid0(VALU_DEP_1) | instid1(SALU_CYCLE_1)
	v_mad_co_u64_u32 v[2:3], null, s16, ttmp9, v[0:1]
	s_mov_b32 s16, exec_lo
	v_cmpx_gt_i64_e64 s[2:3], v[2:3]
	s_cbranch_execz .LBB49_13
; %bb.1:
	v_cmp_lt_i64_e64 s16, s[0:1], 1
	v_lshlrev_b64_e32 v[2:3], 2, v[2:3]
	v_mov_b32_e32 v0, 0
	s_wait_alu 0xfffe
	s_and_b32 vcc_lo, exec_lo, s16
	s_cbranch_vccnz .LBB49_9
; %bb.2:
	s_cmp_lg_u64 s[12:13], 0
	v_dual_mov_b32 v5, v3 :: v_dual_mov_b32 v0, 0
	v_dual_mov_b32 v1, 0 :: v_dual_mov_b32 v4, v2
	s_cselect_b32 s16, -1, 0
	s_cmp_lg_u64 s[14:15], 0
	s_cselect_b32 s17, -1, 0
	s_lshl_b64 s[2:3], s[2:3], 2
	s_branch .LBB49_5
.LBB49_3:                               ;   in Loop: Header=BB49_5 Depth=1
	v_add_co_u32 v7, vcc_lo, s4, v4
	s_wait_alu 0xfffd
	v_add_co_ci_u32_e64 v8, null, s5, v5, vcc_lo
	global_load_b32 v7, v[7:8], off
.LBB49_4:                               ;   in Loop: Header=BB49_5 Depth=1
	v_add_co_u32 v4, vcc_lo, v4, s2
	s_wait_loadcnt 0x0
	s_delay_alu instid0(VALU_DEP_2)
	v_dual_add_f32 v1, v1, v6 :: v_dual_add_f32 v0, v0, v7
	s_wait_alu 0xfffd
	v_add_co_ci_u32_e64 v5, null, s3, v5, vcc_lo
	s_add_nc_u64 s[0:1], s[0:1], -1
	s_add_nc_u64 s[10:11], s[10:11], 4
	s_wait_alu 0xfffe
	s_cmp_eq_u64 s[0:1], 0
	s_add_nc_u64 s[8:9], s[8:9], 4
	s_cbranch_scc1 .LBB49_9
.LBB49_5:                               ; =>This Inner Loop Header: Depth=1
	v_mov_b32_e32 v6, 0
	s_wait_alu 0xfffe
	s_and_not1_b32 vcc_lo, exec_lo, s16
	s_wait_alu 0xfffe
	s_cbranch_vccnz .LBB49_7
; %bb.6:                                ;   in Loop: Header=BB49_5 Depth=1
	v_add_co_u32 v6, vcc_lo, s6, v4
	s_wait_alu 0xfffd
	v_add_co_ci_u32_e64 v7, null, s7, v5, vcc_lo
	v_add_co_u32 v8, vcc_lo, s4, v4
	s_wait_alu 0xfffd
	v_add_co_ci_u32_e64 v9, null, s5, v5, vcc_lo
	global_load_b32 v6, v[6:7], off
	global_load_b32 v7, v[8:9], off
	s_load_b32 s18, s[8:9], 0x0
	s_load_b32 s19, s[10:11], 0x0
	s_wait_loadcnt 0x1
	s_wait_kmcnt 0x0
	v_subrev_f32_e32 v6, s18, v6
	s_wait_loadcnt 0x0
	s_delay_alu instid0(VALU_DEP_1) | instskip(NEXT) | instid1(VALU_DEP_1)
	v_mul_f32_e32 v6, v7, v6
	v_mul_f32_e32 v6, s19, v6
.LBB49_7:                               ;   in Loop: Header=BB49_5 Depth=1
	s_and_not1_b32 vcc_lo, exec_lo, s17
	s_wait_alu 0xfffe
	s_cbranch_vccz .LBB49_3
; %bb.8:                                ;   in Loop: Header=BB49_5 Depth=1
	v_mov_b32_e32 v7, 0
	s_branch .LBB49_4
.LBB49_9:
	s_cmp_lg_u64 s[12:13], 0
	s_cbranch_scc0 .LBB49_11
; %bb.10:
	v_add_co_u32 v4, vcc_lo, s12, v2
	s_wait_alu 0xfffd
	v_add_co_ci_u32_e64 v5, null, s13, v3, vcc_lo
	global_store_b32 v[4:5], v1, off
.LBB49_11:
	s_cmp_eq_u64 s[14:15], 0
	s_cbranch_scc1 .LBB49_13
; %bb.12:
	v_add_co_u32 v1, vcc_lo, s14, v2
	s_wait_alu 0xfffd
	v_add_co_ci_u32_e64 v2, null, s15, v3, vcc_lo
	global_store_b32 v[1:2], v0, off
.LBB49_13:
	s_endpgm
	.section	.rodata,"a",@progbits
	.p2align	6, 0x0
	.amdhsa_kernel _ZN2at6native12_GLOBAL__N_133GammaBetaBackwardSimpleCUDAKernelIffLb0EEEvllPKT_S5_PKT0_S8_PS3_S9_
		.amdhsa_group_segment_fixed_size 0
		.amdhsa_private_segment_fixed_size 0
		.amdhsa_kernarg_size 320
		.amdhsa_user_sgpr_count 2
		.amdhsa_user_sgpr_dispatch_ptr 0
		.amdhsa_user_sgpr_queue_ptr 0
		.amdhsa_user_sgpr_kernarg_segment_ptr 1
		.amdhsa_user_sgpr_dispatch_id 0
		.amdhsa_user_sgpr_private_segment_size 0
		.amdhsa_wavefront_size32 1
		.amdhsa_uses_dynamic_stack 0
		.amdhsa_enable_private_segment 0
		.amdhsa_system_sgpr_workgroup_id_x 1
		.amdhsa_system_sgpr_workgroup_id_y 0
		.amdhsa_system_sgpr_workgroup_id_z 0
		.amdhsa_system_sgpr_workgroup_info 0
		.amdhsa_system_vgpr_workitem_id 0
		.amdhsa_next_free_vgpr 10
		.amdhsa_next_free_sgpr 20
		.amdhsa_reserve_vcc 1
		.amdhsa_float_round_mode_32 0
		.amdhsa_float_round_mode_16_64 0
		.amdhsa_float_denorm_mode_32 3
		.amdhsa_float_denorm_mode_16_64 3
		.amdhsa_fp16_overflow 0
		.amdhsa_workgroup_processor_mode 1
		.amdhsa_memory_ordered 1
		.amdhsa_forward_progress 1
		.amdhsa_inst_pref_size 4
		.amdhsa_round_robin_scheduling 0
		.amdhsa_exception_fp_ieee_invalid_op 0
		.amdhsa_exception_fp_denorm_src 0
		.amdhsa_exception_fp_ieee_div_zero 0
		.amdhsa_exception_fp_ieee_overflow 0
		.amdhsa_exception_fp_ieee_underflow 0
		.amdhsa_exception_fp_ieee_inexact 0
		.amdhsa_exception_int_div_zero 0
	.end_amdhsa_kernel
	.section	.text._ZN2at6native12_GLOBAL__N_133GammaBetaBackwardSimpleCUDAKernelIffLb0EEEvllPKT_S5_PKT0_S8_PS3_S9_,"axG",@progbits,_ZN2at6native12_GLOBAL__N_133GammaBetaBackwardSimpleCUDAKernelIffLb0EEEvllPKT_S5_PKT0_S8_PS3_S9_,comdat
.Lfunc_end49:
	.size	_ZN2at6native12_GLOBAL__N_133GammaBetaBackwardSimpleCUDAKernelIffLb0EEEvllPKT_S5_PKT0_S8_PS3_S9_, .Lfunc_end49-_ZN2at6native12_GLOBAL__N_133GammaBetaBackwardSimpleCUDAKernelIffLb0EEEvllPKT_S5_PKT0_S8_PS3_S9_
                                        ; -- End function
	.set _ZN2at6native12_GLOBAL__N_133GammaBetaBackwardSimpleCUDAKernelIffLb0EEEvllPKT_S5_PKT0_S8_PS3_S9_.num_vgpr, 10
	.set _ZN2at6native12_GLOBAL__N_133GammaBetaBackwardSimpleCUDAKernelIffLb0EEEvllPKT_S5_PKT0_S8_PS3_S9_.num_agpr, 0
	.set _ZN2at6native12_GLOBAL__N_133GammaBetaBackwardSimpleCUDAKernelIffLb0EEEvllPKT_S5_PKT0_S8_PS3_S9_.numbered_sgpr, 20
	.set _ZN2at6native12_GLOBAL__N_133GammaBetaBackwardSimpleCUDAKernelIffLb0EEEvllPKT_S5_PKT0_S8_PS3_S9_.num_named_barrier, 0
	.set _ZN2at6native12_GLOBAL__N_133GammaBetaBackwardSimpleCUDAKernelIffLb0EEEvllPKT_S5_PKT0_S8_PS3_S9_.private_seg_size, 0
	.set _ZN2at6native12_GLOBAL__N_133GammaBetaBackwardSimpleCUDAKernelIffLb0EEEvllPKT_S5_PKT0_S8_PS3_S9_.uses_vcc, 1
	.set _ZN2at6native12_GLOBAL__N_133GammaBetaBackwardSimpleCUDAKernelIffLb0EEEvllPKT_S5_PKT0_S8_PS3_S9_.uses_flat_scratch, 0
	.set _ZN2at6native12_GLOBAL__N_133GammaBetaBackwardSimpleCUDAKernelIffLb0EEEvllPKT_S5_PKT0_S8_PS3_S9_.has_dyn_sized_stack, 0
	.set _ZN2at6native12_GLOBAL__N_133GammaBetaBackwardSimpleCUDAKernelIffLb0EEEvllPKT_S5_PKT0_S8_PS3_S9_.has_recursion, 0
	.set _ZN2at6native12_GLOBAL__N_133GammaBetaBackwardSimpleCUDAKernelIffLb0EEEvllPKT_S5_PKT0_S8_PS3_S9_.has_indirect_call, 0
	.section	.AMDGPU.csdata,"",@progbits
; Kernel info:
; codeLenInByte = 456
; TotalNumSgprs: 22
; NumVgprs: 10
; ScratchSize: 0
; MemoryBound: 0
; FloatMode: 240
; IeeeMode: 1
; LDSByteSize: 0 bytes/workgroup (compile time only)
; SGPRBlocks: 0
; VGPRBlocks: 1
; NumSGPRsForWavesPerEU: 22
; NumVGPRsForWavesPerEU: 10
; Occupancy: 16
; WaveLimiterHint : 0
; COMPUTE_PGM_RSRC2:SCRATCH_EN: 0
; COMPUTE_PGM_RSRC2:USER_SGPR: 2
; COMPUTE_PGM_RSRC2:TRAP_HANDLER: 0
; COMPUTE_PGM_RSRC2:TGID_X_EN: 1
; COMPUTE_PGM_RSRC2:TGID_Y_EN: 0
; COMPUTE_PGM_RSRC2:TGID_Z_EN: 0
; COMPUTE_PGM_RSRC2:TIDIG_COMP_CNT: 0
	.section	.text._ZN2at6native12_GLOBAL__N_135GammaBetaBackwardCUDAKernelTemplateIffLj64ELj1ELj32ELb1ELb1ELb0EEEvllPKT_S5_PKT0_S8_PS3_S9_,"axG",@progbits,_ZN2at6native12_GLOBAL__N_135GammaBetaBackwardCUDAKernelTemplateIffLj64ELj1ELj32ELb1ELb1ELb0EEEvllPKT_S5_PKT0_S8_PS3_S9_,comdat
	.globl	_ZN2at6native12_GLOBAL__N_135GammaBetaBackwardCUDAKernelTemplateIffLj64ELj1ELj32ELb1ELb1ELb0EEEvllPKT_S5_PKT0_S8_PS3_S9_ ; -- Begin function _ZN2at6native12_GLOBAL__N_135GammaBetaBackwardCUDAKernelTemplateIffLj64ELj1ELj32ELb1ELb1ELb0EEEvllPKT_S5_PKT0_S8_PS3_S9_
	.p2align	8
	.type	_ZN2at6native12_GLOBAL__N_135GammaBetaBackwardCUDAKernelTemplateIffLj64ELj1ELj32ELb1ELb1ELb0EEEvllPKT_S5_PKT0_S8_PS3_S9_,@function
_ZN2at6native12_GLOBAL__N_135GammaBetaBackwardCUDAKernelTemplateIffLj64ELj1ELj32ELb1ELb1ELb0EEEvllPKT_S5_PKT0_S8_PS3_S9_: ; @_ZN2at6native12_GLOBAL__N_135GammaBetaBackwardCUDAKernelTemplateIffLj64ELj1ELj32ELb1ELb1ELb0EEEvllPKT_S5_PKT0_S8_PS3_S9_
; %bb.0:
	s_load_b128 s[8:11], s[0:1], 0x0
	s_lshl_b32 s16, ttmp7, 5
	s_mov_b32 s17, 0
	v_bfe_u32 v6, v0, 10, 10
	s_add_nc_u64 s[18:19], s[0:1], 64
	s_wait_kmcnt 0x0
	v_cmp_gt_i64_e64 s2, s[8:9], s[16:17]
	s_and_b32 vcc_lo, exec_lo, s2
	s_cbranch_vccnz .LBB50_2
; %bb.1:
	v_bfe_u32 v1, v0, 10, 10
	s_add_nc_u64 s[2:3], s[0:1], 64
	s_mov_b32 s4, s17
	s_branch .LBB50_3
.LBB50_2:
	s_mov_b32 s4, -1
                                        ; implicit-def: $sgpr2_sgpr3
                                        ; implicit-def: $vgpr1
.LBB50_3:
	s_load_b128 s[12:15], s[0:1], 0x30
	v_dual_mov_b32 v26, 0 :: v_dual_and_b32 v7, 0x3ff, v0
	v_mov_b32_e32 v43, 0
	s_and_not1_b32 vcc_lo, exec_lo, s4
	s_cbranch_vccnz .LBB50_9
; %bb.4:
	s_clause 0x2
	s_load_b32 s20, s[0:1], 0x4c
	s_load_b32 s22, s[0:1], 0x44
	s_load_b256 s[0:7], s[0:1], 0x10
	v_dual_mov_b32 v1, 0 :: v_dual_lshlrev_b32 v2, 5, v6
	v_lshl_add_u32 v0, ttmp9, 6, v7
	s_mov_b32 s21, 0
	v_dual_mov_b32 v8, 4 :: v_dual_mov_b32 v9, 8
	v_dual_mov_b32 v10, 12 :: v_dual_mov_b32 v11, 16
	s_delay_alu instid0(VALU_DEP_3)
	v_lshlrev_b64_e32 v[40:41], 2, v[0:1]
	v_dual_mov_b32 v12, 20 :: v_dual_mov_b32 v13, 24
	v_dual_mov_b32 v14, 28 :: v_dual_mov_b32 v15, 32
	;; [unrolled: 1-line block ×4, first 2 shown]
	s_wait_kmcnt 0x0
	s_and_b32 s20, s20, 0xffff
	v_dual_mov_b32 v20, 52 :: v_dual_mov_b32 v21, 56
	v_mad_u32_u24 v3, v6, s20, v7
	v_add_co_u32 v42, s20, v2, s16
	s_wait_alu 0xf1ff
	v_add_co_ci_u32_e64 v43, null, 0, 0, s20
	s_delay_alu instid0(VALU_DEP_3) | instskip(NEXT) | instid1(VALU_DEP_3)
	v_dual_mov_b32 v25, 0x48 :: v_dual_and_b32 v26, 31, v3
	v_mul_lo_u32 v4, s11, v42
	s_delay_alu instid0(VALU_DEP_3)
	v_mul_lo_u32 v5, s10, v43
	v_mad_co_u64_u32 v[2:3], null, s10, v42, 0
	s_lshl_b32 s20, s22, 5
	v_dual_mov_b32 v22, 60 :: v_dual_mov_b32 v23, 64
	v_mov_b32_e32 v24, 0x44
	v_mov_b32_e32 v27, 0x4c
	;; [unrolled: 1-line block ×3, first 2 shown]
	v_add3_u32 v3, v3, v5, v4
	v_mov_b32_e32 v29, 0x54
	v_mov_b32_e32 v30, 0x58
	;; [unrolled: 1-line block ×4, first 2 shown]
	v_lshlrev_b64_e32 v[4:5], 2, v[2:3]
	v_add_co_u32 v2, vcc_lo, v42, v26
	s_delay_alu instid0(VALU_DEP_1) | instskip(SKIP_1) | instid1(VALU_DEP_4)
	v_add_co_ci_u32_e64 v3, null, 0, v43, vcc_lo
	v_mov_b32_e32 v33, 0x64
	v_add_co_u32 v0, vcc_lo, v4, v40
	s_wait_alu 0xfffd
	v_add_co_ci_u32_e64 v40, null, v5, v41, vcc_lo
	v_lshlrev_b64_e32 v[4:5], 2, v[2:3]
	v_mov_b32_e32 v34, 0x68
	v_mov_b32_e32 v35, 0x6c
	v_mov_b32_e32 v36, 0x70
	v_mov_b32_e32 v37, 0x74
	v_mov_b32_e32 v38, 0x78
	v_dual_mov_b32 v39, 0x7c :: v_dual_mov_b32 v26, 0
	v_mov_b32_e32 v43, 0
	s_wait_alu 0xfffe
	s_mul_u64 s[22:23], s[10:11], s[20:21]
	s_lshl_b64 s[24:25], s[20:21], 2
	s_lshl_b64 s[22:23], s[22:23], 2
	;; [unrolled: 1-line block ×3, first 2 shown]
	s_branch .LBB50_6
.LBB50_5:                               ;   in Loop: Header=BB50_6 Depth=1
	s_or_b32 exec_lo, exec_lo, s28
	v_add_co_u32 v44, vcc_lo, s2, v0
	s_wait_alu 0xfffd
	v_add_co_ci_u32_e64 v45, null, s3, v40, vcc_lo
	v_add_co_u32 v47, vcc_lo, s0, v0
	s_wait_alu 0xfffd
	v_add_co_ci_u32_e64 v48, null, s1, v40, vcc_lo
	global_load_b32 v46, v[44:45], off
	v_add_co_u32 v44, vcc_lo, v44, s26
	s_wait_alu 0xfffd
	v_add_co_ci_u32_e64 v45, null, s27, v45, vcc_lo
	v_add_co_u32 v50, vcc_lo, v47, s26
	s_wait_alu 0xfffd
	v_add_co_ci_u32_e64 v51, null, s27, v48, vcc_lo
	v_add_co_u32 v52, vcc_lo, v44, s26
	s_wait_alu 0xfffd
	v_add_co_ci_u32_e64 v53, null, s27, v45, vcc_lo
	v_add_co_u32 v54, vcc_lo, v50, s26
	s_wait_alu 0xfffd
	v_add_co_ci_u32_e64 v55, null, s27, v51, vcc_lo
	global_load_b32 v47, v[47:48], off
	global_load_b32 v49, v[44:45], off
	;; [unrolled: 1-line block ×5, first 2 shown]
	v_add_co_u32 v50, vcc_lo, v52, s26
	s_wait_alu 0xfffd
	v_add_co_ci_u32_e64 v51, null, s27, v53, vcc_lo
	v_add_co_u32 v52, vcc_lo, v54, s26
	s_wait_alu 0xfffd
	v_add_co_ci_u32_e64 v53, null, s27, v55, vcc_lo
	global_load_b32 v54, v[50:51], off
	v_add_co_u32 v55, vcc_lo, v52, s26
	s_wait_alu 0xfffd
	v_add_co_ci_u32_e64 v56, null, s27, v53, vcc_lo
	v_add_co_u32 v57, vcc_lo, v50, s26
	s_wait_alu 0xfffd
	v_add_co_ci_u32_e64 v58, null, s27, v51, vcc_lo
	;; [unrolled: 3-line block ×4, first 2 shown]
	s_clause 0x1
	global_load_b32 v51, v[52:53], off
	global_load_b32 v50, v[55:56], off
	global_load_b32 v55, v[57:58], off
	global_load_b32 v52, v[59:60], off
	global_load_b32 v56, v[61:62], off
	v_add_co_u32 v57, vcc_lo, v59, s26
	s_wait_alu 0xfffd
	v_add_co_ci_u32_e64 v58, null, s27, v60, vcc_lo
	v_add_co_u32 v59, vcc_lo, v61, s26
	s_wait_alu 0xfffd
	v_add_co_ci_u32_e64 v60, null, s27, v62, vcc_lo
	global_load_b32 v53, v[57:58], off
	v_add_co_u32 v57, vcc_lo, v57, s26
	s_wait_alu 0xfffd
	v_add_co_ci_u32_e64 v58, null, s27, v58, vcc_lo
	v_add_co_u32 v62, vcc_lo, v59, s26
	s_wait_alu 0xfffd
	v_add_co_ci_u32_e64 v63, null, s27, v60, vcc_lo
	v_add_co_u32 v64, vcc_lo, v57, s26
	s_wait_alu 0xfffd
	v_add_co_ci_u32_e64 v65, null, s27, v58, vcc_lo
	v_add_co_u32 v66, vcc_lo, v62, s26
	s_wait_alu 0xfffd
	v_add_co_ci_u32_e64 v67, null, s27, v63, vcc_lo
	global_load_b32 v61, v[59:60], off
	global_load_b32 v57, v[57:58], off
	global_load_b32 v60, v[62:63], off
	global_load_b32 v58, v[64:65], off
	global_load_b32 v62, v[66:67], off
	v_add_co_u32 v63, vcc_lo, v64, s26
	s_wait_alu 0xfffd
	v_add_co_ci_u32_e64 v64, null, s27, v65, vcc_lo
	v_add_co_u32 v65, vcc_lo, v66, s26
	s_wait_alu 0xfffd
	v_add_co_ci_u32_e64 v66, null, s27, v67, vcc_lo
	global_load_b32 v59, v[63:64], off
	v_add_co_u32 v63, vcc_lo, v63, s26
	s_wait_alu 0xfffd
	v_add_co_ci_u32_e64 v64, null, s27, v64, vcc_lo
	v_add_co_u32 v67, vcc_lo, v65, s26
	s_wait_alu 0xfffd
	v_add_co_ci_u32_e64 v68, null, s27, v66, vcc_lo
	v_add_co_u32 v72, vcc_lo, v63, s26
	s_wait_alu 0xfffd
	v_add_co_ci_u32_e64 v73, null, s27, v64, vcc_lo
	v_add_co_u32 v74, vcc_lo, v67, s26
	s_wait_alu 0xfffd
	v_add_co_ci_u32_e64 v75, null, s27, v68, vcc_lo
	;; [unrolled: 24-line block ×3, first 2 shown]
	global_load_b32 v77, v[72:73], off
	global_load_b32 v66, v[66:67], off
	;; [unrolled: 1-line block ×5, first 2 shown]
	v_add_co_u32 v72, vcc_lo, v78, s26
	s_wait_alu 0xfffd
	v_add_co_ci_u32_e64 v73, null, s27, v79, vcc_lo
	v_add_co_u32 v78, vcc_lo, v80, s26
	s_wait_alu 0xfffd
	v_add_co_ci_u32_e64 v79, null, s27, v81, vcc_lo
	global_load_b32 v69, v[72:73], off
	v_add_co_u32 v72, vcc_lo, v72, s26
	s_wait_alu 0xfffd
	v_add_co_ci_u32_e64 v73, null, s27, v73, vcc_lo
	v_add_co_u32 v81, vcc_lo, v78, s26
	s_wait_alu 0xfffd
	v_add_co_ci_u32_e64 v82, null, s27, v79, vcc_lo
	;; [unrolled: 3-line block ×3, first 2 shown]
	v_add_co_u32 v85, vcc_lo, v81, s26
	global_load_b32 v80, v[78:79], off
	global_load_b32 v73, v[72:73], off
	;; [unrolled: 1-line block ×3, first 2 shown]
	s_wait_alu 0xfffd
	v_add_co_ci_u32_e64 v86, null, s27, v82, vcc_lo
	v_add_co_u32 v81, vcc_lo, v83, s26
	s_wait_alu 0xfffd
	v_add_co_ci_u32_e64 v82, null, s27, v84, vcc_lo
	global_load_b32 v74, v[83:84], off
	global_load_b32 v79, v[85:86], off
	v_add_co_u32 v83, vcc_lo, v85, s26
	s_wait_alu 0xfffd
	v_add_co_ci_u32_e64 v84, null, s27, v86, vcc_lo
	v_add_co_u32 v85, vcc_lo, v81, s26
	s_wait_alu 0xfffd
	v_add_co_ci_u32_e64 v86, null, s27, v82, vcc_lo
	global_load_b32 v72, v[81:82], off
	v_add_co_u32 v81, vcc_lo, v83, s26
	s_wait_alu 0xfffd
	v_add_co_ci_u32_e64 v82, null, s27, v84, vcc_lo
	global_load_b32 v87, v[83:84], off
	v_add_co_u32 v83, vcc_lo, v85, s26
	s_wait_alu 0xfffd
	v_add_co_ci_u32_e64 v84, null, s27, v86, vcc_lo
	global_load_b32 v88, v[85:86], off
	v_add_co_u32 v85, vcc_lo, v81, s26
	s_wait_alu 0xfffd
	v_add_co_ci_u32_e64 v86, null, s27, v82, vcc_lo
	global_load_b32 v89, v[81:82], off
	v_add_co_u32 v81, vcc_lo, v83, s26
	s_wait_alu 0xfffd
	v_add_co_ci_u32_e64 v82, null, s27, v84, vcc_lo
	global_load_b32 v90, v[83:84], off
	v_add_co_u32 v83, vcc_lo, v85, s26
	s_wait_alu 0xfffd
	v_add_co_ci_u32_e64 v84, null, s27, v86, vcc_lo
	global_load_b32 v91, v[85:86], off
	v_add_co_u32 v85, vcc_lo, v81, s26
	s_wait_alu 0xfffd
	v_add_co_ci_u32_e64 v86, null, s27, v82, vcc_lo
	global_load_b32 v92, v[81:82], off
	v_add_co_u32 v81, vcc_lo, v83, s26
	global_load_b32 v94, v[85:86], off
	s_wait_alu 0xfffd
	v_add_co_ci_u32_e64 v82, null, s27, v84, vcc_lo
	global_load_b32 v93, v[83:84], off
	v_add_co_u32 v83, vcc_lo, v85, s26
	s_wait_alu 0xfffd
	v_add_co_ci_u32_e64 v84, null, s27, v86, vcc_lo
	v_add_co_u32 v85, vcc_lo, v81, s26
	s_wait_alu 0xfffd
	v_add_co_ci_u32_e64 v86, null, s27, v82, vcc_lo
	global_load_b32 v96, v[83:84], off
	global_load_b32 v95, v[81:82], off
	v_add_co_u32 v81, vcc_lo, v83, s26
	s_wait_alu 0xfffd
	v_add_co_ci_u32_e64 v82, null, s27, v84, vcc_lo
	v_add_co_u32 v83, vcc_lo, v85, s26
	s_wait_alu 0xfffd
	v_add_co_ci_u32_e64 v84, null, s27, v86, vcc_lo
	global_load_b32 v97, v[85:86], off
	v_add_co_u32 v85, vcc_lo, v81, s26
	s_wait_alu 0xfffd
	v_add_co_ci_u32_e64 v86, null, s27, v82, vcc_lo
	global_load_b32 v98, v[81:82], off
	v_add_co_u32 v81, vcc_lo, v83, s26
	global_load_b32 v100, v[85:86], off
	s_wait_alu 0xfffd
	v_add_co_ci_u32_e64 v82, null, s27, v84, vcc_lo
	global_load_b32 v99, v[83:84], off
	v_add_co_u32 v83, vcc_lo, v85, s26
	s_wait_alu 0xfffd
	v_add_co_ci_u32_e64 v84, null, s27, v86, vcc_lo
	v_add_co_u32 v85, vcc_lo, v81, s26
	s_wait_alu 0xfffd
	v_add_co_ci_u32_e64 v86, null, s27, v82, vcc_lo
	global_load_b32 v101, v[81:82], off
	v_add_co_u32 v81, vcc_lo, v83, s26
	s_wait_alu 0xfffd
	v_add_co_ci_u32_e64 v82, null, s27, v84, vcc_lo
	global_load_b32 v102, v[83:84], off
	v_add_co_u32 v83, vcc_lo, v85, s26
	global_load_b32 v103, v[85:86], off
	s_wait_alu 0xfffd
	v_add_co_ci_u32_e64 v84, null, s27, v86, vcc_lo
	v_add_co_u32 v85, vcc_lo, v81, s26
	s_wait_alu 0xfffd
	v_add_co_ci_u32_e64 v86, null, s27, v82, vcc_lo
	global_load_b32 v104, v[81:82], off
	v_add_co_u32 v81, vcc_lo, v83, s26
	s_wait_alu 0xfffd
	v_add_co_ci_u32_e64 v82, null, s27, v84, vcc_lo
	global_load_b32 v105, v[83:84], off
	;; [unrolled: 4-line block ×8, first 2 shown]
	global_load_b32 v83, v[83:84], off
	global_load_b32 v81, v[81:82], off
	s_wait_loadcnt 0x3e
	ds_bpermute_b32 v82, v1, v42
	ds_bpermute_b32 v84, v8, v42
	;; [unrolled: 1-line block ×8, first 2 shown]
	v_add_co_u32 v0, vcc_lo, v0, s22
	s_add_nc_u64 s[16:17], s[16:17], s[20:21]
	s_wait_alu 0xfffd
	v_add_co_ci_u32_e64 v40, null, s23, v40, vcc_lo
	v_add_co_u32 v4, vcc_lo, v4, s24
	s_wait_alu 0xfffe
	v_cmp_lt_i64_e64 s28, s[16:17], s[8:9]
	s_wait_alu 0xfffd
	v_add_co_ci_u32_e64 v5, null, s25, v5, vcc_lo
	v_add_co_u32 v2, vcc_lo, v2, s20
	s_wait_alu 0xfffd
	v_add_co_ci_u32_e64 v3, null, 0, v3, vcc_lo
	s_and_b32 vcc_lo, exec_lo, s28
	s_wait_dscnt 0x7
	v_sub_f32_e32 v46, v46, v82
	ds_bpermute_b32 v82, v9, v41
	v_add_f32_e32 v43, v43, v47
	s_wait_loadcnt_dscnt 0x3d07
	v_dual_sub_f32 v49, v49, v84 :: v_dual_mul_f32 v46, v47, v46
	ds_bpermute_b32 v84, v10, v41
	s_wait_loadcnt_dscnt 0x3c07
	v_dual_add_f32 v43, v43, v45 :: v_dual_fmac_f32 v26, v46, v86
	ds_bpermute_b32 v86, v13, v42
	s_wait_loadcnt_dscnt 0x3b07
	v_sub_f32_e32 v48, v48, v111
	s_wait_loadcnt 0x3a
	v_dual_mul_f32 v46, v45, v49 :: v_dual_add_f32 v43, v43, v44
	ds_bpermute_b32 v49, v11, v41
	ds_bpermute_b32 v111, v14, v42
	s_wait_loadcnt_dscnt 0x3808
	v_dual_fmac_f32 v26, v46, v112 :: v_dual_add_f32 v43, v43, v51
	s_wait_loadcnt 0x37
	s_delay_alu instid0(VALU_DEP_1) | instskip(SKIP_1) | instid1(VALU_DEP_1)
	v_add_f32_e32 v43, v43, v50
	s_wait_loadcnt 0x35
	v_add_f32_e32 v43, v43, v52
	s_wait_loadcnt 0x33
	s_delay_alu instid0(VALU_DEP_1)
	v_add_f32_e32 v43, v43, v53
	s_wait_loadcnt_dscnt 0x3202
	v_dual_sub_f32 v47, v61, v86 :: v_dual_mul_f32 v46, v44, v48
	v_sub_f32_e32 v48, v54, v113
	ds_bpermute_b32 v54, v12, v41
	s_wait_loadcnt 0x31
	v_add_f32_e32 v43, v43, v57
	v_mul_f32_e32 v45, v53, v47
	ds_bpermute_b32 v47, v17, v42
	v_fmac_f32_e32 v26, v46, v82
	v_mul_f32_e32 v46, v51, v48
	ds_bpermute_b32 v82, v15, v42
	s_wait_loadcnt 0x2f
	v_add_f32_e32 v43, v43, v58
	s_wait_loadcnt 0x2d
	s_delay_alu instid0(VALU_DEP_1) | instskip(SKIP_1) | instid1(VALU_DEP_1)
	v_add_f32_e32 v43, v43, v59
	s_wait_loadcnt 0x2b
	v_add_f32_e32 v43, v43, v63
	s_wait_loadcnt_dscnt 0x2a01
	v_dual_sub_f32 v47, v68, v47 :: v_dual_fmac_f32 v26, v46, v84
	ds_bpermute_b32 v84, v16, v42
	v_sub_f32_e32 v48, v55, v114
	ds_bpermute_b32 v55, v13, v41
	s_wait_loadcnt 0x29
	v_add_f32_e32 v43, v43, v64
	s_wait_loadcnt 0x27
	s_delay_alu instid0(VALU_DEP_1)
	v_add_f32_e32 v43, v43, v65
	s_wait_dscnt 0x1
	v_sub_f32_e32 v51, v70, v84
	v_mul_f32_e32 v46, v50, v48
	ds_bpermute_b32 v50, v19, v42
	s_wait_loadcnt 0x25
	v_dual_add_f32 v43, v43, v66 :: v_dual_fmac_f32 v26, v46, v49
	ds_bpermute_b32 v49, v18, v42
	v_sub_f32_e32 v48, v56, v115
	ds_bpermute_b32 v56, v14, v41
	s_wait_loadcnt 0x23
	v_dual_add_f32 v43, v43, v67 :: v_dual_mul_f32 v46, v52, v48
	ds_bpermute_b32 v48, v15, v41
	ds_bpermute_b32 v52, v37, v41
	s_wait_loadcnt 0x21
	v_dual_add_f32 v43, v43, v69 :: v_dual_fmac_f32 v26, v46, v54
	v_sub_f32_e32 v46, v60, v111
	s_wait_dscnt 0x5
	s_delay_alu instid0(VALU_DEP_2) | instskip(NEXT) | instid1(VALU_DEP_2)
	v_fmac_f32_e32 v26, v45, v55
	v_mul_f32_e32 v44, v57, v46
	ds_bpermute_b32 v45, v16, v41
	v_sub_f32_e32 v46, v62, v82
	s_wait_loadcnt_dscnt 0x1f03
	v_dual_fmac_f32 v26, v44, v56 :: v_dual_add_f32 v43, v43, v73
	s_delay_alu instid0(VALU_DEP_2)
	v_mul_f32_e32 v44, v58, v46
	ds_bpermute_b32 v46, v17, v41
	s_wait_dscnt 0x3
	v_fmac_f32_e32 v26, v44, v48
	v_mul_f32_e32 v44, v59, v51
	ds_bpermute_b32 v48, v18, v41
	ds_bpermute_b32 v51, v20, v42
	s_wait_loadcnt_dscnt 0x1d03
	v_dual_add_f32 v43, v43, v74 :: v_dual_fmac_f32 v26, v44, v45
	v_mul_f32_e32 v44, v63, v47
	ds_bpermute_b32 v45, v19, v41
	v_sub_f32_e32 v47, v71, v49
	ds_bpermute_b32 v49, v21, v42
	s_wait_loadcnt_dscnt 0x1b04
	v_dual_add_f32 v43, v43, v72 :: v_dual_fmac_f32 v26, v44, v46
	ds_bpermute_b32 v44, v20, v41
	v_dual_mul_f32 v46, v64, v47 :: v_dual_sub_f32 v47, v77, v50
	ds_bpermute_b32 v50, v22, v42
	s_wait_loadcnt 0x19
	v_add_f32_e32 v43, v43, v88
	s_wait_dscnt 0x5
	v_fmac_f32_e32 v26, v46, v48
	v_mul_f32_e32 v46, v65, v47
	ds_bpermute_b32 v47, v21, v41
	s_wait_dscnt 0x5
	v_sub_f32_e32 v48, v75, v51
	ds_bpermute_b32 v51, v23, v42
	s_wait_dscnt 0x5
	v_fmac_f32_e32 v26, v46, v45
	v_mul_f32_e32 v45, v66, v48
	ds_bpermute_b32 v46, v22, v41
	s_wait_dscnt 0x5
	v_sub_f32_e32 v48, v76, v49
	ds_bpermute_b32 v49, v24, v42
	s_wait_loadcnt_dscnt 0x1705
	v_dual_add_f32 v43, v43, v90 :: v_dual_fmac_f32 v26, v45, v44
	ds_bpermute_b32 v44, v23, v41
	s_wait_dscnt 0x5
	v_dual_mul_f32 v45, v67, v48 :: v_dual_sub_f32 v48, v80, v50
	s_wait_loadcnt 0x15
	v_add_f32_e32 v43, v43, v92
	ds_bpermute_b32 v50, v25, v42
	s_wait_dscnt 0x5
	v_fmac_f32_e32 v26, v45, v47
	ds_bpermute_b32 v45, v24, v41
	s_wait_dscnt 0x5
	v_dual_mul_f32 v47, v69, v48 :: v_dual_sub_f32 v48, v78, v51
	s_wait_loadcnt 0x14
	v_add_f32_e32 v43, v43, v94
	ds_bpermute_b32 v51, v27, v42
	s_wait_dscnt 0x5
	v_fmac_f32_e32 v26, v47, v46
	ds_bpermute_b32 v46, v25, v41
	s_wait_dscnt 0x5
	v_dual_mul_f32 v47, v73, v48 :: v_dual_sub_f32 v48, v79, v49
	ds_bpermute_b32 v49, v28, v42
	s_wait_loadcnt 0x12
	v_add_f32_e32 v43, v43, v96
	s_wait_dscnt 0x5
	v_fmac_f32_e32 v26, v47, v44
	ds_bpermute_b32 v44, v27, v41
	s_wait_dscnt 0x5
	v_dual_mul_f32 v47, v74, v48 :: v_dual_sub_f32 v48, v87, v50
	ds_bpermute_b32 v50, v29, v42
	s_wait_dscnt 0x5
	v_fmac_f32_e32 v26, v47, v45
	ds_bpermute_b32 v45, v28, v41
	s_wait_dscnt 0x5
	v_dual_mul_f32 v47, v72, v48 :: v_dual_sub_f32 v48, v89, v51
	ds_bpermute_b32 v51, v30, v42
	s_wait_loadcnt 0xf
	v_add_f32_e32 v43, v43, v98
	s_wait_dscnt 0x5
	v_fmac_f32_e32 v26, v47, v46
	ds_bpermute_b32 v46, v29, v41
	s_wait_dscnt 0x5
	v_dual_mul_f32 v47, v88, v48 :: v_dual_sub_f32 v48, v91, v49
	ds_bpermute_b32 v49, v31, v42
	s_wait_loadcnt 0xe
	v_add_f32_e32 v43, v43, v100
	s_wait_dscnt 0x5
	v_fmac_f32_e32 v26, v47, v44
	ds_bpermute_b32 v44, v30, v41
	s_wait_dscnt 0x5
	v_dual_mul_f32 v47, v90, v48 :: v_dual_sub_f32 v48, v93, v50
	ds_bpermute_b32 v50, v32, v42
	s_wait_dscnt 0x5
	v_fmac_f32_e32 v26, v47, v45
	ds_bpermute_b32 v45, v31, v41
	s_wait_dscnt 0x5
	v_dual_mul_f32 v47, v92, v48 :: v_dual_sub_f32 v48, v95, v51
	ds_bpermute_b32 v51, v33, v42
	s_wait_loadcnt 0xb
	v_add_f32_e32 v43, v43, v102
	s_wait_dscnt 0x5
	v_fmac_f32_e32 v26, v47, v46
	ds_bpermute_b32 v46, v32, v41
	s_wait_dscnt 0x5
	v_dual_mul_f32 v47, v94, v48 :: v_dual_sub_f32 v48, v97, v49
	ds_bpermute_b32 v49, v34, v42
	s_wait_loadcnt 0x9
	v_add_f32_e32 v43, v43, v104
	s_wait_dscnt 0x5
	v_fmac_f32_e32 v26, v47, v44
	ds_bpermute_b32 v44, v33, v41
	s_wait_dscnt 0x5
	v_dual_mul_f32 v47, v96, v48 :: v_dual_sub_f32 v48, v99, v50
	ds_bpermute_b32 v50, v35, v42
	s_wait_dscnt 0x5
	v_dual_fmac_f32 v26, v47, v45 :: v_dual_mul_f32 v45, v98, v48
	ds_bpermute_b32 v47, v34, v41
	s_wait_dscnt 0x5
	v_sub_f32_e32 v48, v101, v51
	ds_bpermute_b32 v51, v36, v42
	s_wait_loadcnt 0x7
	v_add_f32_e32 v43, v43, v106
	s_wait_dscnt 0x5
	v_dual_fmac_f32 v26, v45, v46 :: v_dual_mul_f32 v45, v100, v48
	ds_bpermute_b32 v46, v35, v41
	s_wait_dscnt 0x5
	v_sub_f32_e32 v48, v103, v49
	ds_bpermute_b32 v49, v37, v42
	s_wait_dscnt 0x5
	v_fmac_f32_e32 v26, v45, v44
	ds_bpermute_b32 v44, v36, v41
	v_mul_f32_e32 v45, v102, v48
	ds_bpermute_b32 v48, v38, v42
	s_wait_dscnt 0x6
	v_sub_f32_e32 v50, v105, v50
	ds_bpermute_b32 v42, v39, v42
	s_wait_loadcnt_dscnt 0x406
	v_dual_add_f32 v43, v43, v109 :: v_dual_fmac_f32 v26, v45, v47
	v_mul_f32_e32 v45, v104, v50
	s_wait_dscnt 0x5
	v_sub_f32_e32 v47, v107, v51
	ds_bpermute_b32 v50, v38, v41
	ds_bpermute_b32 v41, v39, v41
	s_wait_loadcnt_dscnt 0x206
	v_dual_add_f32 v43, v43, v85 :: v_dual_fmac_f32 v26, v45, v46
	s_wait_dscnt 0x5
	v_dual_mul_f32 v45, v106, v47 :: v_dual_sub_f32 v46, v108, v49
	s_wait_loadcnt_dscnt 0x4
	s_delay_alu instid0(VALU_DEP_1) | instskip(SKIP_1) | instid1(VALU_DEP_2)
	v_dual_add_f32 v43, v43, v81 :: v_dual_fmac_f32 v26, v45, v44
	s_wait_dscnt 0x3
	v_dual_mul_f32 v44, v109, v46 :: v_dual_sub_f32 v45, v110, v48
	s_wait_dscnt 0x2
	v_sub_f32_e32 v42, v83, v42
	s_delay_alu instid0(VALU_DEP_2) | instskip(NEXT) | instid1(VALU_DEP_3)
	v_fmac_f32_e32 v26, v44, v52
	v_mul_f32_e32 v44, v85, v45
	s_delay_alu instid0(VALU_DEP_3) | instskip(SKIP_1) | instid1(VALU_DEP_2)
	v_mul_f32_e32 v42, v81, v42
	s_wait_dscnt 0x1
	v_fmac_f32_e32 v26, v44, v50
	s_wait_dscnt 0x0
	s_delay_alu instid0(VALU_DEP_1)
	v_fmac_f32_e32 v26, v42, v41
	s_wait_alu 0xfffe
	s_cbranch_vccz .LBB50_8
.LBB50_6:                               ; =>This Inner Loop Header: Depth=1
	v_dual_mov_b32 v41, 0 :: v_dual_mov_b32 v42, 0
	s_mov_b32 s28, exec_lo
	v_cmpx_gt_i64_e64 s[8:9], v[2:3]
	s_cbranch_execz .LBB50_5
; %bb.7:                                ;   in Loop: Header=BB50_6 Depth=1
	v_add_co_u32 v41, vcc_lo, s4, v4
	s_wait_alu 0xfffd
	v_add_co_ci_u32_e64 v42, null, s5, v5, vcc_lo
	v_add_co_u32 v44, vcc_lo, s6, v4
	s_wait_alu 0xfffd
	v_add_co_ci_u32_e64 v45, null, s7, v5, vcc_lo
	global_load_b32 v42, v[41:42], off
	global_load_b32 v41, v[44:45], off
	s_branch .LBB50_5
.LBB50_8:
	v_mov_b32_e32 v1, v6
	s_mov_b64 s[2:3], s[18:19]
.LBB50_9:
	s_load_u16 s2, s[2:3], 0xe
	v_mov_b32_e32 v2, 0
	s_mov_b32 s0, ttmp9
	s_mov_b32 s1, 0
	s_wait_alu 0xfffe
	s_lshl_b64 s[0:1], s[0:1], 6
	s_wait_kmcnt 0x0
	s_cmp_eq_u64 s[12:13], 0
	s_wait_alu 0xfffe
	v_add_co_u32 v0, s0, s0, v7
	s_wait_alu 0xf1ff
	v_mad_co_u64_u32 v[2:3], null, s2, ttmp7, v[1:2]
	v_add_co_ci_u32_e64 v1, null, s1, 0, s0
	s_delay_alu instid0(VALU_DEP_1) | instskip(NEXT) | instid1(VALU_DEP_3)
	v_lshlrev_b64_e32 v[0:1], 2, v[0:1]
	v_mul_lo_u32 v3, v3, s10
	s_delay_alu instid0(VALU_DEP_4)
	v_mul_lo_u32 v4, v2, s11
	s_cbranch_scc1 .LBB50_11
; %bb.10:
	v_mad_co_u64_u32 v[5:6], null, v2, s10, 0
	s_delay_alu instid0(VALU_DEP_1) | instskip(NEXT) | instid1(VALU_DEP_1)
	v_add3_u32 v6, v6, v4, v3
	v_lshlrev_b64_e32 v[5:6], 2, v[5:6]
	s_delay_alu instid0(VALU_DEP_1) | instskip(SKIP_1) | instid1(VALU_DEP_2)
	v_add_co_u32 v5, vcc_lo, s12, v5
	s_wait_alu 0xfffd
	v_add_co_ci_u32_e64 v6, null, s13, v6, vcc_lo
	s_delay_alu instid0(VALU_DEP_2) | instskip(SKIP_1) | instid1(VALU_DEP_2)
	v_add_co_u32 v5, vcc_lo, v5, v0
	s_wait_alu 0xfffd
	v_add_co_ci_u32_e64 v6, null, v6, v1, vcc_lo
	global_store_b32 v[5:6], v26, off
.LBB50_11:
	s_cmp_eq_u64 s[14:15], 0
	s_cbranch_scc1 .LBB50_13
; %bb.12:
	v_mad_co_u64_u32 v[5:6], null, v2, s10, 0
	s_delay_alu instid0(VALU_DEP_1) | instskip(NEXT) | instid1(VALU_DEP_1)
	v_add3_u32 v6, v6, v4, v3
	v_lshlrev_b64_e32 v[2:3], 2, v[5:6]
	s_delay_alu instid0(VALU_DEP_1) | instskip(SKIP_1) | instid1(VALU_DEP_2)
	v_add_co_u32 v2, vcc_lo, s14, v2
	s_wait_alu 0xfffd
	v_add_co_ci_u32_e64 v3, null, s15, v3, vcc_lo
	s_delay_alu instid0(VALU_DEP_2) | instskip(SKIP_1) | instid1(VALU_DEP_2)
	v_add_co_u32 v0, vcc_lo, v2, v0
	s_wait_alu 0xfffd
	v_add_co_ci_u32_e64 v1, null, v3, v1, vcc_lo
	global_store_b32 v[0:1], v43, off
.LBB50_13:
	s_nop 0
	s_sendmsg sendmsg(MSG_DEALLOC_VGPRS)
	s_endpgm
	.section	.rodata,"a",@progbits
	.p2align	6, 0x0
	.amdhsa_kernel _ZN2at6native12_GLOBAL__N_135GammaBetaBackwardCUDAKernelTemplateIffLj64ELj1ELj32ELb1ELb1ELb0EEEvllPKT_S5_PKT0_S8_PS3_S9_
		.amdhsa_group_segment_fixed_size 0
		.amdhsa_private_segment_fixed_size 0
		.amdhsa_kernarg_size 320
		.amdhsa_user_sgpr_count 2
		.amdhsa_user_sgpr_dispatch_ptr 0
		.amdhsa_user_sgpr_queue_ptr 0
		.amdhsa_user_sgpr_kernarg_segment_ptr 1
		.amdhsa_user_sgpr_dispatch_id 0
		.amdhsa_user_sgpr_private_segment_size 0
		.amdhsa_wavefront_size32 1
		.amdhsa_uses_dynamic_stack 0
		.amdhsa_enable_private_segment 0
		.amdhsa_system_sgpr_workgroup_id_x 1
		.amdhsa_system_sgpr_workgroup_id_y 1
		.amdhsa_system_sgpr_workgroup_id_z 0
		.amdhsa_system_sgpr_workgroup_info 0
		.amdhsa_system_vgpr_workitem_id 1
		.amdhsa_next_free_vgpr 116
		.amdhsa_next_free_sgpr 29
		.amdhsa_reserve_vcc 1
		.amdhsa_float_round_mode_32 0
		.amdhsa_float_round_mode_16_64 0
		.amdhsa_float_denorm_mode_32 3
		.amdhsa_float_denorm_mode_16_64 3
		.amdhsa_fp16_overflow 0
		.amdhsa_workgroup_processor_mode 1
		.amdhsa_memory_ordered 1
		.amdhsa_forward_progress 1
		.amdhsa_inst_pref_size 35
		.amdhsa_round_robin_scheduling 0
		.amdhsa_exception_fp_ieee_invalid_op 0
		.amdhsa_exception_fp_denorm_src 0
		.amdhsa_exception_fp_ieee_div_zero 0
		.amdhsa_exception_fp_ieee_overflow 0
		.amdhsa_exception_fp_ieee_underflow 0
		.amdhsa_exception_fp_ieee_inexact 0
		.amdhsa_exception_int_div_zero 0
	.end_amdhsa_kernel
	.section	.text._ZN2at6native12_GLOBAL__N_135GammaBetaBackwardCUDAKernelTemplateIffLj64ELj1ELj32ELb1ELb1ELb0EEEvllPKT_S5_PKT0_S8_PS3_S9_,"axG",@progbits,_ZN2at6native12_GLOBAL__N_135GammaBetaBackwardCUDAKernelTemplateIffLj64ELj1ELj32ELb1ELb1ELb0EEEvllPKT_S5_PKT0_S8_PS3_S9_,comdat
.Lfunc_end50:
	.size	_ZN2at6native12_GLOBAL__N_135GammaBetaBackwardCUDAKernelTemplateIffLj64ELj1ELj32ELb1ELb1ELb0EEEvllPKT_S5_PKT0_S8_PS3_S9_, .Lfunc_end50-_ZN2at6native12_GLOBAL__N_135GammaBetaBackwardCUDAKernelTemplateIffLj64ELj1ELj32ELb1ELb1ELb0EEEvllPKT_S5_PKT0_S8_PS3_S9_
                                        ; -- End function
	.set _ZN2at6native12_GLOBAL__N_135GammaBetaBackwardCUDAKernelTemplateIffLj64ELj1ELj32ELb1ELb1ELb0EEEvllPKT_S5_PKT0_S8_PS3_S9_.num_vgpr, 116
	.set _ZN2at6native12_GLOBAL__N_135GammaBetaBackwardCUDAKernelTemplateIffLj64ELj1ELj32ELb1ELb1ELb0EEEvllPKT_S5_PKT0_S8_PS3_S9_.num_agpr, 0
	.set _ZN2at6native12_GLOBAL__N_135GammaBetaBackwardCUDAKernelTemplateIffLj64ELj1ELj32ELb1ELb1ELb0EEEvllPKT_S5_PKT0_S8_PS3_S9_.numbered_sgpr, 29
	.set _ZN2at6native12_GLOBAL__N_135GammaBetaBackwardCUDAKernelTemplateIffLj64ELj1ELj32ELb1ELb1ELb0EEEvllPKT_S5_PKT0_S8_PS3_S9_.num_named_barrier, 0
	.set _ZN2at6native12_GLOBAL__N_135GammaBetaBackwardCUDAKernelTemplateIffLj64ELj1ELj32ELb1ELb1ELb0EEEvllPKT_S5_PKT0_S8_PS3_S9_.private_seg_size, 0
	.set _ZN2at6native12_GLOBAL__N_135GammaBetaBackwardCUDAKernelTemplateIffLj64ELj1ELj32ELb1ELb1ELb0EEEvllPKT_S5_PKT0_S8_PS3_S9_.uses_vcc, 1
	.set _ZN2at6native12_GLOBAL__N_135GammaBetaBackwardCUDAKernelTemplateIffLj64ELj1ELj32ELb1ELb1ELb0EEEvllPKT_S5_PKT0_S8_PS3_S9_.uses_flat_scratch, 0
	.set _ZN2at6native12_GLOBAL__N_135GammaBetaBackwardCUDAKernelTemplateIffLj64ELj1ELj32ELb1ELb1ELb0EEEvllPKT_S5_PKT0_S8_PS3_S9_.has_dyn_sized_stack, 0
	.set _ZN2at6native12_GLOBAL__N_135GammaBetaBackwardCUDAKernelTemplateIffLj64ELj1ELj32ELb1ELb1ELb0EEEvllPKT_S5_PKT0_S8_PS3_S9_.has_recursion, 0
	.set _ZN2at6native12_GLOBAL__N_135GammaBetaBackwardCUDAKernelTemplateIffLj64ELj1ELj32ELb1ELb1ELb0EEEvllPKT_S5_PKT0_S8_PS3_S9_.has_indirect_call, 0
	.section	.AMDGPU.csdata,"",@progbits
; Kernel info:
; codeLenInByte = 4408
; TotalNumSgprs: 31
; NumVgprs: 116
; ScratchSize: 0
; MemoryBound: 0
; FloatMode: 240
; IeeeMode: 1
; LDSByteSize: 0 bytes/workgroup (compile time only)
; SGPRBlocks: 0
; VGPRBlocks: 14
; NumSGPRsForWavesPerEU: 31
; NumVGPRsForWavesPerEU: 116
; Occupancy: 12
; WaveLimiterHint : 0
; COMPUTE_PGM_RSRC2:SCRATCH_EN: 0
; COMPUTE_PGM_RSRC2:USER_SGPR: 2
; COMPUTE_PGM_RSRC2:TRAP_HANDLER: 0
; COMPUTE_PGM_RSRC2:TGID_X_EN: 1
; COMPUTE_PGM_RSRC2:TGID_Y_EN: 1
; COMPUTE_PGM_RSRC2:TGID_Z_EN: 0
; COMPUTE_PGM_RSRC2:TIDIG_COMP_CNT: 1
	.section	.text._ZN2at6native12_GLOBAL__N_135GammaBetaBackwardCUDAKernelTemplateIffLj64ELj1ELj32ELb1ELb0ELb0EEEvllPKT_S5_PKT0_S8_PS3_S9_,"axG",@progbits,_ZN2at6native12_GLOBAL__N_135GammaBetaBackwardCUDAKernelTemplateIffLj64ELj1ELj32ELb1ELb0ELb0EEEvllPKT_S5_PKT0_S8_PS3_S9_,comdat
	.globl	_ZN2at6native12_GLOBAL__N_135GammaBetaBackwardCUDAKernelTemplateIffLj64ELj1ELj32ELb1ELb0ELb0EEEvllPKT_S5_PKT0_S8_PS3_S9_ ; -- Begin function _ZN2at6native12_GLOBAL__N_135GammaBetaBackwardCUDAKernelTemplateIffLj64ELj1ELj32ELb1ELb0ELb0EEEvllPKT_S5_PKT0_S8_PS3_S9_
	.p2align	8
	.type	_ZN2at6native12_GLOBAL__N_135GammaBetaBackwardCUDAKernelTemplateIffLj64ELj1ELj32ELb1ELb0ELb0EEEvllPKT_S5_PKT0_S8_PS3_S9_,@function
_ZN2at6native12_GLOBAL__N_135GammaBetaBackwardCUDAKernelTemplateIffLj64ELj1ELj32ELb1ELb0ELb0EEEvllPKT_S5_PKT0_S8_PS3_S9_: ; @_ZN2at6native12_GLOBAL__N_135GammaBetaBackwardCUDAKernelTemplateIffLj64ELj1ELj32ELb1ELb0ELb0EEEvllPKT_S5_PKT0_S8_PS3_S9_
; %bb.0:
	s_clause 0x1
	s_load_b256 s[4:11], s[0:1], 0x0
	s_load_b128 s[12:15], s[0:1], 0x20
	s_lshl_b32 s30, ttmp9, 6
	s_mov_b32 s17, 0
	s_or_b32 s16, s30, 63
	v_mov_b32_e32 v227, v0
	s_wait_kmcnt 0x0
	v_cmp_le_i64_e64 s2, s[6:7], s[16:17]
	s_lshl_b32 s16, ttmp7, 5
	s_wait_alu 0xfffe
	v_cmp_gt_i64_e64 s31, s[4:5], s[16:17]
	s_and_b32 vcc_lo, exec_lo, s2
	v_cndmask_b32_e64 v0, 0, 1, s31
	s_delay_alu instid0(VALU_DEP_1)
	v_cmp_ne_u32_e64 s2, 1, v0
	s_cbranch_vccz .LBB51_141
; %bb.1:
	v_dual_mov_b32 v223, 0 :: v_dual_mov_b32 v170, 0
	s_and_b32 vcc_lo, exec_lo, s2
	s_cbranch_vccnz .LBB51_142
; %bb.2:
	v_bfe_u32 v38, v227, 10, 10
	v_dual_mov_b32 v1, 0 :: v_dual_and_b32 v40, 0x3ff, v227
	s_load_b32 s3, s[0:1], 0x44
	s_mov_b32 s19, 0
	s_delay_alu instid0(VALU_DEP_2) | instskip(NEXT) | instid1(VALU_DEP_2)
	v_dual_mov_b32 v202, 0 :: v_dual_lshlrev_b32 v39, 5, v38
	v_dual_mov_b32 v7, v1 :: v_dual_add_nc_u32 v6, s30, v40
	s_mov_b32 s23, s19
	s_delay_alu instid0(VALU_DEP_2) | instskip(NEXT) | instid1(VALU_DEP_1)
	v_add_co_u32 v4, s2, v39, s16
	v_add_co_ci_u32_e64 v5, null, 0, 0, s2
	s_delay_alu instid0(VALU_DEP_3) | instskip(NEXT) | instid1(VALU_DEP_3)
	v_cmp_gt_i64_e64 s2, s[6:7], v[6:7]
	v_mul_lo_u32 v0, s7, v4
	v_mad_co_u64_u32 v[2:3], null, s6, v4, 0
	s_delay_alu instid0(VALU_DEP_4)
	v_mul_lo_u32 v8, s6, v5
	v_lshlrev_b64_e32 v[34:35], 2, v[6:7]
	v_mov_b32_e32 v41, v1
	v_mov_b32_e32 v223, 0
	s_add_nc_u64 s[20:21], s[0:1], 64
	s_wait_kmcnt 0x0
	s_lshl_b32 s22, s3, 5
	s_mov_b64 s[26:27], 31
	s_mul_u64 s[24:25], s[6:7], s[22:23]
	v_add3_u32 v3, v3, v8, v0
	v_add_co_u32 v0, vcc_lo, v4, 31
	s_delay_alu instid0(VALU_DEP_1) | instskip(NEXT) | instid1(VALU_DEP_3)
	v_add_co_ci_u32_e64 v8, null, 0, v5, vcc_lo
	v_lshlrev_b64_e32 v[6:7], 2, v[2:3]
	s_delay_alu instid0(VALU_DEP_3) | instskip(SKIP_1) | instid1(VALU_DEP_3)
	v_mul_lo_u32 v12, s7, v0
	s_lshl_b64 s[24:25], s[24:25], 2
	v_mul_lo_u32 v13, s6, v8
	v_mad_co_u64_u32 v[8:9], null, s6, v0, 0
	v_add_co_u32 v0, vcc_lo, v4, 30
	s_wait_alu 0xfffd
	v_add_co_ci_u32_e64 v10, null, 0, v5, vcc_lo
	v_add_co_u32 v42, vcc_lo, s8, v6
	s_delay_alu instid0(VALU_DEP_3) | instskip(NEXT) | instid1(VALU_DEP_3)
	v_mul_lo_u32 v14, s7, v0
	v_mul_lo_u32 v15, s6, v10
	v_mad_co_u64_u32 v[10:11], null, s6, v0, 0
	s_wait_alu 0xfffd
	v_add_co_ci_u32_e64 v43, null, s9, v7, vcc_lo
	v_add_co_u32 v44, vcc_lo, s10, v6
	s_wait_alu 0xfffd
	v_add_co_ci_u32_e64 v45, null, s11, v7, vcc_lo
	v_add_co_u32 v0, vcc_lo, v4, 29
	v_add3_u32 v9, v9, v13, v12
	v_add3_u32 v11, v11, v15, v14
	s_wait_alu 0xfffd
	v_add_co_ci_u32_e64 v12, null, 0, v5, vcc_lo
	v_mul_lo_u32 v13, s7, v0
	v_lshlrev_b64_e32 v[6:7], 2, v[8:9]
	v_lshlrev_b64_e32 v[8:9], 2, v[10:11]
	s_delay_alu instid0(VALU_DEP_4)
	v_mul_lo_u32 v12, s6, v12
	v_mad_co_u64_u32 v[10:11], null, s6, v0, 0
	s_mov_b64 s[28:29], s[16:17]
	v_add_co_u32 v46, vcc_lo, s8, v6
	s_wait_alu 0xfffd
	v_add_co_ci_u32_e64 v47, null, s9, v7, vcc_lo
	v_add_co_u32 v48, vcc_lo, s10, v6
	v_add3_u32 v11, v11, v12, v13
	s_wait_alu 0xfffd
	v_add_co_ci_u32_e64 v49, null, s11, v7, vcc_lo
	v_add_co_u32 v50, vcc_lo, s8, v8
	s_wait_alu 0xfffd
	v_add_co_ci_u32_e64 v51, null, s9, v9, vcc_lo
	v_add_co_u32 v0, vcc_lo, v4, 28
	v_add_co_u32 v52, s3, s10, v8
	v_lshlrev_b64_e32 v[6:7], 2, v[10:11]
	s_wait_alu 0xfffd
	v_add_co_ci_u32_e64 v8, null, 0, v5, vcc_lo
	v_add_co_u32 v10, vcc_lo, v4, 27
	s_wait_alu 0xfffd
	v_add_co_ci_u32_e64 v11, null, 0, v5, vcc_lo
	s_wait_alu 0xf1ff
	v_add_co_ci_u32_e64 v53, null, s11, v9, s3
	v_mul_lo_u32 v12, s7, v0
	v_mul_lo_u32 v13, s6, v8
	v_mad_co_u64_u32 v[8:9], null, s6, v0, 0
	v_mul_lo_u32 v0, s7, v10
	v_mul_lo_u32 v14, s6, v11
	v_mad_co_u64_u32 v[10:11], null, s6, v10, 0
	v_add_co_u32 v54, vcc_lo, s8, v6
	s_wait_alu 0xfffd
	v_add_co_ci_u32_e64 v55, null, s9, v7, vcc_lo
	v_add_co_u32 v56, vcc_lo, s10, v6
	s_wait_alu 0xfffd
	v_add_co_ci_u32_e64 v57, null, s11, v7, vcc_lo
	v_add3_u32 v11, v11, v14, v0
	v_add_co_u32 v0, vcc_lo, v4, 26
	v_add3_u32 v9, v9, v13, v12
	s_wait_alu 0xfffd
	v_add_co_ci_u32_e64 v12, null, 0, v5, vcc_lo
	s_delay_alu instid0(VALU_DEP_3) | instskip(NEXT) | instid1(VALU_DEP_3)
	v_mul_lo_u32 v13, s7, v0
	v_lshlrev_b64_e32 v[6:7], 2, v[8:9]
	v_lshlrev_b64_e32 v[8:9], 2, v[10:11]
	s_delay_alu instid0(VALU_DEP_4) | instskip(SKIP_1) | instid1(VALU_DEP_4)
	v_mul_lo_u32 v12, s6, v12
	v_mad_co_u64_u32 v[10:11], null, s6, v0, 0
	v_add_co_u32 v58, vcc_lo, s8, v6
	s_wait_alu 0xfffd
	v_add_co_ci_u32_e64 v59, null, s9, v7, vcc_lo
	v_add_co_u32 v60, vcc_lo, s10, v6
	s_delay_alu instid0(VALU_DEP_4)
	v_add3_u32 v11, v11, v12, v13
	s_wait_alu 0xfffd
	v_add_co_ci_u32_e64 v61, null, s11, v7, vcc_lo
	v_add_co_u32 v62, vcc_lo, s8, v8
	s_wait_alu 0xfffd
	v_add_co_ci_u32_e64 v63, null, s9, v9, vcc_lo
	v_add_co_u32 v0, vcc_lo, v4, 25
	v_add_co_u32 v64, s3, s10, v8
	v_lshlrev_b64_e32 v[6:7], 2, v[10:11]
	s_wait_alu 0xfffd
	v_add_co_ci_u32_e64 v8, null, 0, v5, vcc_lo
	v_add_co_u32 v10, vcc_lo, v4, 24
	s_wait_alu 0xfffd
	v_add_co_ci_u32_e64 v11, null, 0, v5, vcc_lo
	s_wait_alu 0xf1ff
	v_add_co_ci_u32_e64 v65, null, s11, v9, s3
	v_mul_lo_u32 v12, s7, v0
	v_mul_lo_u32 v13, s6, v8
	v_mad_co_u64_u32 v[8:9], null, s6, v0, 0
	v_mul_lo_u32 v0, s7, v10
	v_mul_lo_u32 v14, s6, v11
	v_mad_co_u64_u32 v[10:11], null, s6, v10, 0
	v_add_co_u32 v66, vcc_lo, s8, v6
	s_wait_alu 0xfffd
	v_add_co_ci_u32_e64 v67, null, s9, v7, vcc_lo
	v_add_co_u32 v68, vcc_lo, s10, v6
	s_wait_alu 0xfffd
	v_add_co_ci_u32_e64 v69, null, s11, v7, vcc_lo
	v_add3_u32 v11, v11, v14, v0
	v_add_co_u32 v0, vcc_lo, v4, 23
	v_add3_u32 v9, v9, v13, v12
	s_wait_alu 0xfffd
	v_add_co_ci_u32_e64 v12, null, 0, v5, vcc_lo
	s_delay_alu instid0(VALU_DEP_3) | instskip(NEXT) | instid1(VALU_DEP_3)
	v_mul_lo_u32 v13, s7, v0
	v_lshlrev_b64_e32 v[6:7], 2, v[8:9]
	v_lshlrev_b64_e32 v[8:9], 2, v[10:11]
	s_delay_alu instid0(VALU_DEP_4) | instskip(SKIP_1) | instid1(VALU_DEP_4)
	v_mul_lo_u32 v12, s6, v12
	v_mad_co_u64_u32 v[10:11], null, s6, v0, 0
	v_add_co_u32 v70, vcc_lo, s8, v6
	s_wait_alu 0xfffd
	v_add_co_ci_u32_e64 v71, null, s9, v7, vcc_lo
	v_add_co_u32 v72, vcc_lo, s10, v6
	s_delay_alu instid0(VALU_DEP_4)
	;; [unrolled: 45-line block ×6, first 2 shown]
	v_add3_u32 v11, v11, v13, v14
	s_wait_alu 0xfffd
	v_add_co_ci_u32_e64 v120, null, s11, v7, vcc_lo
	v_add_co_u32 v121, vcc_lo, s8, v8
	s_wait_alu 0xfffd
	v_add_co_ci_u32_e64 v122, null, s9, v9, vcc_lo
	v_add_co_u32 v12, vcc_lo, v4, 10
	v_add_co_u32 v123, s3, s10, v8
	v_lshlrev_b64_e32 v[6:7], 2, v[10:11]
	s_wait_alu 0xfffd
	v_add_co_ci_u32_e64 v8, null, 0, v5, vcc_lo
	v_add_co_u32 v10, vcc_lo, v4, 9
	s_wait_alu 0xfffd
	v_add_co_ci_u32_e64 v11, null, 0, v5, vcc_lo
	s_wait_alu 0xf1ff
	v_add_co_ci_u32_e64 v124, null, s11, v9, s3
	v_mul_lo_u32 v13, s7, v12
	v_mul_lo_u32 v14, s6, v8
	v_mad_co_u64_u32 v[8:9], null, s6, v12, 0
	v_mul_lo_u32 v12, s7, v10
	v_mul_lo_u32 v15, s6, v11
	v_mad_co_u64_u32 v[10:11], null, s6, v10, 0
	v_add_co_u32 v125, vcc_lo, s8, v6
	s_wait_alu 0xfffd
	v_add_co_ci_u32_e64 v126, null, s9, v7, vcc_lo
	v_add_co_u32 v127, vcc_lo, s10, v6
	v_add3_u32 v9, v9, v14, v13
	s_wait_alu 0xfffd
	v_add_co_ci_u32_e64 v128, null, s11, v7, vcc_lo
	v_add3_u32 v11, v11, v15, v12
	v_add_co_u32 v12, vcc_lo, v4, 8
	s_wait_alu 0xfffd
	v_add_co_ci_u32_e64 v13, null, 0, v5, vcc_lo
	v_lshlrev_b64_e32 v[6:7], 2, v[8:9]
	v_lshlrev_b64_e32 v[8:9], 2, v[10:11]
	v_mul_lo_u32 v14, s7, v12
	s_delay_alu instid0(VALU_DEP_4)
	v_mul_lo_u32 v13, s6, v13
	v_mad_co_u64_u32 v[10:11], null, s6, v12, 0
	v_add_co_u32 v129, vcc_lo, s8, v6
	s_wait_alu 0xfffd
	v_add_co_ci_u32_e64 v130, null, s9, v7, vcc_lo
	v_add_co_u32 v131, vcc_lo, s10, v6
	s_wait_alu 0xfffd
	v_add_co_ci_u32_e64 v132, null, s11, v7, vcc_lo
	v_add_co_u32 v133, vcc_lo, s8, v8
	v_add3_u32 v11, v11, v13, v14
	s_wait_alu 0xfffd
	v_add_co_ci_u32_e64 v134, null, s9, v9, vcc_lo
	v_add_co_u32 v12, vcc_lo, v4, 7
	v_add_co_u32 v135, s3, s10, v8
	s_wait_alu 0xfffd
	v_add_co_ci_u32_e64 v8, null, 0, v5, vcc_lo
	v_lshlrev_b64_e32 v[6:7], 2, v[10:11]
	v_add_co_u32 v10, vcc_lo, v4, 6
	s_wait_alu 0xfffd
	v_add_co_ci_u32_e64 v11, null, 0, v5, vcc_lo
	s_wait_alu 0xf1ff
	v_add_co_ci_u32_e64 v136, null, s11, v9, s3
	v_mul_lo_u32 v13, s7, v12
	v_mul_lo_u32 v14, s6, v8
	v_mad_co_u64_u32 v[8:9], null, s6, v12, 0
	v_mul_lo_u32 v12, s7, v10
	v_mul_lo_u32 v15, s6, v11
	v_mad_co_u64_u32 v[10:11], null, s6, v10, 0
	v_add_co_u32 v137, vcc_lo, s8, v6
	v_add3_u32 v9, v9, v14, v13
	s_wait_alu 0xfffd
	v_add_co_ci_u32_e64 v138, null, s9, v7, vcc_lo
	v_add_co_u32 v139, vcc_lo, s10, v6
	s_wait_alu 0xfffd
	v_add_co_ci_u32_e64 v140, null, s11, v7, vcc_lo
	v_add3_u32 v11, v11, v15, v12
	v_add_co_u32 v12, vcc_lo, v4, 5
	v_lshlrev_b64_e32 v[6:7], 2, v[8:9]
	s_wait_alu 0xfffd
	v_add_co_ci_u32_e64 v13, null, 0, v5, vcc_lo
	v_lshlrev_b64_e32 v[8:9], 2, v[10:11]
	v_mul_lo_u32 v14, s7, v12
	v_mad_co_u64_u32 v[10:11], null, s6, v12, 0
	v_add_co_u32 v141, vcc_lo, s8, v6
	v_mul_lo_u32 v13, s6, v13
	s_wait_alu 0xfffd
	v_add_co_ci_u32_e64 v142, null, s9, v7, vcc_lo
	v_add_co_u32 v143, vcc_lo, s10, v6
	s_wait_alu 0xfffd
	v_add_co_ci_u32_e64 v144, null, s11, v7, vcc_lo
	v_add_co_u32 v145, vcc_lo, s8, v8
	;; [unrolled: 3-line block ×3, first 2 shown]
	v_add3_u32 v11, v11, v13, v14
	v_add_co_u32 v147, s3, s10, v8
	s_wait_alu 0xfffd
	v_add_co_ci_u32_e64 v8, null, 0, v5, vcc_lo
	s_wait_alu 0xf1ff
	v_add_co_ci_u32_e64 v148, null, s11, v9, s3
	v_lshlrev_b64_e32 v[6:7], 2, v[10:11]
	v_mul_lo_u32 v13, s7, v12
	v_add_co_u32 v10, vcc_lo, v4, 3
	v_mul_lo_u32 v14, s6, v8
	v_mad_co_u64_u32 v[8:9], null, s6, v12, 0
	s_wait_alu 0xfffd
	v_add_co_ci_u32_e64 v11, null, 0, v5, vcc_lo
	v_mul_lo_u32 v12, s7, v10
	v_add_co_u32 v149, vcc_lo, s8, v6
	s_delay_alu instid0(VALU_DEP_3)
	v_mul_lo_u32 v15, s6, v11
	v_mad_co_u64_u32 v[10:11], null, s6, v10, 0
	v_add3_u32 v9, v9, v14, v13
	s_wait_alu 0xfffd
	v_add_co_ci_u32_e64 v150, null, s9, v7, vcc_lo
	v_add_co_u32 v151, vcc_lo, s10, v6
	s_wait_alu 0xfffd
	v_add_co_ci_u32_e64 v152, null, s11, v7, vcc_lo
	v_lshlrev_b64_e32 v[6:7], 2, v[8:9]
	v_add_co_u32 v8, vcc_lo, v4, 2
	v_add3_u32 v11, v11, v15, v12
	s_wait_alu 0xfffd
	v_add_co_ci_u32_e64 v9, null, 0, v5, vcc_lo
	s_delay_alu instid0(VALU_DEP_4) | instskip(NEXT) | instid1(VALU_DEP_3)
	v_add_co_u32 v153, vcc_lo, s8, v6
	v_lshlrev_b64_e32 v[4:5], 2, v[10:11]
	v_mul_lo_u32 v10, s7, v8
	s_delay_alu instid0(VALU_DEP_4)
	v_mul_lo_u32 v11, s6, v9
	v_mad_co_u64_u32 v[8:9], null, s6, v8, 0
	s_wait_alu 0xfffd
	v_add_co_ci_u32_e64 v154, null, s9, v7, vcc_lo
	v_add_co_u32 v155, vcc_lo, s10, v6
	s_wait_alu 0xfffd
	v_add_co_ci_u32_e64 v156, null, s11, v7, vcc_lo
	v_add_co_u32 v157, vcc_lo, s8, v4
	s_wait_alu 0xfffd
	v_add_co_ci_u32_e64 v158, null, s9, v5, vcc_lo
	v_add3_u32 v9, v9, v11, v10
	v_add_co_u32 v159, vcc_lo, s10, v4
	s_wait_alu 0xfffd
	v_add_co_ci_u32_e64 v160, null, s11, v5, vcc_lo
	v_add_co_u32 v2, vcc_lo, v2, s6
	s_wait_alu 0xfffd
	v_add_co_ci_u32_e64 v3, null, s7, v3, vcc_lo
	v_lshlrev_b64_e32 v[4:5], 2, v[8:9]
	s_delay_alu instid0(VALU_DEP_2) | instskip(NEXT) | instid1(VALU_DEP_2)
	v_lshlrev_b64_e32 v[2:3], 2, v[2:3]
	v_add_co_u32 v161, vcc_lo, s8, v4
	s_wait_alu 0xfffd
	s_delay_alu instid0(VALU_DEP_3)
	v_add_co_ci_u32_e64 v162, null, s9, v5, vcc_lo
	v_add_co_u32 v163, vcc_lo, s10, v4
	s_wait_alu 0xfffd
	v_add_co_ci_u32_e64 v164, null, s11, v5, vcc_lo
	v_add_co_u32 v166, vcc_lo, s8, v2
	s_wait_alu 0xfffd
	;; [unrolled: 3-line block ×3, first 2 shown]
	v_add_co_ci_u32_e64 v169, null, s11, v3, vcc_lo
.LBB51_3:                               ; =>This Inner Loop Header: Depth=1
	s_add_nc_u64 s[34:35], s[16:17], s[26:27]
	v_add_co_u32 v36, vcc_lo, s16, v39
	s_wait_alu 0xfffe
	v_cmp_ge_i64_e64 s3, s[34:35], s[4:5]
	s_wait_alu 0xfffd
	v_add_co_ci_u32_e64 v37, null, 0, v41, vcc_lo
                                        ; implicit-def: $vgpr2_vgpr3_vgpr4_vgpr5_vgpr6_vgpr7_vgpr8_vgpr9_vgpr10_vgpr11_vgpr12_vgpr13_vgpr14_vgpr15_vgpr16_vgpr17_vgpr18_vgpr19_vgpr20_vgpr21_vgpr22_vgpr23_vgpr24_vgpr25_vgpr26_vgpr27_vgpr28_vgpr29_vgpr30_vgpr31_vgpr32_vgpr33
                                        ; implicit-def: $vgpr165
                                        ; implicit-def: $vgpr186
                                        ; implicit-def: $vgpr2
                                        ; implicit-def: $vgpr3
                                        ; implicit-def: $vgpr170
	s_and_b32 vcc_lo, exec_lo, s3
	s_mov_b32 s3, -1
	s_wait_alu 0xfffe
	s_cbranch_vccz .LBB51_71
; %bb.4:                                ;   in Loop: Header=BB51_3 Depth=1
	s_load_b32 s3, s[20:21], 0xc
	v_dual_mov_b32 v172, 0 :: v_dual_mov_b32 v171, 0
	v_mov_b32_e32 v165, 0
	s_wait_kmcnt 0x0
	s_and_b32 s3, s3, 0xffff
	s_wait_alu 0xfffe
	v_mad_u32_u24 v2, v38, s3, v40
	s_mov_b32 s3, exec_lo
	s_delay_alu instid0(VALU_DEP_1) | instskip(NEXT) | instid1(VALU_DEP_1)
	v_and_b32_e32 v2, 31, v2
	v_add_co_u32 v2, vcc_lo, v36, v2
	s_wait_alu 0xfffd
	v_add_co_ci_u32_e64 v3, null, 0, v37, vcc_lo
	s_delay_alu instid0(VALU_DEP_1)
	v_cmpx_gt_i64_e64 s[4:5], v[2:3]
	s_cbranch_execz .LBB51_6
; %bb.5:                                ;   in Loop: Header=BB51_3 Depth=1
	v_lshlrev_b64_e32 v[2:3], 2, v[2:3]
	s_delay_alu instid0(VALU_DEP_1) | instskip(SKIP_1) | instid1(VALU_DEP_2)
	v_add_co_u32 v4, vcc_lo, s12, v2
	s_wait_alu 0xfffd
	v_add_co_ci_u32_e64 v5, null, s13, v3, vcc_lo
	v_add_co_u32 v2, vcc_lo, s14, v2
	s_wait_alu 0xfffd
	v_add_co_ci_u32_e64 v3, null, s15, v3, vcc_lo
	global_load_b32 v171, v[4:5], off
	global_load_b32 v172, v[2:3], off
.LBB51_6:                               ;   in Loop: Header=BB51_3 Depth=1
	s_wait_alu 0xfffe
	s_or_b32 exec_lo, exec_lo, s3
	v_mov_b32_e32 v32, v1
	v_cmp_gt_i64_e32 vcc_lo, s[4:5], v[36:37]
	v_dual_mov_b32 v2, v1 :: v_dual_mov_b32 v3, v1
	v_dual_mov_b32 v4, v1 :: v_dual_mov_b32 v5, v1
	;; [unrolled: 1-line block ×15, first 2 shown]
	v_mov_b32_e32 v33, v32
	s_delay_alu instid0(VALU_DEP_2) | instskip(NEXT) | instid1(VALU_DEP_3)
	v_mov_b32_e32 v32, v31
	v_mov_b32_e32 v31, v30
	;; [unrolled: 1-line block ×31, first 2 shown]
	s_and_b32 s18, s2, vcc_lo
	s_delay_alu instid0(SALU_CYCLE_1)
	s_and_saveexec_b32 s3, s18
	s_cbranch_execz .LBB51_8
; %bb.7:                                ;   in Loop: Header=BB51_3 Depth=1
	v_add_co_u32 v2, vcc_lo, v42, v34
	s_wait_alu 0xfffd
	v_add_co_ci_u32_e64 v3, null, v43, v35, vcc_lo
	v_add_co_u32 v4, vcc_lo, v44, v34
	s_wait_alu 0xfffd
	v_add_co_ci_u32_e64 v5, null, v45, v35, vcc_lo
	global_load_b32 v2, v[2:3], off
	global_load_b32 v165, v[4:5], off
	v_dual_mov_b32 v3, v1 :: v_dual_mov_b32 v4, v1
	v_dual_mov_b32 v5, v1 :: v_dual_mov_b32 v6, v1
	;; [unrolled: 1-line block ×15, first 2 shown]
	v_mov_b32_e32 v33, v1
.LBB51_8:                               ;   in Loop: Header=BB51_3 Depth=1
	s_wait_alu 0xfffe
	s_or_b32 exec_lo, exec_lo, s3
	v_add_co_u32 v173, vcc_lo, v36, 1
	s_wait_alu 0xfffd
	v_add_co_ci_u32_e64 v174, null, 0, v37, vcc_lo
	s_delay_alu instid0(VALU_DEP_1) | instskip(SKIP_2) | instid1(SALU_CYCLE_1)
	v_cmp_gt_i64_e32 vcc_lo, s[4:5], v[173:174]
	v_dual_mov_b32 v173, 0 :: v_dual_mov_b32 v174, 0
	s_and_b32 s18, s2, vcc_lo
	s_and_saveexec_b32 s3, s18
	s_cbranch_execz .LBB51_10
; %bb.9:                                ;   in Loop: Header=BB51_3 Depth=1
	v_add_co_u32 v174, vcc_lo, v166, v34
	s_wait_alu 0xfffd
	v_add_co_ci_u32_e64 v175, null, v167, v35, vcc_lo
	v_add_co_u32 v176, vcc_lo, v168, v34
	s_wait_alu 0xfffd
	v_add_co_ci_u32_e64 v177, null, v169, v35, vcc_lo
	global_load_b32 v3, v[174:175], off
	global_load_b32 v174, v[176:177], off
.LBB51_10:                              ;   in Loop: Header=BB51_3 Depth=1
	s_wait_alu 0xfffe
	s_or_b32 exec_lo, exec_lo, s3
	v_add_co_u32 v175, vcc_lo, v36, 2
	s_wait_alu 0xfffd
	v_add_co_ci_u32_e64 v176, null, 0, v37, vcc_lo
	s_delay_alu instid0(VALU_DEP_1) | instskip(SKIP_1) | instid1(SALU_CYCLE_1)
	v_cmp_gt_i64_e32 vcc_lo, s[4:5], v[175:176]
	s_and_b32 s18, s2, vcc_lo
	s_and_saveexec_b32 s3, s18
	s_cbranch_execz .LBB51_12
; %bb.11:                               ;   in Loop: Header=BB51_3 Depth=1
	v_add_co_u32 v175, vcc_lo, v161, v34
	s_wait_alu 0xfffd
	v_add_co_ci_u32_e64 v176, null, v162, v35, vcc_lo
	v_add_co_u32 v177, vcc_lo, v163, v34
	s_wait_alu 0xfffd
	v_add_co_ci_u32_e64 v178, null, v164, v35, vcc_lo
	global_load_b32 v4, v[175:176], off
	global_load_b32 v173, v[177:178], off
.LBB51_12:                              ;   in Loop: Header=BB51_3 Depth=1
	s_wait_alu 0xfffe
	s_or_b32 exec_lo, exec_lo, s3
	v_add_co_u32 v175, vcc_lo, v36, 3
	s_wait_alu 0xfffd
	v_add_co_ci_u32_e64 v176, null, 0, v37, vcc_lo
	s_delay_alu instid0(VALU_DEP_1) | instskip(SKIP_2) | instid1(SALU_CYCLE_1)
	v_cmp_gt_i64_e32 vcc_lo, s[4:5], v[175:176]
	v_dual_mov_b32 v175, 0 :: v_dual_mov_b32 v176, 0
	s_and_b32 s18, s2, vcc_lo
	s_and_saveexec_b32 s3, s18
	s_cbranch_execz .LBB51_14
; %bb.13:                               ;   in Loop: Header=BB51_3 Depth=1
	v_add_co_u32 v176, vcc_lo, v157, v34
	s_wait_alu 0xfffd
	v_add_co_ci_u32_e64 v177, null, v158, v35, vcc_lo
	v_add_co_u32 v178, vcc_lo, v159, v34
	s_wait_alu 0xfffd
	v_add_co_ci_u32_e64 v179, null, v160, v35, vcc_lo
	global_load_b32 v5, v[176:177], off
	global_load_b32 v176, v[178:179], off
.LBB51_14:                              ;   in Loop: Header=BB51_3 Depth=1
	s_wait_alu 0xfffe
	s_or_b32 exec_lo, exec_lo, s3
	v_add_co_u32 v177, vcc_lo, v36, 4
	s_wait_alu 0xfffd
	v_add_co_ci_u32_e64 v178, null, 0, v37, vcc_lo
	s_delay_alu instid0(VALU_DEP_1) | instskip(SKIP_1) | instid1(SALU_CYCLE_1)
	v_cmp_gt_i64_e32 vcc_lo, s[4:5], v[177:178]
	s_and_b32 s18, s2, vcc_lo
	s_and_saveexec_b32 s3, s18
	s_cbranch_execz .LBB51_16
; %bb.15:                               ;   in Loop: Header=BB51_3 Depth=1
	v_add_co_u32 v177, vcc_lo, v153, v34
	s_wait_alu 0xfffd
	v_add_co_ci_u32_e64 v178, null, v154, v35, vcc_lo
	v_add_co_u32 v179, vcc_lo, v155, v34
	s_wait_alu 0xfffd
	v_add_co_ci_u32_e64 v180, null, v156, v35, vcc_lo
	global_load_b32 v6, v[177:178], off
	global_load_b32 v175, v[179:180], off
.LBB51_16:                              ;   in Loop: Header=BB51_3 Depth=1
	s_wait_alu 0xfffe
	s_or_b32 exec_lo, exec_lo, s3
	v_add_co_u32 v177, vcc_lo, v36, 5
	s_wait_alu 0xfffd
	v_add_co_ci_u32_e64 v178, null, 0, v37, vcc_lo
	s_delay_alu instid0(VALU_DEP_1) | instskip(SKIP_2) | instid1(SALU_CYCLE_1)
	v_cmp_gt_i64_e32 vcc_lo, s[4:5], v[177:178]
	v_dual_mov_b32 v177, 0 :: v_dual_mov_b32 v178, 0
	s_and_b32 s18, s2, vcc_lo
	s_and_saveexec_b32 s3, s18
	s_cbranch_execz .LBB51_18
; %bb.17:                               ;   in Loop: Header=BB51_3 Depth=1
	v_add_co_u32 v178, vcc_lo, v149, v34
	s_wait_alu 0xfffd
	v_add_co_ci_u32_e64 v179, null, v150, v35, vcc_lo
	v_add_co_u32 v180, vcc_lo, v151, v34
	s_wait_alu 0xfffd
	v_add_co_ci_u32_e64 v181, null, v152, v35, vcc_lo
	global_load_b32 v7, v[178:179], off
	global_load_b32 v178, v[180:181], off
.LBB51_18:                              ;   in Loop: Header=BB51_3 Depth=1
	;; [unrolled: 41-line block ×5, first 2 shown]
	s_wait_alu 0xfffe
	s_or_b32 exec_lo, exec_lo, s3
	v_add_co_u32 v185, vcc_lo, v36, 12
	s_wait_alu 0xfffd
	v_add_co_ci_u32_e64 v186, null, 0, v37, vcc_lo
	s_delay_alu instid0(VALU_DEP_1) | instskip(SKIP_1) | instid1(SALU_CYCLE_1)
	v_cmp_gt_i64_e32 vcc_lo, s[4:5], v[185:186]
	s_and_b32 s18, s2, vcc_lo
	s_and_saveexec_b32 s3, s18
	s_cbranch_execz .LBB51_32
; %bb.31:                               ;   in Loop: Header=BB51_3 Depth=1
	v_add_co_u32 v185, vcc_lo, v121, v34
	s_wait_alu 0xfffd
	v_add_co_ci_u32_e64 v186, null, v122, v35, vcc_lo
	v_add_co_u32 v187, vcc_lo, v123, v34
	s_wait_alu 0xfffd
	v_add_co_ci_u32_e64 v188, null, v124, v35, vcc_lo
	global_load_b32 v14, v[185:186], off
	global_load_b32 v183, v[187:188], off
.LBB51_32:                              ;   in Loop: Header=BB51_3 Depth=1
	s_wait_alu 0xfffe
	s_or_b32 exec_lo, exec_lo, s3
	v_add_co_u32 v185, vcc_lo, v36, 13
	s_wait_alu 0xfffd
	v_add_co_ci_u32_e64 v186, null, 0, v37, vcc_lo
	v_mov_b32_e32 v187, 0
	s_delay_alu instid0(VALU_DEP_2) | instskip(SKIP_2) | instid1(SALU_CYCLE_1)
	v_cmp_gt_i64_e32 vcc_lo, s[4:5], v[185:186]
	v_mov_b32_e32 v185, 0
	s_and_b32 s18, s2, vcc_lo
	s_and_saveexec_b32 s3, s18
	s_cbranch_execz .LBB51_34
; %bb.33:                               ;   in Loop: Header=BB51_3 Depth=1
	v_add_co_u32 v186, vcc_lo, v117, v34
	s_wait_alu 0xfffd
	v_add_co_ci_u32_e64 v187, null, v118, v35, vcc_lo
	v_add_co_u32 v188, vcc_lo, v119, v34
	s_wait_alu 0xfffd
	v_add_co_ci_u32_e64 v189, null, v120, v35, vcc_lo
	global_load_b32 v15, v[186:187], off
	global_load_b32 v187, v[188:189], off
.LBB51_34:                              ;   in Loop: Header=BB51_3 Depth=1
	s_wait_alu 0xfffe
	s_or_b32 exec_lo, exec_lo, s3
	v_add_co_u32 v188, vcc_lo, v36, 14
	s_wait_alu 0xfffd
	v_add_co_ci_u32_e64 v189, null, 0, v37, vcc_lo
	s_delay_alu instid0(VALU_DEP_1) | instskip(SKIP_1) | instid1(SALU_CYCLE_1)
	v_cmp_gt_i64_e32 vcc_lo, s[4:5], v[188:189]
	s_and_b32 s18, s2, vcc_lo
	s_and_saveexec_b32 s3, s18
	s_cbranch_execz .LBB51_36
; %bb.35:                               ;   in Loop: Header=BB51_3 Depth=1
	v_add_co_u32 v185, vcc_lo, v113, v34
	s_wait_alu 0xfffd
	v_add_co_ci_u32_e64 v186, null, v114, v35, vcc_lo
	v_add_co_u32 v188, vcc_lo, v115, v34
	s_wait_alu 0xfffd
	v_add_co_ci_u32_e64 v189, null, v116, v35, vcc_lo
	global_load_b32 v16, v[185:186], off
	global_load_b32 v185, v[188:189], off
.LBB51_36:                              ;   in Loop: Header=BB51_3 Depth=1
	s_wait_alu 0xfffe
	s_or_b32 exec_lo, exec_lo, s3
	v_add_co_u32 v188, vcc_lo, v36, 15
	s_wait_alu 0xfffd
	v_add_co_ci_u32_e64 v189, null, 0, v37, vcc_lo
	s_delay_alu instid0(VALU_DEP_1) | instskip(SKIP_2) | instid1(SALU_CYCLE_1)
	v_cmp_gt_i64_e32 vcc_lo, s[4:5], v[188:189]
	v_dual_mov_b32 v188, 0 :: v_dual_mov_b32 v189, 0
	s_and_b32 s18, s2, vcc_lo
	s_and_saveexec_b32 s3, s18
	s_cbranch_execz .LBB51_38
; %bb.37:                               ;   in Loop: Header=BB51_3 Depth=1
	v_add_co_u32 v189, vcc_lo, v109, v34
	s_wait_alu 0xfffd
	v_add_co_ci_u32_e64 v190, null, v110, v35, vcc_lo
	v_add_co_u32 v191, vcc_lo, v111, v34
	s_wait_alu 0xfffd
	v_add_co_ci_u32_e64 v192, null, v112, v35, vcc_lo
	global_load_b32 v17, v[189:190], off
	global_load_b32 v189, v[191:192], off
.LBB51_38:                              ;   in Loop: Header=BB51_3 Depth=1
	s_wait_alu 0xfffe
	s_or_b32 exec_lo, exec_lo, s3
	v_add_co_u32 v190, vcc_lo, v36, 16
	s_wait_alu 0xfffd
	v_add_co_ci_u32_e64 v191, null, 0, v37, vcc_lo
	s_delay_alu instid0(VALU_DEP_1) | instskip(SKIP_1) | instid1(SALU_CYCLE_1)
	v_cmp_gt_i64_e32 vcc_lo, s[4:5], v[190:191]
	s_and_b32 s18, s2, vcc_lo
	s_and_saveexec_b32 s3, s18
	s_cbranch_execz .LBB51_40
; %bb.39:                               ;   in Loop: Header=BB51_3 Depth=1
	v_add_co_u32 v190, vcc_lo, v105, v34
	s_wait_alu 0xfffd
	v_add_co_ci_u32_e64 v191, null, v106, v35, vcc_lo
	v_add_co_u32 v192, vcc_lo, v107, v34
	s_wait_alu 0xfffd
	v_add_co_ci_u32_e64 v193, null, v108, v35, vcc_lo
	global_load_b32 v18, v[190:191], off
	global_load_b32 v188, v[192:193], off
.LBB51_40:                              ;   in Loop: Header=BB51_3 Depth=1
	s_wait_alu 0xfffe
	s_or_b32 exec_lo, exec_lo, s3
	v_add_co_u32 v190, vcc_lo, v36, 17
	s_wait_alu 0xfffd
	v_add_co_ci_u32_e64 v191, null, 0, v37, vcc_lo
	s_delay_alu instid0(VALU_DEP_1) | instskip(SKIP_2) | instid1(SALU_CYCLE_1)
	v_cmp_gt_i64_e32 vcc_lo, s[4:5], v[190:191]
	v_dual_mov_b32 v190, 0 :: v_dual_mov_b32 v191, 0
	;; [unrolled: 41-line block ×8, first 2 shown]
	s_and_b32 s18, s2, vcc_lo
	s_and_saveexec_b32 s3, s18
	s_cbranch_execz .LBB51_66
; %bb.65:                               ;   in Loop: Header=BB51_3 Depth=1
	v_add_co_u32 v204, vcc_lo, v54, v34
	s_wait_alu 0xfffd
	v_add_co_ci_u32_e64 v205, null, v55, v35, vcc_lo
	v_add_co_u32 v206, vcc_lo, v56, v34
	s_wait_alu 0xfffd
	v_add_co_ci_u32_e64 v207, null, v57, v35, vcc_lo
	global_load_b32 v31, v[204:205], off
	global_load_b32 v204, v[206:207], off
.LBB51_66:                              ;   in Loop: Header=BB51_3 Depth=1
	s_wait_alu 0xfffe
	s_or_b32 exec_lo, exec_lo, s3
	v_add_co_u32 v205, vcc_lo, v36, 30
	s_wait_alu 0xfffd
	v_add_co_ci_u32_e64 v206, null, 0, v37, vcc_lo
	s_delay_alu instid0(VALU_DEP_1) | instskip(SKIP_1) | instid1(SALU_CYCLE_1)
	v_cmp_gt_i64_e32 vcc_lo, s[4:5], v[205:206]
	s_and_b32 s18, s2, vcc_lo
	s_and_saveexec_b32 s3, s18
	s_cbranch_execz .LBB51_68
; %bb.67:                               ;   in Loop: Header=BB51_3 Depth=1
	v_add_co_u32 v205, vcc_lo, v50, v34
	s_wait_alu 0xfffd
	v_add_co_ci_u32_e64 v206, null, v51, v35, vcc_lo
	v_add_co_u32 v207, vcc_lo, v52, v34
	s_wait_alu 0xfffd
	v_add_co_ci_u32_e64 v208, null, v53, v35, vcc_lo
	global_load_b32 v32, v[205:206], off
	global_load_b32 v203, v[207:208], off
.LBB51_68:                              ;   in Loop: Header=BB51_3 Depth=1
	s_wait_alu 0xfffe
	s_or_b32 exec_lo, exec_lo, s3
	v_add_co_u32 v205, vcc_lo, v36, 31
	s_wait_alu 0xfffd
	v_add_co_ci_u32_e64 v206, null, 0, v37, vcc_lo
	v_mov_b32_e32 v186, 0
	s_delay_alu instid0(VALU_DEP_2) | instskip(SKIP_1) | instid1(SALU_CYCLE_1)
	v_cmp_gt_i64_e32 vcc_lo, s[4:5], v[205:206]
	s_and_b32 s18, s2, vcc_lo
	s_and_saveexec_b32 s3, s18
	s_cbranch_execz .LBB51_70
; %bb.69:                               ;   in Loop: Header=BB51_3 Depth=1
	v_add_co_u32 v205, vcc_lo, v46, v34
	s_wait_alu 0xfffd
	v_add_co_ci_u32_e64 v206, null, v47, v35, vcc_lo
	v_add_co_u32 v207, vcc_lo, v48, v34
	s_wait_alu 0xfffd
	v_add_co_ci_u32_e64 v208, null, v49, v35, vcc_lo
	global_load_b32 v33, v[205:206], off
	global_load_b32 v186, v[207:208], off
.LBB51_70:                              ;   in Loop: Header=BB51_3 Depth=1
	s_wait_alu 0xfffe
	s_or_b32 exec_lo, exec_lo, s3
	s_wait_loadcnt 0x1
	ds_bpermute_b32 v170, v1, v171
	ds_bpermute_b32 v208, v1, v171 offset:4
	ds_bpermute_b32 v210, v1, v171 offset:8
	s_wait_loadcnt 0x0
	ds_bpermute_b32 v205, v1, v172
	ds_bpermute_b32 v207, v1, v172 offset:4
	ds_bpermute_b32 v212, v1, v171 offset:12
	;; [unrolled: 1-line block ×4, first 2 shown]
	v_mov_b32_e32 v228, v223
	ds_bpermute_b32 v211, v1, v172 offset:12
	ds_bpermute_b32 v216, v1, v171 offset:20
	;; [unrolled: 1-line block ×11, first 2 shown]
	s_wait_dscnt 0x11
	v_dual_sub_f32 v165, v165, v170 :: v_dual_sub_f32 v170, v174, v208
	s_wait_dscnt 0x10
	v_sub_f32_e32 v173, v173, v210
	v_add_f32_e32 v206, v223, v2
	ds_bpermute_b32 v226, v1, v171 offset:40
	ds_bpermute_b32 v223, v1, v172 offset:36
	v_dual_mul_f32 v208, v3, v170 :: v_dual_mul_f32 v173, v4, v173
	v_dual_mul_f32 v2, v2, v165 :: v_dual_add_f32 v3, v3, v206
	ds_bpermute_b32 v174, v1, v171 offset:44
	ds_bpermute_b32 v225, v1, v172 offset:40
	;; [unrolled: 1-line block ×3, first 2 shown]
	s_wait_dscnt 0x14
	v_fma_f32 v170, v2, v205, v202
	v_add_f32_e32 v3, v4, v3
	s_wait_dscnt 0x12
	v_sub_f32_e32 v176, v176, v212
	s_wait_dscnt 0x10
	v_sub_f32_e32 v4, v175, v214
	ds_bpermute_b32 v205, v1, v171 offset:48
	ds_bpermute_b32 v2, v1, v172 offset:48
	v_add_f32_e32 v3, v5, v3
	v_dual_fmac_f32 v170, v208, v207 :: v_dual_mul_f32 v175, v5, v176
	s_wait_dscnt 0x10
	v_sub_f32_e32 v5, v178, v216
	v_mul_f32_e32 v4, v6, v4
	s_delay_alu instid0(VALU_DEP_3) | instskip(SKIP_1) | instid1(VALU_DEP_3)
	v_dual_add_f32 v3, v6, v3 :: v_dual_fmac_f32 v170, v173, v209
	s_wait_dscnt 0xe
	v_dual_sub_f32 v6, v177, v218 :: v_dual_mul_f32 v5, v7, v5
	ds_bpermute_b32 v173, v1, v172 offset:52
	v_add_f32_e32 v3, v7, v3
	v_fmac_f32_e32 v170, v175, v211
	s_wait_dscnt 0xd
	v_dual_sub_f32 v7, v179, v222 :: v_dual_sub_f32 v176, v180, v220
	ds_bpermute_b32 v175, v1, v171 offset:52
	s_mov_b32 s3, 0
	v_fmac_f32_e32 v170, v4, v213
	v_add_f32_e32 v3, v8, v3
	v_dual_mul_f32 v7, v10, v7 :: v_dual_mul_f32 v176, v9, v176
	v_mul_f32_e32 v6, v8, v6
	s_wait_dscnt 0xd
	v_fmac_f32_e32 v170, v5, v215
	ds_bpermute_b32 v5, v1, v171 offset:56
	v_add_f32_e32 v3, v9, v3
	ds_bpermute_b32 v9, v1, v171 offset:60
	ds_bpermute_b32 v4, v1, v172 offset:56
	v_add_f32_e32 v3, v10, v3
	s_wait_dscnt 0xf
	s_delay_alu instid0(VALU_DEP_1) | instskip(NEXT) | instid1(VALU_DEP_1)
	v_dual_sub_f32 v8, v182, v224 :: v_dual_add_f32 v3, v11, v3
	v_mul_f32_e32 v8, v11, v8
	s_wait_dscnt 0x6
	v_sub_f32_e32 v11, v183, v205
	v_fmac_f32_e32 v170, v6, v217
	ds_bpermute_b32 v6, v1, v172 offset:60
	v_add_f32_e32 v3, v12, v3
	v_mul_f32_e32 v11, v14, v11
	s_wait_dscnt 0x3
	v_dual_fmac_f32 v170, v176, v219 :: v_dual_sub_f32 v5, v185, v5
	v_sub_f32_e32 v176, v181, v226
	v_dual_add_f32 v3, v13, v3 :: v_dual_sub_f32 v10, v184, v174
	s_delay_alu instid0(VALU_DEP_3) | instskip(SKIP_1) | instid1(VALU_DEP_3)
	v_fmac_f32_e32 v170, v7, v221
	s_wait_dscnt 0x2
	v_dual_sub_f32 v9, v189, v9 :: v_dual_mul_f32 v174, v12, v176
	s_delay_alu instid0(VALU_DEP_3)
	v_dual_add_f32 v3, v14, v3 :: v_dual_mul_f32 v10, v13, v10
	v_mul_f32_e32 v5, v16, v5
	v_fmac_f32_e32 v170, v8, v223
	ds_bpermute_b32 v8, v1, v171 offset:64
	v_add_f32_e32 v3, v15, v3
	v_mul_f32_e32 v9, v17, v9
	ds_bpermute_b32 v12, v1, v171 offset:68
	v_fmac_f32_e32 v170, v174, v225
	v_sub_f32_e32 v174, v187, v175
	v_add_f32_e32 v3, v16, v3
	ds_bpermute_b32 v7, v1, v172 offset:64
	v_dual_mov_b32 v223, v228 :: v_dual_fmac_f32 v170, v10, v165
	v_mul_f32_e32 v13, v15, v174
	ds_bpermute_b32 v10, v1, v171 offset:72
	v_add_f32_e32 v3, v17, v3
	ds_bpermute_b32 v165, v1, v172 offset:124
	v_fmac_f32_e32 v170, v11, v2
	ds_bpermute_b32 v2, v1, v172 offset:68
	ds_bpermute_b32 v11, v1, v172 offset:72
	v_dual_add_f32 v3, v18, v3 :: v_dual_fmac_f32 v170, v13, v173
	ds_bpermute_b32 v13, v1, v171 offset:76
	s_wait_dscnt 0x9
	v_dual_add_f32 v3, v19, v3 :: v_dual_fmac_f32 v170, v5, v4
	ds_bpermute_b32 v5, v1, v171 offset:80
	s_wait_dscnt 0x8
	v_sub_f32_e32 v4, v188, v8
	s_wait_dscnt 0x7
	v_dual_sub_f32 v8, v191, v12 :: v_dual_add_f32 v3, v20, v3
	v_fmac_f32_e32 v170, v9, v6
	ds_bpermute_b32 v6, v1, v172 offset:76
	v_mul_f32_e32 v4, v18, v4
	s_wait_dscnt 0x6
	v_sub_f32_e32 v9, v190, v10
	ds_bpermute_b32 v10, v1, v171 offset:84
	v_add_f32_e32 v3, v21, v3
	v_fmac_f32_e32 v170, v4, v7
	v_mul_f32_e32 v7, v20, v9
	ds_bpermute_b32 v4, v1, v172 offset:80
	ds_bpermute_b32 v9, v1, v172 offset:84
	v_add_f32_e32 v3, v22, v3
	s_wait_dscnt 0x4
	v_dual_sub_f32 v5, v192, v5 :: v_dual_mul_f32 v8, v19, v8
	s_delay_alu instid0(VALU_DEP_2) | instskip(NEXT) | instid1(VALU_DEP_2)
	v_add_f32_e32 v3, v23, v3
	v_dual_mul_f32 v5, v22, v5 :: v_dual_fmac_f32 v170, v8, v2
	v_sub_f32_e32 v2, v193, v13
	ds_bpermute_b32 v8, v1, v171 offset:88
	v_add_f32_e32 v3, v24, v3
	v_fmac_f32_e32 v170, v7, v11
	ds_bpermute_b32 v7, v1, v171 offset:92
	v_mul_f32_e32 v2, v21, v2
	ds_bpermute_b32 v11, v1, v172 offset:116
	s_wait_dscnt 0x6
	v_dual_add_f32 v3, v25, v3 :: v_dual_fmac_f32 v170, v2, v6
	ds_bpermute_b32 v2, v1, v172 offset:88
	s_wait_dscnt 0x6
	v_sub_f32_e32 v6, v195, v10
	ds_bpermute_b32 v10, v1, v171 offset:96
	v_add_f32_e32 v3, v26, v3
	s_delay_alu instid0(VALU_DEP_1)
	v_add_f32_e32 v3, v27, v3
	s_wait_dscnt 0x3
	v_sub_f32_e32 v7, v197, v7
	v_fmac_f32_e32 v170, v5, v4
	ds_bpermute_b32 v4, v1, v172 offset:92
	v_dual_mul_f32 v5, v23, v6 :: v_dual_sub_f32 v6, v194, v8
	ds_bpermute_b32 v8, v1, v171 offset:100
	v_dual_add_f32 v3, v28, v3 :: v_dual_fmac_f32 v170, v5, v9
	ds_bpermute_b32 v5, v1, v172 offset:96
	ds_bpermute_b32 v9, v1, v171 offset:104
	v_dual_mul_f32 v6, v24, v6 :: v_dual_add_f32 v3, v29, v3
	s_wait_dscnt 0x5
	s_delay_alu instid0(VALU_DEP_1)
	v_fmac_f32_e32 v170, v6, v2
	ds_bpermute_b32 v2, v1, v172 offset:100
	s_wait_dscnt 0x5
	v_dual_mul_f32 v6, v25, v7 :: v_dual_sub_f32 v7, v196, v10
	ds_bpermute_b32 v10, v1, v171 offset:108
	v_add_f32_e32 v3, v30, v3
	s_wait_dscnt 0x5
	v_fmac_f32_e32 v170, v6, v4
	v_mul_f32_e32 v4, v26, v7
	ds_bpermute_b32 v6, v1, v172 offset:104
	s_wait_dscnt 0x5
	v_sub_f32_e32 v7, v199, v8
	ds_bpermute_b32 v8, v1, v171 offset:112
	s_wait_dscnt 0x5
	v_dual_add_f32 v3, v31, v3 :: v_dual_fmac_f32 v170, v4, v5
	ds_bpermute_b32 v4, v1, v172 offset:108
	v_mul_f32_e32 v5, v27, v7
	s_wait_dscnt 0x5
	v_sub_f32_e32 v7, v198, v9
	ds_bpermute_b32 v9, v1, v171 offset:116
	s_wait_dscnt 0x5
	v_dual_add_f32 v3, v32, v3 :: v_dual_fmac_f32 v170, v5, v2
	ds_bpermute_b32 v5, v1, v172 offset:112
	v_mul_f32_e32 v2, v28, v7
	ds_bpermute_b32 v7, v1, v171 offset:120
	s_wait_dscnt 0x6
	v_sub_f32_e32 v10, v201, v10
	s_wait_dscnt 0x5
	v_fmac_f32_e32 v170, v2, v6
	s_delay_alu instid0(VALU_DEP_2)
	v_mul_f32_e32 v2, v29, v10
	s_wait_dscnt 0x4
	v_sub_f32_e32 v6, v200, v8
	ds_bpermute_b32 v8, v1, v172 offset:120
	s_wait_dscnt 0x4
	v_fmac_f32_e32 v170, v2, v4
	v_mul_f32_e32 v4, v30, v6
	s_wait_dscnt 0x3
	v_sub_f32_e32 v6, v204, v9
	ds_bpermute_b32 v2, v1, v171 offset:124
	s_wait_dscnt 0x3
	v_fmac_f32_e32 v170, v4, v5
	v_mul_f32_e32 v4, v31, v6
	s_wait_dscnt 0x2
	v_sub_f32_e32 v5, v203, v7
	s_delay_alu instid0(VALU_DEP_2) | instskip(NEXT) | instid1(VALU_DEP_2)
	v_fmac_f32_e32 v170, v4, v11
	v_mul_f32_e32 v4, v32, v5
	s_wait_dscnt 0x1
	s_delay_alu instid0(VALU_DEP_1)
	v_fmac_f32_e32 v170, v4, v8
.LBB51_71:                              ;   in Loop: Header=BB51_3 Depth=1
	s_wait_alu 0xfffe
	s_and_b32 vcc_lo, exec_lo, s3
	s_wait_alu 0xfffe
	s_cbranch_vccz .LBB51_137
; %bb.72:                               ;   in Loop: Header=BB51_3 Depth=1
	s_load_b32 s3, s[20:21], 0x0
	v_mov_b32_e32 v165, 0
	s_wait_kmcnt 0x0
	s_cmp_lt_u32 ttmp9, s3
	s_cselect_b32 s18, 12, 18
	s_delay_alu instid0(SALU_CYCLE_1)
	s_add_nc_u64 s[34:35], s[20:21], s[18:19]
	s_load_u16 s3, s[34:35], 0x0
	s_wait_dscnt 0x0
	s_wait_kmcnt 0x0
	v_mad_u32_u24 v2, v38, s3, v40
	s_mov_b32 s3, exec_lo
	s_delay_alu instid0(VALU_DEP_1) | instskip(NEXT) | instid1(VALU_DEP_1)
	v_and_b32_e32 v2, 31, v2
	v_add_co_u32 v2, vcc_lo, v36, v2
	s_wait_alu 0xfffd
	v_add_co_ci_u32_e64 v3, null, 0, v37, vcc_lo
	v_dual_mov_b32 v37, 0 :: v_dual_mov_b32 v36, 0
	s_delay_alu instid0(VALU_DEP_2)
	v_cmpx_gt_i64_e64 s[4:5], v[2:3]
	s_cbranch_execz .LBB51_74
; %bb.73:                               ;   in Loop: Header=BB51_3 Depth=1
	v_lshlrev_b64_e32 v[2:3], 2, v[2:3]
	s_delay_alu instid0(VALU_DEP_1) | instskip(SKIP_1) | instid1(VALU_DEP_2)
	v_add_co_u32 v4, vcc_lo, s12, v2
	s_wait_alu 0xfffd
	v_add_co_ci_u32_e64 v5, null, s13, v3, vcc_lo
	v_add_co_u32 v2, vcc_lo, s14, v2
	s_wait_alu 0xfffd
	v_add_co_ci_u32_e64 v3, null, s15, v3, vcc_lo
	global_load_b32 v36, v[4:5], off
	global_load_b32 v37, v[2:3], off
.LBB51_74:                              ;   in Loop: Header=BB51_3 Depth=1
	s_wait_alu 0xfffe
	s_or_b32 exec_lo, exec_lo, s3
	v_mov_b32_e32 v32, v1
	v_dual_mov_b32 v2, v1 :: v_dual_mov_b32 v3, v1
	v_dual_mov_b32 v4, v1 :: v_dual_mov_b32 v5, v1
	;; [unrolled: 1-line block ×15, first 2 shown]
	v_mov_b32_e32 v33, v32
	s_delay_alu instid0(VALU_DEP_2) | instskip(NEXT) | instid1(VALU_DEP_3)
	v_mov_b32_e32 v32, v31
	v_mov_b32_e32 v31, v30
	;; [unrolled: 1-line block ×31, first 2 shown]
	s_and_saveexec_b32 s3, s2
	s_cbranch_execz .LBB51_76
; %bb.75:                               ;   in Loop: Header=BB51_3 Depth=1
	v_add_co_u32 v2, vcc_lo, v42, v34
	s_wait_alu 0xfffd
	v_add_co_ci_u32_e64 v3, null, v43, v35, vcc_lo
	v_add_co_u32 v4, vcc_lo, v44, v34
	s_wait_alu 0xfffd
	v_add_co_ci_u32_e64 v5, null, v45, v35, vcc_lo
	global_load_b32 v2, v[2:3], off
	global_load_b32 v165, v[4:5], off
	v_dual_mov_b32 v3, v1 :: v_dual_mov_b32 v4, v1
	v_dual_mov_b32 v5, v1 :: v_dual_mov_b32 v6, v1
	;; [unrolled: 1-line block ×15, first 2 shown]
	v_mov_b32_e32 v33, v1
.LBB51_76:                              ;   in Loop: Header=BB51_3 Depth=1
	s_wait_alu 0xfffe
	s_or_b32 exec_lo, exec_lo, s3
	v_dual_mov_b32 v171, 0 :: v_dual_mov_b32 v172, 0
	s_and_saveexec_b32 s3, s2
	s_cbranch_execz .LBB51_78
; %bb.77:                               ;   in Loop: Header=BB51_3 Depth=1
	v_add_co_u32 v172, vcc_lo, v166, v34
	s_wait_alu 0xfffd
	v_add_co_ci_u32_e64 v173, null, v167, v35, vcc_lo
	v_add_co_u32 v174, vcc_lo, v168, v34
	s_wait_alu 0xfffd
	v_add_co_ci_u32_e64 v175, null, v169, v35, vcc_lo
	global_load_b32 v3, v[172:173], off
	global_load_b32 v172, v[174:175], off
.LBB51_78:                              ;   in Loop: Header=BB51_3 Depth=1
	s_wait_alu 0xfffe
	s_or_b32 exec_lo, exec_lo, s3
	s_and_saveexec_b32 s3, s2
	s_cbranch_execz .LBB51_80
; %bb.79:                               ;   in Loop: Header=BB51_3 Depth=1
	v_add_co_u32 v170, vcc_lo, v161, v34
	s_wait_alu 0xfffd
	v_add_co_ci_u32_e64 v171, null, v162, v35, vcc_lo
	v_add_co_u32 v173, vcc_lo, v163, v34
	s_wait_alu 0xfffd
	v_add_co_ci_u32_e64 v174, null, v164, v35, vcc_lo
	global_load_b32 v4, v[170:171], off
	global_load_b32 v171, v[173:174], off
.LBB51_80:                              ;   in Loop: Header=BB51_3 Depth=1
	s_wait_alu 0xfffe
	s_or_b32 exec_lo, exec_lo, s3
	v_dual_mov_b32 v173, 0 :: v_dual_mov_b32 v174, 0
	s_and_saveexec_b32 s3, s2
	s_cbranch_execz .LBB51_82
; %bb.81:                               ;   in Loop: Header=BB51_3 Depth=1
	v_add_co_u32 v174, vcc_lo, v157, v34
	s_wait_alu 0xfffd
	v_add_co_ci_u32_e64 v175, null, v158, v35, vcc_lo
	v_add_co_u32 v176, vcc_lo, v159, v34
	s_wait_alu 0xfffd
	v_add_co_ci_u32_e64 v177, null, v160, v35, vcc_lo
	global_load_b32 v5, v[174:175], off
	global_load_b32 v174, v[176:177], off
.LBB51_82:                              ;   in Loop: Header=BB51_3 Depth=1
	s_wait_alu 0xfffe
	s_or_b32 exec_lo, exec_lo, s3
	s_and_saveexec_b32 s3, s2
	s_cbranch_execz .LBB51_84
; %bb.83:                               ;   in Loop: Header=BB51_3 Depth=1
	v_add_co_u32 v175, vcc_lo, v153, v34
	s_wait_alu 0xfffd
	v_add_co_ci_u32_e64 v176, null, v154, v35, vcc_lo
	v_add_co_u32 v177, vcc_lo, v155, v34
	s_wait_alu 0xfffd
	v_add_co_ci_u32_e64 v178, null, v156, v35, vcc_lo
	global_load_b32 v6, v[175:176], off
	global_load_b32 v173, v[177:178], off
.LBB51_84:                              ;   in Loop: Header=BB51_3 Depth=1
	;; [unrolled: 29-line block ×5, first 2 shown]
	s_wait_alu 0xfffe
	s_or_b32 exec_lo, exec_lo, s3
	v_dual_mov_b32 v181, 0 :: v_dual_mov_b32 v182, 0
	s_and_saveexec_b32 s3, s2
	s_cbranch_execz .LBB51_98
; %bb.97:                               ;   in Loop: Header=BB51_3 Depth=1
	v_add_co_u32 v182, vcc_lo, v125, v34
	s_wait_alu 0xfffd
	v_add_co_ci_u32_e64 v183, null, v126, v35, vcc_lo
	v_add_co_u32 v184, vcc_lo, v127, v34
	s_wait_alu 0xfffd
	v_add_co_ci_u32_e64 v185, null, v128, v35, vcc_lo
	global_load_b32 v13, v[182:183], off
	global_load_b32 v182, v[184:185], off
.LBB51_98:                              ;   in Loop: Header=BB51_3 Depth=1
	s_wait_alu 0xfffe
	s_or_b32 exec_lo, exec_lo, s3
	s_and_saveexec_b32 s3, s2
	s_cbranch_execz .LBB51_100
; %bb.99:                               ;   in Loop: Header=BB51_3 Depth=1
	v_add_co_u32 v183, vcc_lo, v121, v34
	s_wait_alu 0xfffd
	v_add_co_ci_u32_e64 v184, null, v122, v35, vcc_lo
	v_add_co_u32 v185, vcc_lo, v123, v34
	s_wait_alu 0xfffd
	v_add_co_ci_u32_e64 v186, null, v124, v35, vcc_lo
	global_load_b32 v14, v[183:184], off
	global_load_b32 v181, v[185:186], off
.LBB51_100:                             ;   in Loop: Header=BB51_3 Depth=1
	s_wait_alu 0xfffe
	s_or_b32 exec_lo, exec_lo, s3
	v_dual_mov_b32 v183, 0 :: v_dual_mov_b32 v184, 0
	s_and_saveexec_b32 s3, s2
	s_cbranch_execz .LBB51_102
; %bb.101:                              ;   in Loop: Header=BB51_3 Depth=1
	v_add_co_u32 v184, vcc_lo, v117, v34
	s_wait_alu 0xfffd
	v_add_co_ci_u32_e64 v185, null, v118, v35, vcc_lo
	v_add_co_u32 v186, vcc_lo, v119, v34
	s_wait_alu 0xfffd
	v_add_co_ci_u32_e64 v187, null, v120, v35, vcc_lo
	global_load_b32 v15, v[184:185], off
	global_load_b32 v184, v[186:187], off
.LBB51_102:                             ;   in Loop: Header=BB51_3 Depth=1
	s_wait_alu 0xfffe
	s_or_b32 exec_lo, exec_lo, s3
	s_and_saveexec_b32 s3, s2
	s_cbranch_execz .LBB51_104
; %bb.103:                              ;   in Loop: Header=BB51_3 Depth=1
	v_add_co_u32 v185, vcc_lo, v113, v34
	s_wait_alu 0xfffd
	v_add_co_ci_u32_e64 v186, null, v114, v35, vcc_lo
	v_add_co_u32 v187, vcc_lo, v115, v34
	s_wait_alu 0xfffd
	v_add_co_ci_u32_e64 v188, null, v116, v35, vcc_lo
	global_load_b32 v16, v[185:186], off
	global_load_b32 v183, v[187:188], off
.LBB51_104:                             ;   in Loop: Header=BB51_3 Depth=1
	s_wait_alu 0xfffe
	s_or_b32 exec_lo, exec_lo, s3
	v_mov_b32_e32 v185, 0
	v_mov_b32_e32 v187, 0
	s_and_saveexec_b32 s3, s2
	s_cbranch_execz .LBB51_106
; %bb.105:                              ;   in Loop: Header=BB51_3 Depth=1
	v_add_co_u32 v186, vcc_lo, v109, v34
	s_wait_alu 0xfffd
	v_add_co_ci_u32_e64 v187, null, v110, v35, vcc_lo
	v_add_co_u32 v188, vcc_lo, v111, v34
	s_wait_alu 0xfffd
	v_add_co_ci_u32_e64 v189, null, v112, v35, vcc_lo
	global_load_b32 v17, v[186:187], off
	global_load_b32 v187, v[188:189], off
.LBB51_106:                             ;   in Loop: Header=BB51_3 Depth=1
	s_wait_alu 0xfffe
	s_or_b32 exec_lo, exec_lo, s3
	s_and_saveexec_b32 s3, s2
	s_cbranch_execz .LBB51_108
; %bb.107:                              ;   in Loop: Header=BB51_3 Depth=1
	v_add_co_u32 v185, vcc_lo, v105, v34
	s_wait_alu 0xfffd
	v_add_co_ci_u32_e64 v186, null, v106, v35, vcc_lo
	v_add_co_u32 v188, vcc_lo, v107, v34
	s_wait_alu 0xfffd
	v_add_co_ci_u32_e64 v189, null, v108, v35, vcc_lo
	global_load_b32 v18, v[185:186], off
	global_load_b32 v185, v[188:189], off
.LBB51_108:                             ;   in Loop: Header=BB51_3 Depth=1
	s_wait_alu 0xfffe
	s_or_b32 exec_lo, exec_lo, s3
	v_dual_mov_b32 v188, 0 :: v_dual_mov_b32 v189, 0
	s_and_saveexec_b32 s3, s2
	s_cbranch_execz .LBB51_110
; %bb.109:                              ;   in Loop: Header=BB51_3 Depth=1
	v_add_co_u32 v189, vcc_lo, v101, v34
	s_wait_alu 0xfffd
	v_add_co_ci_u32_e64 v190, null, v102, v35, vcc_lo
	v_add_co_u32 v191, vcc_lo, v103, v34
	s_wait_alu 0xfffd
	v_add_co_ci_u32_e64 v192, null, v104, v35, vcc_lo
	global_load_b32 v19, v[189:190], off
	global_load_b32 v189, v[191:192], off
.LBB51_110:                             ;   in Loop: Header=BB51_3 Depth=1
	s_wait_alu 0xfffe
	s_or_b32 exec_lo, exec_lo, s3
	s_and_saveexec_b32 s3, s2
	s_cbranch_execz .LBB51_112
; %bb.111:                              ;   in Loop: Header=BB51_3 Depth=1
	v_add_co_u32 v190, vcc_lo, v97, v34
	s_wait_alu 0xfffd
	v_add_co_ci_u32_e64 v191, null, v98, v35, vcc_lo
	v_add_co_u32 v192, vcc_lo, v99, v34
	s_wait_alu 0xfffd
	v_add_co_ci_u32_e64 v193, null, v100, v35, vcc_lo
	global_load_b32 v20, v[190:191], off
	global_load_b32 v188, v[192:193], off
.LBB51_112:                             ;   in Loop: Header=BB51_3 Depth=1
	s_wait_alu 0xfffe
	s_or_b32 exec_lo, exec_lo, s3
	v_dual_mov_b32 v190, 0 :: v_dual_mov_b32 v191, 0
	s_and_saveexec_b32 s3, s2
	s_cbranch_execz .LBB51_114
; %bb.113:                              ;   in Loop: Header=BB51_3 Depth=1
	v_add_co_u32 v191, vcc_lo, v93, v34
	s_wait_alu 0xfffd
	v_add_co_ci_u32_e64 v192, null, v94, v35, vcc_lo
	v_add_co_u32 v193, vcc_lo, v95, v34
	s_wait_alu 0xfffd
	v_add_co_ci_u32_e64 v194, null, v96, v35, vcc_lo
	global_load_b32 v21, v[191:192], off
	global_load_b32 v191, v[193:194], off
.LBB51_114:                             ;   in Loop: Header=BB51_3 Depth=1
	s_wait_alu 0xfffe
	s_or_b32 exec_lo, exec_lo, s3
	s_and_saveexec_b32 s3, s2
	s_cbranch_execz .LBB51_116
; %bb.115:                              ;   in Loop: Header=BB51_3 Depth=1
	v_add_co_u32 v192, vcc_lo, v89, v34
	s_wait_alu 0xfffd
	v_add_co_ci_u32_e64 v193, null, v90, v35, vcc_lo
	v_add_co_u32 v194, vcc_lo, v91, v34
	s_wait_alu 0xfffd
	v_add_co_ci_u32_e64 v195, null, v92, v35, vcc_lo
	global_load_b32 v22, v[192:193], off
	global_load_b32 v190, v[194:195], off
.LBB51_116:                             ;   in Loop: Header=BB51_3 Depth=1
	s_wait_alu 0xfffe
	s_or_b32 exec_lo, exec_lo, s3
	v_dual_mov_b32 v192, 0 :: v_dual_mov_b32 v193, 0
	s_and_saveexec_b32 s3, s2
	s_cbranch_execz .LBB51_118
; %bb.117:                              ;   in Loop: Header=BB51_3 Depth=1
	v_add_co_u32 v193, vcc_lo, v86, v34
	s_wait_alu 0xfffd
	v_add_co_ci_u32_e64 v194, null, v87, v35, vcc_lo
	v_add_co_u32 v195, vcc_lo, v88, v34
	s_wait_alu 0xfffd
	v_add_co_ci_u32_e64 v196, null, v0, v35, vcc_lo
	global_load_b32 v23, v[193:194], off
	global_load_b32 v193, v[195:196], off
.LBB51_118:                             ;   in Loop: Header=BB51_3 Depth=1
	s_wait_alu 0xfffe
	s_or_b32 exec_lo, exec_lo, s3
	s_and_saveexec_b32 s3, s2
	s_cbranch_execz .LBB51_120
; %bb.119:                              ;   in Loop: Header=BB51_3 Depth=1
	v_add_co_u32 v194, vcc_lo, v82, v34
	s_wait_alu 0xfffd
	v_add_co_ci_u32_e64 v195, null, v83, v35, vcc_lo
	v_add_co_u32 v196, vcc_lo, v84, v34
	s_wait_alu 0xfffd
	v_add_co_ci_u32_e64 v197, null, v85, v35, vcc_lo
	global_load_b32 v24, v[194:195], off
	global_load_b32 v192, v[196:197], off
.LBB51_120:                             ;   in Loop: Header=BB51_3 Depth=1
	s_wait_alu 0xfffe
	s_or_b32 exec_lo, exec_lo, s3
	v_dual_mov_b32 v194, 0 :: v_dual_mov_b32 v195, 0
	s_and_saveexec_b32 s3, s2
	s_cbranch_execz .LBB51_122
; %bb.121:                              ;   in Loop: Header=BB51_3 Depth=1
	v_add_co_u32 v195, vcc_lo, v78, v34
	s_wait_alu 0xfffd
	v_add_co_ci_u32_e64 v196, null, v79, v35, vcc_lo
	v_add_co_u32 v197, vcc_lo, v80, v34
	s_wait_alu 0xfffd
	v_add_co_ci_u32_e64 v198, null, v81, v35, vcc_lo
	global_load_b32 v25, v[195:196], off
	global_load_b32 v195, v[197:198], off
.LBB51_122:                             ;   in Loop: Header=BB51_3 Depth=1
	s_wait_alu 0xfffe
	s_or_b32 exec_lo, exec_lo, s3
	s_and_saveexec_b32 s3, s2
	s_cbranch_execz .LBB51_124
; %bb.123:                              ;   in Loop: Header=BB51_3 Depth=1
	v_add_co_u32 v196, vcc_lo, v74, v34
	s_wait_alu 0xfffd
	v_add_co_ci_u32_e64 v197, null, v75, v35, vcc_lo
	v_add_co_u32 v198, vcc_lo, v76, v34
	s_wait_alu 0xfffd
	v_add_co_ci_u32_e64 v199, null, v77, v35, vcc_lo
	global_load_b32 v26, v[196:197], off
	global_load_b32 v194, v[198:199], off
.LBB51_124:                             ;   in Loop: Header=BB51_3 Depth=1
	s_wait_alu 0xfffe
	s_or_b32 exec_lo, exec_lo, s3
	v_dual_mov_b32 v196, 0 :: v_dual_mov_b32 v197, 0
	s_and_saveexec_b32 s3, s2
	s_cbranch_execz .LBB51_126
; %bb.125:                              ;   in Loop: Header=BB51_3 Depth=1
	v_add_co_u32 v197, vcc_lo, v70, v34
	s_wait_alu 0xfffd
	v_add_co_ci_u32_e64 v198, null, v71, v35, vcc_lo
	v_add_co_u32 v199, vcc_lo, v72, v34
	s_wait_alu 0xfffd
	v_add_co_ci_u32_e64 v200, null, v73, v35, vcc_lo
	global_load_b32 v27, v[197:198], off
	global_load_b32 v197, v[199:200], off
.LBB51_126:                             ;   in Loop: Header=BB51_3 Depth=1
	s_wait_alu 0xfffe
	s_or_b32 exec_lo, exec_lo, s3
	s_and_saveexec_b32 s3, s2
	s_cbranch_execz .LBB51_128
; %bb.127:                              ;   in Loop: Header=BB51_3 Depth=1
	v_add_co_u32 v198, vcc_lo, v66, v34
	s_wait_alu 0xfffd
	v_add_co_ci_u32_e64 v199, null, v67, v35, vcc_lo
	v_add_co_u32 v200, vcc_lo, v68, v34
	s_wait_alu 0xfffd
	v_add_co_ci_u32_e64 v201, null, v69, v35, vcc_lo
	global_load_b32 v28, v[198:199], off
	global_load_b32 v196, v[200:201], off
.LBB51_128:                             ;   in Loop: Header=BB51_3 Depth=1
	s_wait_alu 0xfffe
	s_or_b32 exec_lo, exec_lo, s3
	v_mov_b32_e32 v198, 0
	v_mov_b32_e32 v170, 0
	s_and_saveexec_b32 s3, s2
	s_cbranch_execz .LBB51_130
; %bb.129:                              ;   in Loop: Header=BB51_3 Depth=1
	v_add_co_u32 v199, vcc_lo, v62, v34
	s_wait_alu 0xfffd
	v_add_co_ci_u32_e64 v200, null, v63, v35, vcc_lo
	v_add_co_u32 v203, vcc_lo, v64, v34
	s_wait_alu 0xfffd
	v_add_co_ci_u32_e64 v204, null, v65, v35, vcc_lo
	global_load_b32 v29, v[199:200], off
	global_load_b32 v170, v[203:204], off
.LBB51_130:                             ;   in Loop: Header=BB51_3 Depth=1
	s_wait_alu 0xfffe
	s_or_b32 exec_lo, exec_lo, s3
	s_and_saveexec_b32 s3, s2
	s_cbranch_execz .LBB51_132
; %bb.131:                              ;   in Loop: Header=BB51_3 Depth=1
	v_add_co_u32 v198, vcc_lo, v58, v34
	s_wait_alu 0xfffd
	v_add_co_ci_u32_e64 v199, null, v59, v35, vcc_lo
	v_add_co_u32 v200, vcc_lo, v60, v34
	s_wait_alu 0xfffd
	v_add_co_ci_u32_e64 v201, null, v61, v35, vcc_lo
	global_load_b32 v30, v[198:199], off
	global_load_b32 v198, v[200:201], off
.LBB51_132:                             ;   in Loop: Header=BB51_3 Depth=1
	s_wait_alu 0xfffe
	s_or_b32 exec_lo, exec_lo, s3
	v_dual_mov_b32 v199, 0 :: v_dual_mov_b32 v200, 0
	s_and_saveexec_b32 s3, s2
	s_cbranch_execnz .LBB51_139
; %bb.133:                              ;   in Loop: Header=BB51_3 Depth=1
	s_wait_alu 0xfffe
	s_or_b32 exec_lo, exec_lo, s3
	s_and_saveexec_b32 s3, s2
	s_cbranch_execnz .LBB51_140
.LBB51_134:                             ;   in Loop: Header=BB51_3 Depth=1
	s_wait_alu 0xfffe
	s_or_b32 exec_lo, exec_lo, s3
	v_mov_b32_e32 v186, 0
	s_and_saveexec_b32 s3, s2
	s_cbranch_execz .LBB51_136
.LBB51_135:                             ;   in Loop: Header=BB51_3 Depth=1
	v_add_co_u32 v203, vcc_lo, v46, v34
	s_wait_alu 0xfffd
	v_add_co_ci_u32_e64 v204, null, v47, v35, vcc_lo
	v_add_co_u32 v205, vcc_lo, v48, v34
	s_wait_alu 0xfffd
	v_add_co_ci_u32_e64 v206, null, v49, v35, vcc_lo
	global_load_b32 v33, v[203:204], off
	global_load_b32 v186, v[205:206], off
.LBB51_136:                             ;   in Loop: Header=BB51_3 Depth=1
	s_wait_alu 0xfffe
	s_or_b32 exec_lo, exec_lo, s3
	s_wait_loadcnt 0x1
	ds_bpermute_b32 v201, v1, v36
	ds_bpermute_b32 v206, v1, v36 offset:4
	ds_bpermute_b32 v208, v1, v36 offset:8
	s_wait_loadcnt 0x0
	ds_bpermute_b32 v203, v1, v37
	ds_bpermute_b32 v210, v1, v36 offset:12
	ds_bpermute_b32 v205, v1, v37 offset:4
	;; [unrolled: 1-line block ×3, first 2 shown]
	v_add_f32_e32 v204, v223, v2
	ds_bpermute_b32 v207, v1, v37 offset:8
	ds_bpermute_b32 v214, v1, v36 offset:20
	;; [unrolled: 1-line block ×12, first 2 shown]
	s_wait_dscnt 0x11
	v_dual_sub_f32 v165, v165, v201 :: v_dual_sub_f32 v172, v172, v206
	s_wait_dscnt 0x10
	v_sub_f32_e32 v171, v171, v208
	ds_bpermute_b32 v201, v1, v36 offset:36
	ds_bpermute_b32 v206, v1, v36 offset:44
	v_mul_f32_e32 v2, v2, v165
	v_dual_mul_f32 v172, v3, v172 :: v_dual_mul_f32 v171, v4, v171
	s_wait_dscnt 0x10
	v_dual_add_f32 v3, v3, v204 :: v_dual_sub_f32 v174, v174, v210
	ds_bpermute_b32 v221, v1, v37 offset:36
	ds_bpermute_b32 v222, v1, v37 offset:40
	;; [unrolled: 1-line block ×3, first 2 shown]
	v_add_f32_e32 v3, v4, v3
	v_fmac_f32_e32 v202, v2, v203
	s_wait_dscnt 0x11
	v_sub_f32_e32 v4, v173, v212
	v_mul_f32_e32 v173, v5, v174
	ds_bpermute_b32 v2, v1, v37 offset:48
	v_dual_add_f32 v3, v5, v3 :: v_dual_fmac_f32 v202, v172, v205
	ds_bpermute_b32 v172, v1, v36 offset:48
	s_wait_dscnt 0x11
	v_dual_sub_f32 v5, v176, v214 :: v_dual_mul_f32 v4, v6, v4
	s_wait_dscnt 0x10
	v_dual_add_f32 v3, v6, v3 :: v_dual_sub_f32 v6, v175, v216
	v_fmac_f32_e32 v202, v171, v207
	s_wait_dscnt 0xf
	v_dual_sub_f32 v174, v178, v218 :: v_dual_mul_f32 v5, v7, v5
	s_delay_alu instid0(VALU_DEP_3)
	v_add_f32_e32 v3, v7, v3
	s_wait_dscnt 0xd
	v_sub_f32_e32 v7, v177, v220
	v_fmac_f32_e32 v202, v173, v209
	v_mul_f32_e32 v6, v8, v6
	ds_bpermute_b32 v173, v1, v36 offset:52
	v_add_f32_e32 v3, v8, v3
	s_wait_dscnt 0x7
	v_sub_f32_e32 v8, v180, v201
	v_fmac_f32_e32 v202, v4, v211
	v_mul_f32_e32 v7, v10, v7
	ds_bpermute_b32 v171, v1, v37 offset:52
	v_add_f32_e32 v3, v9, v3
	v_mul_f32_e32 v174, v9, v174
	v_mul_f32_e32 v8, v11, v8
	ds_bpermute_b32 v9, v1, v36 offset:60
	ds_bpermute_b32 v4, v1, v37 offset:56
	v_add_f32_e32 v3, v10, v3
	s_wait_dscnt 0x9
	s_delay_alu instid0(VALU_DEP_1)
	v_dual_sub_f32 v10, v182, v206 :: v_dual_add_f32 v3, v11, v3
	s_wait_dscnt 0x4
	v_sub_f32_e32 v11, v181, v172
	v_fmac_f32_e32 v202, v5, v213
	ds_bpermute_b32 v5, v1, v36 offset:56
	v_dual_mul_f32 v10, v13, v10 :: v_dual_add_f32 v3, v12, v3
	s_wait_dscnt 0x4
	v_sub_f32_e32 v172, v184, v173
	v_fmac_f32_e32 v202, v6, v215
	v_mul_f32_e32 v11, v14, v11
	ds_bpermute_b32 v6, v1, v37 offset:60
	v_add_f32_e32 v3, v13, v3
	v_mul_f32_e32 v13, v15, v172
	s_wait_dscnt 0x3
	v_sub_f32_e32 v9, v187, v9
	s_delay_alu instid0(VALU_DEP_3) | instskip(NEXT) | instid1(VALU_DEP_2)
	v_add_f32_e32 v3, v14, v3
	v_mul_f32_e32 v9, v17, v9
	s_delay_alu instid0(VALU_DEP_2)
	v_add_f32_e32 v3, v15, v3
	s_wait_dscnt 0x1
	v_sub_f32_e32 v5, v183, v5
	v_fmac_f32_e32 v202, v174, v217
	v_sub_f32_e32 v174, v179, v223
	v_add_f32_e32 v3, v16, v3
	s_delay_alu instid0(VALU_DEP_3) | instskip(NEXT) | instid1(VALU_DEP_3)
	v_dual_mul_f32 v5, v16, v5 :: v_dual_fmac_f32 v202, v7, v219
	v_mul_f32_e32 v174, v12, v174
	ds_bpermute_b32 v12, v1, v36 offset:68
	ds_bpermute_b32 v7, v1, v37 offset:64
	v_dual_add_f32 v3, v17, v3 :: v_dual_fmac_f32 v202, v8, v221
	ds_bpermute_b32 v8, v1, v36 offset:64
	v_add_f32_e32 v3, v18, v3
	s_delay_alu instid0(VALU_DEP_1) | instskip(NEXT) | instid1(VALU_DEP_1)
	v_dual_fmac_f32 v202, v174, v222 :: v_dual_add_f32 v3, v19, v3
	v_fmac_f32_e32 v202, v10, v165
	ds_bpermute_b32 v10, v1, v36 offset:72
	ds_bpermute_b32 v165, v1, v37 offset:124
	v_dual_add_f32 v3, v20, v3 :: v_dual_fmac_f32 v202, v11, v2
	ds_bpermute_b32 v2, v1, v37 offset:68
	ds_bpermute_b32 v11, v1, v37 offset:72
	v_fmac_f32_e32 v202, v13, v171
	ds_bpermute_b32 v13, v1, v36 offset:76
	v_fmac_f32_e32 v202, v5, v4
	s_wait_dscnt 0x7
	v_sub_f32_e32 v5, v189, v12
	s_delay_alu instid0(VALU_DEP_2)
	v_fmac_f32_e32 v202, v9, v6
	s_wait_dscnt 0x4
	v_dual_sub_f32 v9, v188, v10 :: v_dual_sub_f32 v4, v185, v8
	ds_bpermute_b32 v8, v1, v36 offset:80
	v_mul_f32_e32 v5, v19, v5
	ds_bpermute_b32 v6, v1, v37 offset:76
	ds_bpermute_b32 v10, v1, v36 offset:84
	v_mul_f32_e32 v4, v18, v4
	s_delay_alu instid0(VALU_DEP_1)
	v_fmac_f32_e32 v202, v4, v7
	v_mul_f32_e32 v7, v20, v9
	ds_bpermute_b32 v4, v1, v37 offset:80
	ds_bpermute_b32 v9, v1, v37 offset:84
	v_add_f32_e32 v3, v21, v3
	s_wait_dscnt 0x7
	v_fmac_f32_e32 v202, v5, v2
	ds_bpermute_b32 v2, v1, v36 offset:88
	s_wait_dscnt 0x6
	v_sub_f32_e32 v5, v191, v13
	v_add_f32_e32 v3, v22, v3
	v_fmac_f32_e32 v202, v7, v11
	ds_bpermute_b32 v7, v1, v36 offset:92
	s_wait_dscnt 0x6
	v_dual_sub_f32 v8, v190, v8 :: v_dual_mul_f32 v5, v21, v5
	s_wait_dscnt 0x5
	s_delay_alu instid0(VALU_DEP_1)
	v_dual_add_f32 v3, v23, v3 :: v_dual_fmac_f32 v202, v5, v6
	ds_bpermute_b32 v5, v1, v37 offset:88
	v_mul_f32_e32 v6, v22, v8
	s_wait_dscnt 0x5
	v_sub_f32_e32 v8, v193, v10
	ds_bpermute_b32 v10, v1, v36 offset:96
	v_add_f32_e32 v3, v24, v3
	s_delay_alu instid0(VALU_DEP_1)
	v_add_f32_e32 v3, v25, v3
	s_wait_dscnt 0x2
	v_dual_sub_f32 v7, v195, v7 :: v_dual_fmac_f32 v202, v6, v4
	ds_bpermute_b32 v4, v1, v37 offset:92
	v_mul_f32_e32 v6, v23, v8
	ds_bpermute_b32 v8, v1, v36 offset:100
	v_dual_sub_f32 v2, v192, v2 :: v_dual_add_f32 v3, v26, v3
	v_fmac_f32_e32 v202, v6, v9
	ds_bpermute_b32 v6, v1, v37 offset:96
	v_mul_f32_e32 v2, v24, v2
	ds_bpermute_b32 v9, v1, v36 offset:104
	s_wait_dscnt 0x5
	v_dual_add_f32 v3, v27, v3 :: v_dual_fmac_f32 v202, v2, v5
	ds_bpermute_b32 v2, v1, v37 offset:100
	v_mul_f32_e32 v5, v25, v7
	s_wait_dscnt 0x5
	v_sub_f32_e32 v7, v194, v10
	ds_bpermute_b32 v10, v1, v36 offset:108
	s_wait_dscnt 0x5
	v_dual_add_f32 v3, v28, v3 :: v_dual_fmac_f32 v202, v5, v4
	v_mul_f32_e32 v4, v26, v7
	ds_bpermute_b32 v5, v1, v37 offset:104
	s_wait_dscnt 0x5
	v_sub_f32_e32 v7, v197, v8
	ds_bpermute_b32 v8, v1, v36 offset:112
	s_wait_dscnt 0x5
	v_dual_add_f32 v3, v29, v3 :: v_dual_fmac_f32 v202, v4, v6
	ds_bpermute_b32 v6, v1, v37 offset:108
	s_wait_dscnt 0x5
	v_dual_mul_f32 v4, v27, v7 :: v_dual_sub_f32 v7, v196, v9
	ds_bpermute_b32 v9, v1, v36 offset:116
	s_wait_dscnt 0x5
	v_fmac_f32_e32 v202, v4, v2
	v_mul_f32_e32 v2, v28, v7
	ds_bpermute_b32 v4, v1, v37 offset:112
	s_wait_dscnt 0x5
	v_sub_f32_e32 v7, v170, v10
	ds_bpermute_b32 v10, v1, v36 offset:120
	s_wait_dscnt 0x5
	v_fmac_f32_e32 v202, v2, v5
	v_mul_f32_e32 v2, v29, v7
	ds_bpermute_b32 v5, v1, v37 offset:116
	s_wait_dscnt 0x5
	v_sub_f32_e32 v7, v198, v8
	v_add_f32_e32 v3, v30, v3
	s_wait_dscnt 0x4
	v_fmac_f32_e32 v202, v2, v6
	ds_bpermute_b32 v6, v1, v37 offset:120
	s_wait_dscnt 0x4
	v_dual_mul_f32 v2, v30, v7 :: v_dual_sub_f32 v7, v200, v9
	s_wait_dscnt 0x3
	s_delay_alu instid0(VALU_DEP_1) | instskip(NEXT) | instid1(VALU_DEP_2)
	v_dual_add_f32 v3, v31, v3 :: v_dual_fmac_f32 v202, v2, v4
	v_mul_f32_e32 v4, v31, v7
	s_wait_dscnt 0x2
	v_sub_f32_e32 v7, v199, v10
	ds_bpermute_b32 v2, v1, v36 offset:124
	s_wait_dscnt 0x2
	v_fmac_f32_e32 v202, v4, v5
	v_mul_f32_e32 v4, v32, v7
	s_wait_dscnt 0x1
	s_delay_alu instid0(VALU_DEP_1) | instskip(NEXT) | instid1(VALU_DEP_1)
	v_fmac_f32_e32 v202, v4, v6
	v_dual_add_f32 v3, v32, v3 :: v_dual_mov_b32 v170, v202
.LBB51_137:                             ;   in Loop: Header=BB51_3 Depth=1
	v_add_co_u32 v42, vcc_lo, v42, s24
	s_wait_alu 0xfffd
	v_add_co_ci_u32_e64 v43, null, s25, v43, vcc_lo
	v_add_co_u32 v44, vcc_lo, v44, s24
	s_wait_alu 0xfffd
	v_add_co_ci_u32_e64 v45, null, s25, v45, vcc_lo
	;; [unrolled: 3-line block ×59, first 2 shown]
	v_add_co_u32 v159, vcc_lo, v159, s24
	s_wait_dscnt 0x0
	v_dual_sub_f32 v2, v186, v2 :: v_dual_add_f32 v223, v3, v33
	s_wait_alu 0xfffd
	v_add_co_ci_u32_e64 v160, null, s25, v160, vcc_lo
	v_add_co_u32 v161, vcc_lo, v161, s24
	s_wait_alu 0xfffd
	v_add_co_ci_u32_e64 v162, null, s25, v162, vcc_lo
	v_add_co_u32 v163, vcc_lo, v163, s24
	;; [unrolled: 3-line block ×3, first 2 shown]
	s_add_nc_u64 s[28:29], s[28:29], s[22:23]
	v_mul_f32_e32 v2, v33, v2
	s_wait_alu 0xfffd
	v_add_co_ci_u32_e64 v167, null, s25, v167, vcc_lo
	v_add_co_u32 v168, vcc_lo, v168, s24
	s_wait_alu 0xfffe
	v_cmp_lt_i64_e64 s3, s[28:29], s[4:5]
	s_wait_alu 0xfffd
	v_add_co_ci_u32_e64 v169, null, s25, v169, vcc_lo
	v_add_co_u32 v39, vcc_lo, v39, s22
	v_fmac_f32_e32 v170, v2, v165
	s_wait_alu 0xfffd
	v_add_co_ci_u32_e64 v41, null, 0, v41, vcc_lo
	s_and_b32 vcc_lo, exec_lo, s3
	s_add_nc_u64 s[26:27], s[26:27], s[22:23]
	s_wait_alu 0xfffe
	s_cbranch_vccz .LBB51_142
; %bb.138:                              ;   in Loop: Header=BB51_3 Depth=1
	v_mov_b32_e32 v202, v170
	s_branch .LBB51_3
.LBB51_139:                             ;   in Loop: Header=BB51_3 Depth=1
	v_add_co_u32 v200, vcc_lo, v54, v34
	s_wait_alu 0xfffd
	v_add_co_ci_u32_e64 v201, null, v55, v35, vcc_lo
	v_add_co_u32 v203, vcc_lo, v56, v34
	s_wait_alu 0xfffd
	v_add_co_ci_u32_e64 v204, null, v57, v35, vcc_lo
	global_load_b32 v31, v[200:201], off
	global_load_b32 v200, v[203:204], off
	s_wait_alu 0xfffe
	s_or_b32 exec_lo, exec_lo, s3
	s_and_saveexec_b32 s3, s2
	s_cbranch_execz .LBB51_134
.LBB51_140:                             ;   in Loop: Header=BB51_3 Depth=1
	v_add_co_u32 v203, vcc_lo, v50, v34
	s_wait_alu 0xfffd
	v_add_co_ci_u32_e64 v204, null, v51, v35, vcc_lo
	v_add_co_u32 v205, vcc_lo, v52, v34
	s_wait_alu 0xfffd
	v_add_co_ci_u32_e64 v206, null, v53, v35, vcc_lo
	global_load_b32 v32, v[203:204], off
	global_load_b32 v199, v[205:206], off
	s_wait_alu 0xfffe
	s_or_b32 exec_lo, exec_lo, s3
	v_mov_b32_e32 v186, 0
	s_and_saveexec_b32 s3, s2
	s_cbranch_execnz .LBB51_135
	s_branch .LBB51_136
.LBB51_141:
                                        ; implicit-def: $vgpr223
                                        ; implicit-def: $vgpr170
	s_branch .LBB51_143
.LBB51_142:
	s_cbranch_execnz .LBB51_219
.LBB51_143:
	v_dual_mov_b32 v223, 0 :: v_dual_mov_b32 v170, 0
	s_and_not1_b32 vcc_lo, exec_lo, s31
	s_wait_alu 0xfffe
	s_cbranch_vccnz .LBB51_219
; %bb.144:
	v_bfe_u32 v224, v227, 10, 10
	s_lshl_b64 s[2:3], s[16:17], 2
	v_mov_b32_e32 v223, 0
	s_mov_b64 s[20:21], 31
	s_mov_b64 s[22:23], s[16:17]
	v_lshlrev_b32_e32 v205, 5, v224
	v_lshlrev_b32_e32 v1, 7, v224
	scratch_store_b32 off, v224, off offset:308 ; 4-byte Folded Spill
	v_add_co_u32 v0, s18, v205, s16
	s_delay_alu instid0(VALU_DEP_1) | instskip(SKIP_2) | instid1(VALU_DEP_3)
	v_add_co_ci_u32_e64 v9, null, 0, 0, s18
	s_wait_alu 0xfffe
	v_add_co_u32 v3, s2, v1, s2
	v_mul_lo_u32 v5, s7, v0
	s_delay_alu instid0(VALU_DEP_3)
	v_mul_lo_u32 v6, s6, v9
	v_mad_co_u64_u32 v[1:2], null, s6, v0, 0
	s_wait_alu 0xf1ff
	v_add_co_ci_u32_e64 v4, null, 0, s3, s2
	v_add_co_u32 v7, vcc_lo, v3, 4
	s_load_b32 s2, s[0:1], 0x44
	v_add_co_ci_u32_e64 v8, null, 0, v4, vcc_lo
	v_add_co_u32 v11, vcc_lo, v3, 8
	s_wait_alu 0xfffd
	v_add_co_ci_u32_e64 v12, null, 0, v4, vcc_lo
	v_add3_u32 v2, v2, v6, v5
	v_add_co_u32 v5, vcc_lo, v3, 12
	s_wait_alu 0xfffd
	v_add_co_ci_u32_e64 v6, null, 0, v4, vcc_lo
	v_add_co_u32 v14, vcc_lo, v3, 16
	s_wait_alu 0xfffd
	v_add_co_ci_u32_e64 v16, null, 0, v4, vcc_lo
	v_mad_co_u64_u32 v[34:35], null, s6, v7, s[8:9]
	v_mul_lo_u32 v10, s7, v7
	v_mul_lo_u32 v8, s6, v8
	v_mad_co_u64_u32 v[42:43], null, s6, v7, s[10:11]
	v_mad_co_u64_u32 v[40:41], null, s6, v14, s[8:9]
	v_mul_lo_u32 v16, s6, v16
	v_mul_lo_u32 v7, s7, v14
	v_mad_co_u64_u32 v[50:51], null, s6, v14, s[10:11]
	v_add_co_u32 v17, vcc_lo, v3, 20
	v_mad_co_u64_u32 v[38:39], null, s6, v5, s[8:9]
	v_mul_lo_u32 v15, s7, v5
	s_wait_alu 0xfffd
	v_add_co_ci_u32_e64 v18, null, 0, v4, vcc_lo
	v_mad_co_u64_u32 v[48:49], null, s6, v5, s[10:11]
	v_add_co_u32 v5, vcc_lo, v3, 24
	v_mul_lo_u32 v6, s6, v6
	v_add3_u32 v35, v10, v35, v8
	v_add3_u32 v43, v10, v43, v8
	s_wait_alu 0xfffd
	v_add_co_ci_u32_e64 v8, null, 0, v4, vcc_lo
	v_mad_co_u64_u32 v[52:53], null, s6, v5, s[8:9]
	v_add3_u32 v41, v7, v41, v16
	v_add3_u32 v51, v7, v51, v16
	v_mul_lo_u32 v7, s7, v5
	v_mad_co_u64_u32 v[56:57], null, s6, v5, s[10:11]
	v_add_co_u32 v5, vcc_lo, v3, 28
	v_add3_u32 v39, v15, v39, v6
	v_add3_u32 v49, v15, v49, v6
	v_mul_lo_u32 v6, s6, v8
	s_wait_alu 0xfffd
	v_add_co_ci_u32_e64 v8, null, 0, v4, vcc_lo
	v_mad_co_u64_u32 v[58:59], null, s6, v5, s[8:9]
	v_mul_lo_u32 v10, s7, v5
	v_mad_co_u64_u32 v[60:61], null, s6, v5, s[10:11]
	v_add_co_u32 v5, vcc_lo, v3, 32
	v_mad_co_u64_u32 v[36:37], null, s6, v11, s[8:9]
	v_mul_lo_u32 v13, s7, v11
	v_mad_co_u64_u32 v[46:47], null, s6, v11, s[10:11]
	s_wait_alu 0xfffd
	v_add_co_ci_u32_e64 v11, null, 0, v4, vcc_lo
	v_add3_u32 v53, v7, v53, v6
	v_add3_u32 v57, v7, v57, v6
	v_mul_lo_u32 v7, s7, v5
	s_delay_alu instid0(VALU_DEP_4)
	v_mul_lo_u32 v6, s6, v11
	v_mad_co_u64_u32 v[62:63], null, s6, v5, s[8:9]
	v_mad_co_u64_u32 v[64:65], null, s6, v5, s[10:11]
	v_add_co_u32 v5, vcc_lo, v3, 36
	v_mul_lo_u32 v8, s6, v8
	v_mul_lo_u32 v12, s6, v12
	v_add3_u32 v63, v7, v63, v6
	s_delay_alu instid0(VALU_DEP_4)
	v_mad_co_u64_u32 v[66:67], null, s6, v5, s[8:9]
	v_add3_u32 v65, v7, v65, v6
	s_wait_alu 0xfffd
	v_add_co_ci_u32_e64 v6, null, 0, v4, vcc_lo
	v_mul_lo_u32 v7, s7, v5
	v_mad_co_u64_u32 v[68:69], null, s6, v5, s[10:11]
	s_delay_alu instid0(VALU_DEP_3) | instskip(SKIP_4) | instid1(VALU_DEP_4)
	v_mul_lo_u32 v6, s6, v6
	v_add_co_u32 v5, vcc_lo, v3, 40
	v_add3_u32 v59, v10, v59, v8
	v_add3_u32 v61, v10, v61, v8
	;; [unrolled: 1-line block ×3, first 2 shown]
	v_mad_co_u64_u32 v[70:71], null, s6, v5, s[8:9]
	v_add3_u32 v67, v7, v67, v6
	v_add3_u32 v69, v7, v69, v6
	s_wait_alu 0xfffd
	v_add_co_ci_u32_e64 v6, null, 0, v4, vcc_lo
	v_mul_lo_u32 v7, s7, v5
	v_mad_co_u64_u32 v[72:73], null, s6, v5, s[10:11]
	s_delay_alu instid0(VALU_DEP_3) | instskip(SKIP_3) | instid1(VALU_DEP_3)
	v_mul_lo_u32 v6, s6, v6
	v_add_co_u32 v5, vcc_lo, v3, 44
	v_add3_u32 v47, v13, v47, v12
	v_mad_co_u64_u32 v[44:45], null, s6, v17, s[8:9]
	v_mad_co_u64_u32 v[74:75], null, s6, v5, s[8:9]
	v_add3_u32 v71, v7, v71, v6
	v_add3_u32 v73, v7, v73, v6
	s_wait_alu 0xfffd
	v_add_co_ci_u32_e64 v6, null, 0, v4, vcc_lo
	v_mul_lo_u32 v7, s7, v5
	v_mad_co_u64_u32 v[76:77], null, s6, v5, s[10:11]
	s_delay_alu instid0(VALU_DEP_3) | instskip(SKIP_3) | instid1(VALU_DEP_3)
	v_mul_lo_u32 v6, s6, v6
	v_add_co_u32 v5, vcc_lo, v3, 48
	v_mul_lo_u32 v19, s7, v17
	v_mad_co_u64_u32 v[54:55], null, s6, v17, s[10:11]
	v_mad_co_u64_u32 v[78:79], null, s6, v5, s[8:9]
	v_add3_u32 v75, v7, v75, v6
	v_add3_u32 v77, v7, v77, v6
	s_wait_alu 0xfffd
	v_add_co_ci_u32_e64 v6, null, 0, v4, vcc_lo
	v_mul_lo_u32 v7, s7, v5
	v_mad_co_u64_u32 v[80:81], null, s6, v5, s[10:11]
	s_delay_alu instid0(VALU_DEP_3) | instskip(SKIP_3) | instid1(VALU_DEP_2)
	v_mul_lo_u32 v6, s6, v6
	v_add_co_u32 v5, vcc_lo, v3, 52
	v_mul_lo_u32 v18, s6, v18
	s_mov_b32 s3, 0
	v_mad_co_u64_u32 v[82:83], null, s6, v5, s[8:9]
	s_delay_alu instid0(VALU_DEP_4)
	v_add3_u32 v79, v7, v79, v6
	v_add3_u32 v81, v7, v81, v6
	s_wait_alu 0xfffd
	v_add_co_ci_u32_e64 v6, null, 0, v4, vcc_lo
	v_mul_lo_u32 v7, s7, v5
	v_mad_co_u64_u32 v[84:85], null, s6, v5, s[10:11]
	s_delay_alu instid0(VALU_DEP_3) | instskip(SKIP_3) | instid1(VALU_DEP_3)
	v_mul_lo_u32 v6, s6, v6
	v_add_co_u32 v5, vcc_lo, v3, 56
	v_add3_u32 v45, v19, v45, v18
	v_add3_u32 v55, v19, v55, v18
	v_mad_co_u64_u32 v[86:87], null, s6, v5, s[8:9]
	v_add3_u32 v83, v7, v83, v6
	v_add3_u32 v85, v7, v85, v6
	s_wait_alu 0xfffd
	v_add_co_ci_u32_e64 v6, null, 0, v4, vcc_lo
	v_mul_lo_u32 v7, s7, v5
	v_mad_co_u64_u32 v[88:89], null, s6, v5, s[10:11]
	s_delay_alu instid0(VALU_DEP_3) | instskip(SKIP_1) | instid1(VALU_DEP_1)
	v_mul_lo_u32 v6, s6, v6
	v_add_co_u32 v5, vcc_lo, v3, 60
	v_mad_co_u64_u32 v[90:91], null, s6, v5, s[8:9]
	s_delay_alu instid0(VALU_DEP_3)
	v_add3_u32 v87, v7, v87, v6
	v_add3_u32 v89, v7, v89, v6
	s_wait_alu 0xfffd
	v_add_co_ci_u32_e64 v6, null, 0, v4, vcc_lo
	v_mul_lo_u32 v7, s7, v5
	v_mad_co_u64_u32 v[92:93], null, s6, v5, s[10:11]
	s_delay_alu instid0(VALU_DEP_3) | instskip(SKIP_1) | instid1(VALU_DEP_1)
	v_mul_lo_u32 v6, s6, v6
	v_add_co_u32 v5, vcc_lo, v3, 64
	v_mad_co_u64_u32 v[94:95], null, s6, v5, s[8:9]
	s_delay_alu instid0(VALU_DEP_3)
	;; [unrolled: 11-line block ×16, first 2 shown]
	v_add3_u32 v147, v7, v147, v6
	v_add3_u32 v149, v7, v149, v6
	s_wait_alu 0xfffd
	v_add_co_ci_u32_e64 v6, null, 0, v4, vcc_lo
	v_add_co_u32 v3, vcc_lo, 0x7c, v3
	s_wait_alu 0xfffd
	v_add_co_ci_u32_e64 v4, null, 0, v4, vcc_lo
	v_mul_lo_u32 v7, s7, v5
	v_mad_co_u64_u32 v[152:153], null, s6, v5, s[10:11]
	s_delay_alu instid0(VALU_DEP_3)
	v_mul_lo_u32 v4, s6, v4
	v_mul_lo_u32 v5, s7, v3
	v_mad_co_u64_u32 v[154:155], null, s6, v3, s[8:9]
	v_mad_co_u64_u32 v[156:157], null, s6, v3, s[10:11]
	v_mul_lo_u32 v6, s6, v6
	v_add_co_u32 v3, vcc_lo, v0, 31
	s_delay_alu instid0(VALU_DEP_4) | instskip(NEXT) | instid1(VALU_DEP_4)
	v_add3_u32 v155, v5, v155, v4
	v_add3_u32 v157, v5, v157, v4
	s_wait_alu 0xfffd
	v_add_co_ci_u32_e64 v4, null, 0, v9, vcc_lo
	v_add3_u32 v151, v7, v151, v6
	v_add3_u32 v153, v7, v153, v6
	v_mul_lo_u32 v6, s7, v3
	s_delay_alu instid0(VALU_DEP_4) | instskip(SKIP_1) | instid1(VALU_DEP_1)
	v_mul_lo_u32 v5, s6, v4
	v_mad_co_u64_u32 v[3:4], null, s6, v3, 0
	v_add3_u32 v4, v4, v5, v6
	v_add_co_u32 v5, vcc_lo, v0, 30
	s_wait_alu 0xfffd
	v_add_co_ci_u32_e64 v6, null, 0, v9, vcc_lo
	s_delay_alu instid0(VALU_DEP_2) | instskip(NEXT) | instid1(VALU_DEP_2)
	v_mul_lo_u32 v8, s7, v5
	v_mul_lo_u32 v7, s6, v6
	v_mad_co_u64_u32 v[5:6], null, s6, v5, 0
	s_delay_alu instid0(VALU_DEP_1) | instskip(SKIP_3) | instid1(VALU_DEP_2)
	v_add3_u32 v6, v6, v7, v8
	v_add_co_u32 v7, vcc_lo, v0, 29
	s_wait_alu 0xfffd
	v_add_co_ci_u32_e64 v8, null, 0, v9, vcc_lo
	v_mul_lo_u32 v11, s7, v7
	s_delay_alu instid0(VALU_DEP_2) | instskip(SKIP_1) | instid1(VALU_DEP_1)
	v_mul_lo_u32 v10, s6, v8
	v_mad_co_u64_u32 v[7:8], null, s6, v7, 0
	v_add3_u32 v8, v8, v10, v11
	v_add_co_u32 v10, vcc_lo, v0, 28
	s_wait_alu 0xfffd
	v_add_co_ci_u32_e64 v11, null, 0, v9, vcc_lo
	s_delay_alu instid0(VALU_DEP_2) | instskip(NEXT) | instid1(VALU_DEP_2)
	v_mul_lo_u32 v13, s7, v10
	v_mul_lo_u32 v12, s6, v11
	v_mad_co_u64_u32 v[10:11], null, s6, v10, 0
	s_delay_alu instid0(VALU_DEP_1) | instskip(SKIP_3) | instid1(VALU_DEP_2)
	v_add3_u32 v11, v11, v12, v13
	v_add_co_u32 v12, vcc_lo, v0, 27
	s_wait_alu 0xfffd
	v_add_co_ci_u32_e64 v13, null, 0, v9, vcc_lo
	v_mul_lo_u32 v15, s7, v12
	s_delay_alu instid0(VALU_DEP_2) | instskip(SKIP_1) | instid1(VALU_DEP_1)
	;; [unrolled: 17-line block ×9, first 2 shown]
	v_mul_lo_u32 v166, s6, v165
	v_mad_co_u64_u32 v[164:165], null, s6, v164, 0
	v_add3_u32 v165, v165, v166, v167
	v_add_co_u32 v166, vcc_lo, v0, 12
	s_wait_alu 0xfffd
	v_add_co_ci_u32_e64 v167, null, 0, v9, vcc_lo
	s_delay_alu instid0(VALU_DEP_2) | instskip(SKIP_1) | instid1(VALU_DEP_3)
	v_mul_lo_u32 v168, s7, v166
	v_mad_co_u64_u32 v[170:171], null, s6, v166, 0
	v_mul_lo_u32 v167, s6, v167
	v_add_co_u32 v166, vcc_lo, v0, 11
	s_delay_alu instid0(VALU_DEP_1) | instskip(NEXT) | instid1(VALU_DEP_3)
	v_mad_co_u64_u32 v[172:173], null, s6, v166, 0
	v_add3_u32 v171, v171, v167, v168
	s_wait_alu 0xfffd
	v_add_co_ci_u32_e64 v167, null, 0, v9, vcc_lo
	v_mul_lo_u32 v168, s7, v166
	v_add_co_u32 v166, vcc_lo, v0, 10
	s_delay_alu instid0(VALU_DEP_3) | instskip(NEXT) | instid1(VALU_DEP_2)
	v_mul_lo_u32 v167, s6, v167
	v_mad_co_u64_u32 v[174:175], null, s6, v166, 0
	s_delay_alu instid0(VALU_DEP_2) | instskip(SKIP_4) | instid1(VALU_DEP_3)
	v_add3_u32 v173, v173, v167, v168
	s_wait_alu 0xfffd
	v_add_co_ci_u32_e64 v167, null, 0, v9, vcc_lo
	v_mul_lo_u32 v168, s7, v166
	v_add_co_u32 v166, vcc_lo, v0, 9
	v_mul_lo_u32 v167, s6, v167
	s_delay_alu instid0(VALU_DEP_2) | instskip(NEXT) | instid1(VALU_DEP_2)
	v_mad_co_u64_u32 v[176:177], null, s6, v166, 0
	v_add3_u32 v175, v175, v167, v168
	s_wait_alu 0xfffd
	v_add_co_ci_u32_e64 v167, null, 0, v9, vcc_lo
	v_mul_lo_u32 v168, s7, v166
	v_add_co_u32 v166, vcc_lo, v0, 8
	s_delay_alu instid0(VALU_DEP_3) | instskip(NEXT) | instid1(VALU_DEP_2)
	v_mul_lo_u32 v167, s6, v167
	v_mad_co_u64_u32 v[178:179], null, s6, v166, 0
	s_delay_alu instid0(VALU_DEP_2) | instskip(SKIP_4) | instid1(VALU_DEP_3)
	v_add3_u32 v177, v177, v167, v168
	s_wait_alu 0xfffd
	v_add_co_ci_u32_e64 v167, null, 0, v9, vcc_lo
	v_mul_lo_u32 v168, s7, v166
	v_add_co_u32 v166, vcc_lo, v0, 7
	v_mul_lo_u32 v167, s6, v167
	s_delay_alu instid0(VALU_DEP_2) | instskip(NEXT) | instid1(VALU_DEP_2)
	;; [unrolled: 17-line block ×4, first 2 shown]
	v_mad_co_u64_u32 v[192:193], null, s6, v166, 0
	v_add3_u32 v189, v189, v167, v168
	s_wait_alu 0xfffd
	v_add_co_ci_u32_e64 v167, null, 0, v9, vcc_lo
	v_add_co_u32 v0, vcc_lo, v0, 2
	s_wait_alu 0xfffd
	v_add_co_ci_u32_e64 v9, null, 0, v9, vcc_lo
	v_mul_lo_u32 v168, s7, v166
	s_delay_alu instid0(VALU_DEP_3) | instskip(SKIP_1) | instid1(VALU_DEP_4)
	v_mul_lo_u32 v166, s7, v0
	v_mad_co_u64_u32 v[196:197], null, s6, v0, 0
	v_mul_lo_u32 v9, s6, v9
	v_mul_lo_u32 v167, s6, v167
	v_add_co_u32 v200, vcc_lo, v1, s6
	v_lshlrev_b64_e32 v[0:1], 2, v[1:2]
	s_wait_alu 0xfffd
	v_add_co_ci_u32_e64 v201, null, s7, v2, vcc_lo
	v_add3_u32 v197, v197, v9, v166
	v_add3_u32 v193, v193, v167, v168
	s_delay_alu instid0(VALU_DEP_4)
	v_add_co_u32 v166, vcc_lo, s8, v0
	s_wait_alu 0xfffd
	v_add_co_ci_u32_e64 v167, null, s9, v1, vcc_lo
	v_add_co_u32 v168, vcc_lo, s10, v0
	s_wait_alu 0xfffd
	v_add_co_ci_u32_e64 v169, null, s11, v1, vcc_lo
	v_lshlrev_b64_e32 v[0:1], 2, v[3:4]
	v_mov_b32_e32 v3, v227
	s_delay_alu instid0(VALU_DEP_2)
	v_add_co_u32 v2, vcc_lo, s8, v0
	scratch_store_b32 off, v2, off          ; 4-byte Folded Spill
	s_wait_alu 0xfffd
	v_add_co_ci_u32_e64 v2, null, s9, v1, vcc_lo
	v_add_co_u32 v0, vcc_lo, s10, v0
	s_clause 0x1
	scratch_store_b32 off, v2, off offset:4
	scratch_store_b32 off, v0, off offset:8
	s_wait_alu 0xfffd
	v_add_co_ci_u32_e64 v0, null, s11, v1, vcc_lo
	scratch_store_b32 off, v0, off offset:12 ; 4-byte Folded Spill
	v_lshlrev_b64_e32 v[0:1], 2, v[5:6]
	s_delay_alu instid0(VALU_DEP_1)
	v_add_co_u32 v2, vcc_lo, s8, v0
	scratch_store_b32 off, v2, off offset:16 ; 4-byte Folded Spill
	s_wait_alu 0xfffd
	v_add_co_ci_u32_e64 v2, null, s9, v1, vcc_lo
	v_add_co_u32 v0, vcc_lo, s10, v0
	s_clause 0x1
	scratch_store_b32 off, v2, off offset:20
	scratch_store_b32 off, v0, off offset:24
	s_wait_alu 0xfffd
	v_add_co_ci_u32_e64 v0, null, s11, v1, vcc_lo
	scratch_store_b32 off, v0, off offset:28 ; 4-byte Folded Spill
	v_lshlrev_b64_e32 v[0:1], 2, v[7:8]
	s_delay_alu instid0(VALU_DEP_1)
	v_add_co_u32 v2, vcc_lo, s8, v0
	scratch_store_b32 off, v2, off offset:32 ; 4-byte Folded Spill
	;; [unrolled: 13-line block ×13, first 2 shown]
	s_wait_alu 0xfffd
	v_add_co_ci_u32_e64 v2, null, s9, v1, vcc_lo
	v_add_co_u32 v0, vcc_lo, s10, v0
	s_clause 0x1
	scratch_store_b32 off, v2, off offset:212
	scratch_store_b32 off, v0, off offset:216
	s_wait_alu 0xfffd
	v_add_co_ci_u32_e64 v0, null, s11, v1, vcc_lo
	scratch_store_b32 off, v0, off offset:220 ; 4-byte Folded Spill
	v_lshlrev_b64_e32 v[0:1], 2, v[32:33]
	s_delay_alu instid0(VALU_DEP_1) | instskip(SKIP_1) | instid1(VALU_DEP_2)
	v_add_co_u32 v2, vcc_lo, s8, v0
	s_wait_alu 0xfffd
	v_add_co_ci_u32_e64 v227, null, s9, v1, vcc_lo
	v_add_co_u32 v228, vcc_lo, s10, v0
	s_wait_alu 0xfffd
	v_add_co_ci_u32_e64 v229, null, s11, v1, vcc_lo
	v_lshlrev_b64_e32 v[0:1], 2, v[158:159]
	scratch_store_b32 off, v2, off offset:224 ; 4-byte Folded Spill
	v_add_co_u32 v230, vcc_lo, s8, v0
	s_wait_alu 0xfffd
	v_add_co_ci_u32_e64 v231, null, s9, v1, vcc_lo
	v_add_co_u32 v232, vcc_lo, s10, v0
	s_wait_alu 0xfffd
	v_add_co_ci_u32_e64 v233, null, s11, v1, vcc_lo
	v_lshlrev_b64_e32 v[0:1], 2, v[160:161]
	s_delay_alu instid0(VALU_DEP_1) | instskip(SKIP_1) | instid1(VALU_DEP_2)
	v_add_co_u32 v234, vcc_lo, s8, v0
	s_wait_alu 0xfffd
	v_add_co_ci_u32_e64 v235, null, s9, v1, vcc_lo
	v_add_co_u32 v236, vcc_lo, s10, v0
	s_wait_alu 0xfffd
	v_add_co_ci_u32_e64 v237, null, s11, v1, vcc_lo
	v_lshlrev_b64_e32 v[0:1], 2, v[162:163]
	s_delay_alu instid0(VALU_DEP_1) | instskip(SKIP_1) | instid1(VALU_DEP_2)
	v_add_co_u32 v238, vcc_lo, s8, v0
	s_wait_alu 0xfffd
	v_add_co_ci_u32_e64 v239, null, s9, v1, vcc_lo
	v_add_co_u32 v240, vcc_lo, s10, v0
	s_wait_alu 0xfffd
	v_add_co_ci_u32_e64 v241, null, s11, v1, vcc_lo
	v_lshlrev_b64_e32 v[0:1], 2, v[164:165]
	s_delay_alu instid0(VALU_DEP_1) | instskip(SKIP_1) | instid1(VALU_DEP_2)
	v_add_co_u32 v242, vcc_lo, s8, v0
	s_wait_alu 0xfffd
	v_add_co_ci_u32_e64 v243, null, s9, v1, vcc_lo
	v_add_co_u32 v244, vcc_lo, s10, v0
	s_wait_alu 0xfffd
	v_add_co_ci_u32_e64 v245, null, s11, v1, vcc_lo
	v_lshlrev_b64_e32 v[0:1], 2, v[170:171]
	v_mov_b32_e32 v170, 0
	s_delay_alu instid0(VALU_DEP_2) | instskip(SKIP_1) | instid1(VALU_DEP_3)
	v_add_co_u32 v246, vcc_lo, s8, v0
	s_wait_alu 0xfffd
	v_add_co_ci_u32_e64 v247, null, s9, v1, vcc_lo
	v_add_co_u32 v248, vcc_lo, s10, v0
	s_wait_alu 0xfffd
	v_add_co_ci_u32_e64 v249, null, s11, v1, vcc_lo
	v_lshlrev_b64_e32 v[0:1], 2, v[172:173]
	s_delay_alu instid0(VALU_DEP_1) | instskip(SKIP_1) | instid1(VALU_DEP_2)
	v_add_co_u32 v250, vcc_lo, s8, v0
	s_wait_alu 0xfffd
	v_add_co_ci_u32_e64 v251, null, s9, v1, vcc_lo
	v_add_co_u32 v252, vcc_lo, s10, v0
	s_wait_alu 0xfffd
	v_add_co_ci_u32_e64 v253, null, s11, v1, vcc_lo
	v_lshlrev_b64_e32 v[0:1], 2, v[174:175]
	s_delay_alu instid0(VALU_DEP_1) | instskip(SKIP_1) | instid1(VALU_DEP_2)
	;; [unrolled: 8-line block ×11, first 2 shown]
	v_add_co_u32 v200, vcc_lo, s8, v1
	s_wait_alu 0xfffd
	v_add_co_ci_u32_e64 v201, null, s9, v2, vcc_lo
	v_add_co_u32 v202, vcc_lo, s10, v1
	v_and_b32_e32 v1, 0x3ff, v3
	s_wait_alu 0xfffd
	v_add_co_ci_u32_e64 v203, null, s11, v2, vcc_lo
	s_wait_kmcnt 0x0
	s_lshl_b32 s8, s2, 5
	s_wait_alu 0xfffe
	s_mov_b32 s9, s3
	scratch_store_b32 off, v1, off offset:304 ; 4-byte Folded Spill
	v_dual_mov_b32 v1, 0 :: v_dual_add_nc_u32 v2, s30, v1
	scratch_store_b32 off, v3, off offset:312 ; 4-byte Folded Spill
	s_wait_alu 0xfffe
	s_mul_u64 s[18:19], s[6:7], s[8:9]
	s_add_nc_u64 s[10:11], s[0:1], 64
	s_wait_alu 0xfffe
	s_lshl_b64 s[18:19], s[18:19], 2
	v_dual_mov_b32 v3, v1 :: v_dual_mov_b32 v204, v1
	s_delay_alu instid0(VALU_DEP_1)
	v_lshlrev_b64_e32 v[158:159], 2, v[2:3]
	s_branch .LBB51_147
.LBB51_145:                             ;   in Loop: Header=BB51_147 Depth=1
	s_wait_alu 0xfffe
	s_or_b32 exec_lo, exec_lo, s2
	v_add_co_u32 v2, vcc_lo, v168, v158
	s_wait_alu 0xfffd
	v_add_co_ci_u32_e64 v3, null, v169, v159, vcc_lo
	global_load_b32 v6, v[2:3], off
	v_add_co_u32 v2, vcc_lo, v166, v158
	s_wait_alu 0xfffd
	v_add_co_ci_u32_e64 v3, null, v167, v159, vcc_lo
	global_load_b32 v2, v[2:3], off
	s_wait_loadcnt 0x3
	ds_bpermute_b32 v3, v1, v5
	s_wait_loadcnt_dscnt 0x100
	v_sub_f32_e32 v3, v6, v3
	ds_bpermute_b32 v6, v1, v4
	s_wait_loadcnt 0x0
	v_dual_mul_f32 v3, v2, v3 :: v_dual_add_f32 v2, v223, v2
	s_wait_dscnt 0x0
	s_delay_alu instid0(VALU_DEP_1)
	v_fmac_f32_e32 v170, v3, v6
	v_add_co_u32 v6, vcc_lo, v42, v158
	s_wait_alu 0xfffd
	v_add_co_ci_u32_e64 v7, null, v43, v159, vcc_lo
	global_load_b32 v8, v[6:7], off
	v_add_co_u32 v6, vcc_lo, v34, v158
	s_wait_alu 0xfffd
	v_add_co_ci_u32_e64 v7, null, v35, v159, vcc_lo
	global_load_b32 v3, v[6:7], off
	ds_bpermute_b32 v6, v1, v5 offset:4
	ds_bpermute_b32 v7, v1, v4 offset:4
	s_wait_loadcnt_dscnt 0x101
	v_sub_f32_e32 v6, v8, v6
	s_wait_loadcnt 0x0
	s_delay_alu instid0(VALU_DEP_1)
	v_mul_f32_e32 v6, v3, v6
	v_add_f32_e32 v2, v2, v3
	ds_bpermute_b32 v3, v1, v5 offset:124
	s_wait_dscnt 0x1
	v_fmac_f32_e32 v170, v6, v7
	v_add_co_u32 v6, vcc_lo, v46, v158
	s_wait_alu 0xfffd
	v_add_co_ci_u32_e64 v7, null, v47, v159, vcc_lo
	global_load_b32 v8, v[6:7], off
	v_add_co_u32 v6, vcc_lo, v36, v158
	s_wait_alu 0xfffd
	v_add_co_ci_u32_e64 v7, null, v37, v159, vcc_lo
	global_load_b32 v6, v[6:7], off
	ds_bpermute_b32 v7, v1, v5 offset:8
	s_wait_loadcnt_dscnt 0x100
	v_sub_f32_e32 v7, v8, v7
	ds_bpermute_b32 v8, v1, v4 offset:8
	s_wait_loadcnt 0x0
	v_mul_f32_e32 v7, v6, v7
	v_add_f32_e32 v2, v2, v6
	s_wait_dscnt 0x0
	s_delay_alu instid0(VALU_DEP_2)
	v_fmac_f32_e32 v170, v7, v8
	v_add_co_u32 v7, vcc_lo, v48, v158
	s_wait_alu 0xfffd
	v_add_co_ci_u32_e64 v8, null, v49, v159, vcc_lo
	global_load_b32 v9, v[7:8], off
	v_add_co_u32 v7, vcc_lo, v38, v158
	s_wait_alu 0xfffd
	v_add_co_ci_u32_e64 v8, null, v39, v159, vcc_lo
	global_load_b32 v7, v[7:8], off
	ds_bpermute_b32 v8, v1, v5 offset:12
	s_wait_loadcnt_dscnt 0x100
	v_sub_f32_e32 v8, v9, v8
	ds_bpermute_b32 v9, v1, v4 offset:12
	s_wait_loadcnt 0x0
	v_mul_f32_e32 v8, v7, v8
	v_add_f32_e32 v2, v2, v7
	s_wait_dscnt 0x0
	s_delay_alu instid0(VALU_DEP_2)
	v_fmac_f32_e32 v170, v8, v9
	v_add_co_u32 v8, vcc_lo, v50, v158
	s_wait_alu 0xfffd
	v_add_co_ci_u32_e64 v9, null, v51, v159, vcc_lo
	global_load_b32 v10, v[8:9], off
	v_add_co_u32 v8, vcc_lo, v40, v158
	s_wait_alu 0xfffd
	v_add_co_ci_u32_e64 v9, null, v41, v159, vcc_lo
	global_load_b32 v8, v[8:9], off
	ds_bpermute_b32 v9, v1, v5 offset:16
	s_wait_loadcnt_dscnt 0x100
	v_sub_f32_e32 v9, v10, v9
	ds_bpermute_b32 v10, v1, v4 offset:16
	s_wait_loadcnt 0x0
	v_dual_mul_f32 v9, v8, v9 :: v_dual_add_f32 v2, v2, v8
	s_wait_dscnt 0x0
	s_delay_alu instid0(VALU_DEP_1)
	v_fmac_f32_e32 v170, v9, v10
	v_add_co_u32 v9, vcc_lo, v54, v158
	s_wait_alu 0xfffd
	v_add_co_ci_u32_e64 v10, null, v55, v159, vcc_lo
	global_load_b32 v11, v[9:10], off
	v_add_co_u32 v9, vcc_lo, v44, v158
	s_wait_alu 0xfffd
	v_add_co_ci_u32_e64 v10, null, v45, v159, vcc_lo
	global_load_b32 v9, v[9:10], off
	ds_bpermute_b32 v10, v1, v5 offset:20
	s_wait_loadcnt_dscnt 0x100
	v_sub_f32_e32 v10, v11, v10
	ds_bpermute_b32 v11, v1, v4 offset:20
	s_wait_loadcnt 0x0
	v_mul_f32_e32 v10, v9, v10
	v_add_f32_e32 v2, v2, v9
	s_wait_dscnt 0x0
	s_delay_alu instid0(VALU_DEP_2)
	v_fmac_f32_e32 v170, v10, v11
	v_add_co_u32 v10, vcc_lo, v56, v158
	s_wait_alu 0xfffd
	v_add_co_ci_u32_e64 v11, null, v57, v159, vcc_lo
	global_load_b32 v12, v[10:11], off
	v_add_co_u32 v10, vcc_lo, v52, v158
	s_wait_alu 0xfffd
	v_add_co_ci_u32_e64 v11, null, v53, v159, vcc_lo
	global_load_b32 v10, v[10:11], off
	ds_bpermute_b32 v11, v1, v5 offset:24
	s_wait_loadcnt_dscnt 0x100
	v_sub_f32_e32 v11, v12, v11
	ds_bpermute_b32 v12, v1, v4 offset:24
	s_wait_loadcnt 0x0
	v_mul_f32_e32 v11, v10, v11
	v_add_f32_e32 v2, v2, v10
	s_wait_dscnt 0x0
	s_delay_alu instid0(VALU_DEP_2)
	;; [unrolled: 18-line block ×3, first 2 shown]
	v_fmac_f32_e32 v170, v12, v13
	v_add_co_u32 v12, vcc_lo, v64, v158
	s_wait_alu 0xfffd
	v_add_co_ci_u32_e64 v13, null, v65, v159, vcc_lo
	global_load_b32 v14, v[12:13], off
	v_add_co_u32 v12, vcc_lo, v62, v158
	s_wait_alu 0xfffd
	v_add_co_ci_u32_e64 v13, null, v63, v159, vcc_lo
	global_load_b32 v15, v[12:13], off
	ds_bpermute_b32 v12, v1, v5 offset:32
	ds_bpermute_b32 v13, v1, v4 offset:32
	s_wait_loadcnt_dscnt 0x101
	v_sub_f32_e32 v12, v14, v12
	s_wait_loadcnt 0x0
	s_delay_alu instid0(VALU_DEP_1) | instskip(SKIP_2) | instid1(VALU_DEP_2)
	v_mul_f32_e32 v12, v15, v12
	v_add_f32_e32 v2, v2, v15
	s_wait_dscnt 0x0
	v_fmac_f32_e32 v170, v12, v13
	v_add_co_u32 v12, vcc_lo, v68, v158
	s_wait_alu 0xfffd
	v_add_co_ci_u32_e64 v13, null, v69, v159, vcc_lo
	global_load_b32 v14, v[12:13], off
	v_add_co_u32 v12, vcc_lo, v66, v158
	s_wait_alu 0xfffd
	v_add_co_ci_u32_e64 v13, null, v67, v159, vcc_lo
	global_load_b32 v16, v[12:13], off
	ds_bpermute_b32 v12, v1, v5 offset:36
	ds_bpermute_b32 v13, v1, v4 offset:36
	s_wait_loadcnt_dscnt 0x101
	v_sub_f32_e32 v12, v14, v12
	s_wait_loadcnt 0x0
	s_delay_alu instid0(VALU_DEP_1) | instskip(SKIP_2) | instid1(VALU_DEP_2)
	v_mul_f32_e32 v12, v16, v12
	v_add_f32_e32 v2, v2, v16
	s_wait_dscnt 0x0
	;; [unrolled: 18-line block ×22, first 2 shown]
	v_fmac_f32_e32 v170, v12, v13
	v_add_co_u32 v12, vcc_lo, v152, v158
	s_wait_alu 0xfffd
	v_add_co_ci_u32_e64 v13, null, v153, v159, vcc_lo
	global_load_b32 v14, v[12:13], off
	v_add_co_u32 v12, vcc_lo, v150, v158
	s_wait_alu 0xfffd
	v_add_co_ci_u32_e64 v13, null, v151, v159, vcc_lo
	global_load_b32 v205, v[12:13], off
	ds_bpermute_b32 v12, v1, v5 offset:120
	ds_bpermute_b32 v13, v1, v4 offset:120
	;; [unrolled: 1-line block ×3, first 2 shown]
	s_wait_loadcnt_dscnt 0x102
	v_sub_f32_e32 v12, v14, v12
	s_wait_loadcnt 0x0
	s_delay_alu instid0(VALU_DEP_1) | instskip(SKIP_2) | instid1(VALU_DEP_2)
	v_mul_f32_e32 v12, v205, v12
	v_add_f32_e32 v2, v2, v205
	s_wait_dscnt 0x1
	v_fmac_f32_e32 v170, v12, v13
	v_add_co_u32 v12, vcc_lo, v156, v158
	s_wait_alu 0xfffd
	v_add_co_ci_u32_e64 v13, null, v157, v159, vcc_lo
	v_add_co_u32 v5, vcc_lo, v154, v158
	s_wait_alu 0xfffd
	v_add_co_ci_u32_e64 v6, null, v155, v159, vcc_lo
	global_load_b32 v12, v[12:13], off
	v_mov_b32_e32 v165, v170
	global_load_b32 v33, v[5:6], off
	s_wait_loadcnt 0x1
	v_sub_f32_e32 v3, v12, v3
	s_wait_loadcnt 0x0
	s_delay_alu instid0(VALU_DEP_1) | instskip(SKIP_1) | instid1(VALU_DEP_1)
	v_mul_f32_e32 v3, v33, v3
	s_wait_dscnt 0x0
	v_mul_f32_e32 v205, v3, v4
.LBB51_146:                             ;   in Loop: Header=BB51_147 Depth=1
	s_delay_alu instid0(VALU_DEP_1)
	v_add_f32_e32 v170, v165, v205
	scratch_load_b32 v205, off, off offset:228 th:TH_LOAD_LU ; 4-byte Folded Reload
	v_add_f32_e32 v223, v2, v33
	scratch_load_b32 v2, off, off           ; 4-byte Folded Reload
	v_add_co_u32 v166, vcc_lo, v166, s18
	s_wait_alu 0xfffd
	v_add_co_ci_u32_e64 v167, null, s19, v167, vcc_lo
	v_add_co_u32 v168, vcc_lo, v168, s18
	s_wait_alu 0xfffd
	v_add_co_ci_u32_e64 v169, null, s19, v169, vcc_lo
	;; [unrolled: 3-line block ×64, first 2 shown]
	s_add_nc_u64 s[22:23], s[22:23], s[8:9]
	s_add_nc_u64 s[20:21], s[20:21], s[8:9]
	s_wait_alu 0xfffe
	v_cmp_ge_i64_e64 s2, s[22:23], s[4:5]
	s_wait_loadcnt 0x1
	v_add_co_u32 v205, vcc_lo, v205, s8
	s_wait_alu 0xfffd
	v_add_co_ci_u32_e64 v204, null, 0, v204, vcc_lo
	s_wait_loadcnt 0x0
	v_add_co_u32 v2, vcc_lo, v2, s18
	scratch_store_b32 off, v2, off          ; 4-byte Folded Spill
	scratch_load_b32 v2, off, off offset:4  ; 4-byte Folded Reload
	s_wait_loadcnt 0x0
	s_wait_alu 0xfffd
	v_add_co_ci_u32_e64 v2, null, s19, v2, vcc_lo
	scratch_store_b32 off, v2, off offset:4 ; 4-byte Folded Spill
	scratch_load_b32 v2, off, off offset:8  ; 4-byte Folded Reload
	s_wait_loadcnt 0x0
	v_add_co_u32 v2, vcc_lo, v2, s18
	scratch_store_b32 off, v2, off offset:8 ; 4-byte Folded Spill
	scratch_load_b32 v2, off, off offset:12 ; 4-byte Folded Reload
	s_wait_loadcnt 0x0
	s_wait_alu 0xfffd
	v_add_co_ci_u32_e64 v2, null, s19, v2, vcc_lo
	scratch_store_b32 off, v2, off offset:12 ; 4-byte Folded Spill
	scratch_load_b32 v2, off, off offset:16 ; 4-byte Folded Reload
	s_wait_loadcnt 0x0
	v_add_co_u32 v2, vcc_lo, v2, s18
	scratch_store_b32 off, v2, off offset:16 ; 4-byte Folded Spill
	scratch_load_b32 v2, off, off offset:20 ; 4-byte Folded Reload
	s_wait_loadcnt 0x0
	s_wait_alu 0xfffd
	v_add_co_ci_u32_e64 v2, null, s19, v2, vcc_lo
	scratch_store_b32 off, v2, off offset:20 ; 4-byte Folded Spill
	scratch_load_b32 v2, off, off offset:24 ; 4-byte Folded Reload
	;; [unrolled: 9-line block ×27, first 2 shown]
	s_wait_loadcnt 0x0
	v_add_co_u32 v2, vcc_lo, v2, s18
	s_wait_alu 0xfffd
	v_add_co_ci_u32_e64 v227, null, s19, v227, vcc_lo
	v_add_co_u32 v228, vcc_lo, v228, s18
	s_wait_alu 0xfffd
	v_add_co_ci_u32_e64 v229, null, s19, v229, vcc_lo
	;; [unrolled: 3-line block ×34, first 2 shown]
	s_and_b32 vcc_lo, exec_lo, s2
	scratch_store_b32 off, v2, off offset:224 ; 4-byte Folded Spill
	s_wait_alu 0xfffe
	s_cbranch_vccnz .LBB51_218
.LBB51_147:                             ; =>This Inner Loop Header: Depth=1
	s_add_nc_u64 s[24:25], s[16:17], s[20:21]
	v_add_co_u32 v160, vcc_lo, s16, v205
	s_wait_alu 0xfffe
	v_cmp_ge_i64_e64 s2, s[24:25], s[4:5]
	s_wait_alu 0xfffd
	v_add_co_ci_u32_e64 v161, null, 0, v204, vcc_lo
	scratch_store_b32 off, v205, off offset:228 ; 4-byte Folded Spill
                                        ; implicit-def: $vgpr205
                                        ; implicit-def: $vgpr2
                                        ; implicit-def: $vgpr165
                                        ; implicit-def: $vgpr33
	s_and_b32 vcc_lo, exec_lo, s2
	s_mov_b32 s2, -1
	s_wait_alu 0xfffe
	s_cbranch_vccz .LBB51_215
; %bb.148:                              ;   in Loop: Header=BB51_147 Depth=1
	scratch_load_b32 v2, off, off offset:304 ; 4-byte Folded Reload
	s_load_b32 s2, s[10:11], 0xc
	v_mov_b32_e32 v226, 0
	v_dual_mov_b32 v206, 0 :: v_dual_mov_b32 v205, 0
	s_wait_kmcnt 0x0
	s_and_b32 s2, s2, 0xffff
	s_wait_loadcnt 0x0
	s_wait_alu 0xfffe
	v_mad_u32_u24 v2, v224, s2, v2
	s_mov_b32 s2, exec_lo
	s_delay_alu instid0(VALU_DEP_1) | instskip(NEXT) | instid1(VALU_DEP_1)
	v_and_b32_e32 v2, 31, v2
	v_add_co_u32 v2, vcc_lo, v160, v2
	s_wait_alu 0xfffd
	v_add_co_ci_u32_e64 v3, null, 0, v161, vcc_lo
	s_delay_alu instid0(VALU_DEP_1)
	v_cmpx_gt_i64_e64 s[4:5], v[2:3]
	s_cbranch_execz .LBB51_150
; %bb.149:                              ;   in Loop: Header=BB51_147 Depth=1
	v_lshlrev_b64_e32 v[2:3], 2, v[2:3]
	s_delay_alu instid0(VALU_DEP_1) | instskip(SKIP_1) | instid1(VALU_DEP_2)
	v_add_co_u32 v4, vcc_lo, s12, v2
	s_wait_alu 0xfffd
	v_add_co_ci_u32_e64 v5, null, s13, v3, vcc_lo
	v_add_co_u32 v2, vcc_lo, s14, v2
	s_wait_alu 0xfffd
	v_add_co_ci_u32_e64 v3, null, s15, v3, vcc_lo
	global_load_b32 v206, v[4:5], off
	global_load_b32 v205, v[2:3], off
.LBB51_150:                             ;   in Loop: Header=BB51_147 Depth=1
	s_wait_alu 0xfffe
	s_or_b32 exec_lo, exec_lo, s2
	v_mov_b32_e32 v32, v1
	v_dual_mov_b32 v2, v1 :: v_dual_mov_b32 v3, v1
	v_dual_mov_b32 v4, v1 :: v_dual_mov_b32 v5, v1
	;; [unrolled: 1-line block ×15, first 2 shown]
	v_mov_b32_e32 v33, v32
	s_delay_alu instid0(VALU_DEP_2) | instskip(NEXT) | instid1(VALU_DEP_3)
	v_mov_b32_e32 v32, v31
	v_mov_b32_e32 v31, v30
	;; [unrolled: 1-line block ×31, first 2 shown]
	s_mov_b32 s2, exec_lo
	v_cmpx_gt_i64_e64 s[4:5], v[160:161]
	s_cbranch_execz .LBB51_152
; %bb.151:                              ;   in Loop: Header=BB51_147 Depth=1
	v_add_co_u32 v2, vcc_lo, v168, v158
	s_wait_alu 0xfffd
	v_add_co_ci_u32_e64 v3, null, v169, v159, vcc_lo
	v_add_co_u32 v4, vcc_lo, v166, v158
	s_wait_alu 0xfffd
	v_add_co_ci_u32_e64 v5, null, v167, v159, vcc_lo
	global_load_b32 v226, v[2:3], off
	global_load_b32 v2, v[4:5], off
	v_dual_mov_b32 v3, v1 :: v_dual_mov_b32 v4, v1
	v_dual_mov_b32 v5, v1 :: v_dual_mov_b32 v6, v1
	v_dual_mov_b32 v7, v1 :: v_dual_mov_b32 v8, v1
	v_dual_mov_b32 v9, v1 :: v_dual_mov_b32 v10, v1
	v_dual_mov_b32 v11, v1 :: v_dual_mov_b32 v12, v1
	v_dual_mov_b32 v13, v1 :: v_dual_mov_b32 v14, v1
	v_dual_mov_b32 v15, v1 :: v_dual_mov_b32 v16, v1
	v_dual_mov_b32 v17, v1 :: v_dual_mov_b32 v18, v1
	v_dual_mov_b32 v19, v1 :: v_dual_mov_b32 v20, v1
	v_dual_mov_b32 v21, v1 :: v_dual_mov_b32 v22, v1
	v_dual_mov_b32 v23, v1 :: v_dual_mov_b32 v24, v1
	v_dual_mov_b32 v25, v1 :: v_dual_mov_b32 v26, v1
	v_dual_mov_b32 v27, v1 :: v_dual_mov_b32 v28, v1
	v_dual_mov_b32 v29, v1 :: v_dual_mov_b32 v30, v1
	v_dual_mov_b32 v31, v1 :: v_dual_mov_b32 v32, v1
	v_mov_b32_e32 v33, v1
.LBB51_152:                             ;   in Loop: Header=BB51_147 Depth=1
	s_wait_alu 0xfffe
	s_or_b32 exec_lo, exec_lo, s2
	v_add_co_u32 v207, vcc_lo, v160, 1
	s_wait_alu 0xfffd
	v_add_co_ci_u32_e64 v208, null, 0, v161, vcc_lo
	s_delay_alu instid0(VALU_DEP_1)
	v_cmp_gt_i64_e32 vcc_lo, s[4:5], v[207:208]
	v_mov_b32_e32 v207, 0
	scratch_store_b32 off, v207, off offset:232 ; 4-byte Folded Spill
	v_mov_b32_e32 v207, 0
	scratch_store_b32 off, v207, off offset:236 ; 4-byte Folded Spill
	s_and_saveexec_b32 s2, vcc_lo
	s_cbranch_execz .LBB51_154
; %bb.153:                              ;   in Loop: Header=BB51_147 Depth=1
	v_add_co_u32 v207, vcc_lo, v202, v158
	s_wait_alu 0xfffd
	v_add_co_ci_u32_e64 v208, null, v203, v159, vcc_lo
	v_add_co_u32 v209, vcc_lo, v200, v158
	s_wait_alu 0xfffd
	v_add_co_ci_u32_e64 v210, null, v201, v159, vcc_lo
	global_load_b32 v3, v[207:208], off
	s_wait_loadcnt 0x0
	scratch_store_b32 off, v3, off offset:236 ; 4-byte Folded Spill
	global_load_b32 v3, v[209:210], off
.LBB51_154:                             ;   in Loop: Header=BB51_147 Depth=1
	s_wait_alu 0xfffe
	s_or_b32 exec_lo, exec_lo, s2
	v_add_co_u32 v207, vcc_lo, v160, 2
	s_wait_alu 0xfffd
	v_add_co_ci_u32_e64 v208, null, 0, v161, vcc_lo
	s_mov_b32 s2, exec_lo
	v_cmpx_gt_i64_e64 s[4:5], v[207:208]
	s_cbranch_execz .LBB51_156
; %bb.155:                              ;   in Loop: Header=BB51_147 Depth=1
	v_add_co_u32 v207, vcc_lo, v198, v158
	s_wait_alu 0xfffd
	v_add_co_ci_u32_e64 v208, null, v199, v159, vcc_lo
	v_add_co_u32 v209, vcc_lo, v196, v158
	s_wait_alu 0xfffd
	v_add_co_ci_u32_e64 v210, null, v197, v159, vcc_lo
	global_load_b32 v4, v[207:208], off
	s_wait_loadcnt 0x0
	scratch_store_b32 off, v4, off offset:232 ; 4-byte Folded Spill
	global_load_b32 v4, v[209:210], off
.LBB51_156:                             ;   in Loop: Header=BB51_147 Depth=1
	s_wait_alu 0xfffe
	s_or_b32 exec_lo, exec_lo, s2
	v_add_co_u32 v207, vcc_lo, v160, 3
	s_wait_alu 0xfffd
	v_add_co_ci_u32_e64 v208, null, 0, v161, vcc_lo
	s_delay_alu instid0(VALU_DEP_1)
	v_cmp_gt_i64_e32 vcc_lo, s[4:5], v[207:208]
	v_mov_b32_e32 v207, 0
	scratch_store_b32 off, v207, off offset:240 ; 4-byte Folded Spill
	v_mov_b32_e32 v207, 0
	scratch_store_b32 off, v207, off offset:244 ; 4-byte Folded Spill
	s_and_saveexec_b32 s2, vcc_lo
	s_cbranch_execz .LBB51_158
; %bb.157:                              ;   in Loop: Header=BB51_147 Depth=1
	v_add_co_u32 v207, vcc_lo, v194, v158
	s_wait_alu 0xfffd
	v_add_co_ci_u32_e64 v208, null, v195, v159, vcc_lo
	v_add_co_u32 v209, vcc_lo, v192, v158
	s_wait_alu 0xfffd
	v_add_co_ci_u32_e64 v210, null, v193, v159, vcc_lo
	global_load_b32 v5, v[207:208], off
	s_wait_loadcnt 0x0
	scratch_store_b32 off, v5, off offset:244 ; 4-byte Folded Spill
	global_load_b32 v5, v[209:210], off
.LBB51_158:                             ;   in Loop: Header=BB51_147 Depth=1
	s_wait_alu 0xfffe
	s_or_b32 exec_lo, exec_lo, s2
	v_add_co_u32 v207, vcc_lo, v160, 4
	s_wait_alu 0xfffd
	v_add_co_ci_u32_e64 v208, null, 0, v161, vcc_lo
	s_mov_b32 s2, exec_lo
	v_cmpx_gt_i64_e64 s[4:5], v[207:208]
	s_cbranch_execz .LBB51_160
; %bb.159:                              ;   in Loop: Header=BB51_147 Depth=1
	v_add_co_u32 v207, vcc_lo, v190, v158
	s_wait_alu 0xfffd
	v_add_co_ci_u32_e64 v208, null, v191, v159, vcc_lo
	v_add_co_u32 v209, vcc_lo, v188, v158
	s_wait_alu 0xfffd
	v_add_co_ci_u32_e64 v210, null, v189, v159, vcc_lo
	global_load_b32 v6, v[207:208], off
	s_wait_loadcnt 0x0
	scratch_store_b32 off, v6, off offset:240 ; 4-byte Folded Spill
	global_load_b32 v6, v[209:210], off
.LBB51_160:                             ;   in Loop: Header=BB51_147 Depth=1
	;; [unrolled: 45-line block ×8, first 2 shown]
	s_wait_alu 0xfffe
	s_or_b32 exec_lo, exec_lo, s2
	v_add_co_u32 v207, vcc_lo, v160, 17
	s_wait_alu 0xfffd
	v_add_co_ci_u32_e64 v208, null, 0, v161, vcc_lo
	s_delay_alu instid0(VALU_DEP_1)
	v_cmp_gt_i64_e32 vcc_lo, s[4:5], v[207:208]
	v_mov_b32_e32 v207, 0
	scratch_store_b32 off, v207, off offset:296 ; 4-byte Folded Spill
	v_mov_b32_e32 v207, 0
	scratch_store_b32 off, v207, off offset:300 ; 4-byte Folded Spill
	s_and_saveexec_b32 s2, vcc_lo
	s_cbranch_execz .LBB51_186
; %bb.185:                              ;   in Loop: Header=BB51_147 Depth=1
	scratch_load_b32 v19, off, off offset:224 ; 4-byte Folded Reload
	v_add_co_u32 v207, vcc_lo, v228, v158
	s_wait_alu 0xfffd
	v_add_co_ci_u32_e64 v208, null, v229, v159, vcc_lo
	s_wait_loadcnt 0x0
	v_add_co_u32 v209, vcc_lo, v19, v158
	global_load_b32 v19, v[207:208], off
	s_wait_alu 0xfffd
	v_add_co_ci_u32_e64 v210, null, v227, v159, vcc_lo
	s_wait_loadcnt 0x0
	scratch_store_b32 off, v19, off offset:300 ; 4-byte Folded Spill
	global_load_b32 v19, v[209:210], off
.LBB51_186:                             ;   in Loop: Header=BB51_147 Depth=1
	s_wait_alu 0xfffe
	s_or_b32 exec_lo, exec_lo, s2
	v_add_co_u32 v207, vcc_lo, v160, 18
	s_wait_alu 0xfffd
	v_add_co_ci_u32_e64 v208, null, 0, v161, vcc_lo
	s_mov_b32 s2, exec_lo
	v_cmpx_gt_i64_e64 s[4:5], v[207:208]
	s_cbranch_execz .LBB51_188
; %bb.187:                              ;   in Loop: Header=BB51_147 Depth=1
	scratch_load_b32 v20, off, off offset:216 ; 4-byte Folded Reload
	s_wait_loadcnt 0x0
	v_add_co_u32 v207, vcc_lo, v20, v158
	scratch_load_b32 v20, off, off offset:220 ; 4-byte Folded Reload
	s_wait_loadcnt 0x0
	s_wait_alu 0xfffd
	v_add_co_ci_u32_e64 v208, null, v20, v159, vcc_lo
	scratch_load_b32 v20, off, off offset:208 ; 4-byte Folded Reload
	s_wait_loadcnt 0x0
	v_add_co_u32 v209, vcc_lo, v20, v158
	scratch_load_b32 v20, off, off offset:212 ; 4-byte Folded Reload
	s_wait_loadcnt 0x0
	s_wait_alu 0xfffd
	v_add_co_ci_u32_e64 v210, null, v20, v159, vcc_lo
	global_load_b32 v20, v[207:208], off
	s_wait_loadcnt 0x0
	scratch_store_b32 off, v20, off offset:296 ; 4-byte Folded Spill
	global_load_b32 v20, v[209:210], off
.LBB51_188:                             ;   in Loop: Header=BB51_147 Depth=1
	s_wait_alu 0xfffe
	s_or_b32 exec_lo, exec_lo, s2
	v_add_co_u32 v207, vcc_lo, v160, 19
	s_wait_alu 0xfffd
	v_add_co_ci_u32_e64 v208, null, 0, v161, vcc_lo
	s_delay_alu instid0(VALU_DEP_1)
	v_cmp_gt_i64_e32 vcc_lo, s[4:5], v[207:208]
	v_dual_mov_b32 v207, 0 :: v_dual_mov_b32 v208, 0
	s_and_saveexec_b32 s2, vcc_lo
	s_cbranch_execz .LBB51_190
; %bb.189:                              ;   in Loop: Header=BB51_147 Depth=1
	scratch_load_b32 v21, off, off offset:200 ; 4-byte Folded Reload
	s_wait_loadcnt 0x0
	v_add_co_u32 v208, vcc_lo, v21, v158
	scratch_load_b32 v21, off, off offset:204 ; 4-byte Folded Reload
	s_wait_loadcnt 0x0
	s_wait_alu 0xfffd
	v_add_co_ci_u32_e64 v209, null, v21, v159, vcc_lo
	scratch_load_b32 v21, off, off offset:192 ; 4-byte Folded Reload
	s_wait_loadcnt 0x0
	v_add_co_u32 v210, vcc_lo, v21, v158
	scratch_load_b32 v21, off, off offset:196 ; 4-byte Folded Reload
	s_wait_loadcnt 0x0
	s_wait_alu 0xfffd
	v_add_co_ci_u32_e64 v211, null, v21, v159, vcc_lo
	global_load_b32 v208, v[208:209], off
	global_load_b32 v21, v[210:211], off
.LBB51_190:                             ;   in Loop: Header=BB51_147 Depth=1
	s_wait_alu 0xfffe
	s_or_b32 exec_lo, exec_lo, s2
	v_add_co_u32 v209, vcc_lo, v160, 20
	s_wait_alu 0xfffd
	v_add_co_ci_u32_e64 v210, null, 0, v161, vcc_lo
	s_mov_b32 s2, exec_lo
	v_cmpx_gt_i64_e64 s[4:5], v[209:210]
	s_cbranch_execz .LBB51_192
; %bb.191:                              ;   in Loop: Header=BB51_147 Depth=1
	scratch_load_b32 v22, off, off offset:184 ; 4-byte Folded Reload
	s_wait_loadcnt 0x0
	v_add_co_u32 v209, vcc_lo, v22, v158
	scratch_load_b32 v22, off, off offset:188 ; 4-byte Folded Reload
	s_wait_loadcnt 0x0
	s_wait_alu 0xfffd
	v_add_co_ci_u32_e64 v210, null, v22, v159, vcc_lo
	scratch_load_b32 v22, off, off offset:176 ; 4-byte Folded Reload
	s_wait_loadcnt 0x0
	v_add_co_u32 v211, vcc_lo, v22, v158
	scratch_load_b32 v22, off, off offset:180 ; 4-byte Folded Reload
	s_wait_loadcnt 0x0
	s_wait_alu 0xfffd
	v_add_co_ci_u32_e64 v212, null, v22, v159, vcc_lo
	global_load_b32 v207, v[209:210], off
	global_load_b32 v22, v[211:212], off
.LBB51_192:                             ;   in Loop: Header=BB51_147 Depth=1
	s_wait_alu 0xfffe
	s_or_b32 exec_lo, exec_lo, s2
	v_add_co_u32 v209, vcc_lo, v160, 21
	s_wait_alu 0xfffd
	v_add_co_ci_u32_e64 v210, null, 0, v161, vcc_lo
	s_delay_alu instid0(VALU_DEP_1)
	v_cmp_gt_i64_e32 vcc_lo, s[4:5], v[209:210]
	v_dual_mov_b32 v209, 0 :: v_dual_mov_b32 v210, 0
	s_and_saveexec_b32 s2, vcc_lo
	s_cbranch_execz .LBB51_194
; %bb.193:                              ;   in Loop: Header=BB51_147 Depth=1
	scratch_load_b32 v23, off, off offset:168 ; 4-byte Folded Reload
	s_wait_loadcnt 0x0
	v_add_co_u32 v210, vcc_lo, v23, v158
	scratch_load_b32 v23, off, off offset:172 ; 4-byte Folded Reload
	s_wait_loadcnt 0x0
	s_wait_alu 0xfffd
	v_add_co_ci_u32_e64 v211, null, v23, v159, vcc_lo
	scratch_load_b32 v23, off, off offset:160 ; 4-byte Folded Reload
	s_wait_loadcnt 0x0
	v_add_co_u32 v212, vcc_lo, v23, v158
	scratch_load_b32 v23, off, off offset:164 ; 4-byte Folded Reload
	s_wait_loadcnt 0x0
	s_wait_alu 0xfffd
	v_add_co_ci_u32_e64 v213, null, v23, v159, vcc_lo
	global_load_b32 v210, v[210:211], off
	global_load_b32 v23, v[212:213], off
.LBB51_194:                             ;   in Loop: Header=BB51_147 Depth=1
	s_wait_alu 0xfffe
	s_or_b32 exec_lo, exec_lo, s2
	v_add_co_u32 v211, vcc_lo, v160, 22
	s_wait_alu 0xfffd
	v_add_co_ci_u32_e64 v212, null, 0, v161, vcc_lo
	s_mov_b32 s2, exec_lo
	v_cmpx_gt_i64_e64 s[4:5], v[211:212]
	s_cbranch_execz .LBB51_196
; %bb.195:                              ;   in Loop: Header=BB51_147 Depth=1
	scratch_load_b32 v24, off, off offset:152 ; 4-byte Folded Reload
	s_wait_loadcnt 0x0
	v_add_co_u32 v211, vcc_lo, v24, v158
	scratch_load_b32 v24, off, off offset:156 ; 4-byte Folded Reload
	s_wait_loadcnt 0x0
	s_wait_alu 0xfffd
	v_add_co_ci_u32_e64 v212, null, v24, v159, vcc_lo
	scratch_load_b32 v24, off, off offset:144 ; 4-byte Folded Reload
	s_wait_loadcnt 0x0
	v_add_co_u32 v213, vcc_lo, v24, v158
	scratch_load_b32 v24, off, off offset:148 ; 4-byte Folded Reload
	s_wait_loadcnt 0x0
	s_wait_alu 0xfffd
	v_add_co_ci_u32_e64 v214, null, v24, v159, vcc_lo
	global_load_b32 v209, v[211:212], off
	global_load_b32 v24, v[213:214], off
.LBB51_196:                             ;   in Loop: Header=BB51_147 Depth=1
	;; [unrolled: 54-line block ×5, first 2 shown]
	s_wait_alu 0xfffe
	s_or_b32 exec_lo, exec_lo, s2
	v_add_co_u32 v217, vcc_lo, v160, 29
	s_wait_alu 0xfffd
	v_add_co_ci_u32_e64 v218, null, 0, v161, vcc_lo
	s_delay_alu instid0(VALU_DEP_1)
	v_cmp_gt_i64_e32 vcc_lo, s[4:5], v[217:218]
	v_dual_mov_b32 v217, 0 :: v_dual_mov_b32 v218, 0
	s_and_saveexec_b32 s2, vcc_lo
	s_cbranch_execz .LBB51_210
; %bb.209:                              ;   in Loop: Header=BB51_147 Depth=1
	scratch_load_b32 v31, off, off offset:40 ; 4-byte Folded Reload
	s_wait_loadcnt 0x0
	v_add_co_u32 v218, vcc_lo, v31, v158
	scratch_load_b32 v31, off, off offset:44 ; 4-byte Folded Reload
	s_wait_loadcnt 0x0
	s_wait_alu 0xfffd
	v_add_co_ci_u32_e64 v219, null, v31, v159, vcc_lo
	scratch_load_b32 v31, off, off offset:32 ; 4-byte Folded Reload
	s_wait_loadcnt 0x0
	v_add_co_u32 v221, vcc_lo, v31, v158
	scratch_load_b32 v31, off, off offset:36 ; 4-byte Folded Reload
	s_wait_loadcnt 0x0
	s_wait_alu 0xfffd
	v_add_co_ci_u32_e64 v222, null, v31, v159, vcc_lo
	global_load_b32 v218, v[218:219], off
	global_load_b32 v31, v[221:222], off
.LBB51_210:                             ;   in Loop: Header=BB51_147 Depth=1
	s_wait_alu 0xfffe
	s_or_b32 exec_lo, exec_lo, s2
	v_add_co_u32 v221, vcc_lo, v160, 30
	v_mov_b32_e32 v225, v223
	s_wait_alu 0xfffd
	v_add_co_ci_u32_e64 v222, null, 0, v161, vcc_lo
	s_mov_b32 s2, exec_lo
	v_cmpx_gt_i64_e64 s[4:5], v[221:222]
	s_cbranch_execz .LBB51_212
; %bb.211:                              ;   in Loop: Header=BB51_147 Depth=1
	scratch_load_b32 v32, off, off offset:24 ; 4-byte Folded Reload
	s_wait_loadcnt 0x0
	v_add_co_u32 v221, vcc_lo, v32, v158
	scratch_load_b32 v32, off, off offset:28 ; 4-byte Folded Reload
	s_wait_loadcnt 0x0
	s_wait_alu 0xfffd
	v_add_co_ci_u32_e64 v222, null, v32, v159, vcc_lo
	scratch_load_b32 v32, off, off offset:16 ; 4-byte Folded Reload
	s_wait_loadcnt 0x0
	v_add_co_u32 v223, vcc_lo, v32, v158
	scratch_load_b32 v32, off, off offset:20 ; 4-byte Folded Reload
	s_wait_loadcnt 0x0
	s_wait_alu 0xfffd
	v_add_co_ci_u32_e64 v224, null, v32, v159, vcc_lo
	global_load_b32 v217, v[221:222], off
	global_load_b32 v32, v[223:224], off
	scratch_load_b32 v224, off, off offset:308 ; 4-byte Folded Reload
.LBB51_212:                             ;   in Loop: Header=BB51_147 Depth=1
	s_wait_alu 0xfffe
	s_or_b32 exec_lo, exec_lo, s2
	v_add_co_u32 v221, vcc_lo, v160, 31
	s_wait_alu 0xfffd
	v_add_co_ci_u32_e64 v222, null, 0, v161, vcc_lo
	v_mov_b32_e32 v219, 0
	s_mov_b32 s2, exec_lo
	s_delay_alu instid0(VALU_DEP_2)
	v_cmpx_gt_i64_e64 s[4:5], v[221:222]
	s_cbranch_execz .LBB51_214
; %bb.213:                              ;   in Loop: Header=BB51_147 Depth=1
	scratch_load_b32 v33, off, off offset:8 ; 4-byte Folded Reload
	s_wait_loadcnt 0x0
	v_add_co_u32 v221, vcc_lo, v33, v158
	scratch_load_b32 v33, off, off offset:12 ; 4-byte Folded Reload
	s_wait_loadcnt 0x0
	s_wait_alu 0xfffd
	v_add_co_ci_u32_e64 v222, null, v33, v159, vcc_lo
	scratch_load_b32 v33, off, off          ; 4-byte Folded Reload
	s_wait_loadcnt 0x0
	v_add_co_u32 v223, vcc_lo, v33, v158
	scratch_load_b32 v33, off, off offset:4 ; 4-byte Folded Reload
	s_wait_loadcnt 0x0
	s_wait_alu 0xfffd
	v_add_co_ci_u32_e64 v224, null, v33, v159, vcc_lo
	global_load_b32 v219, v[221:222], off
	global_load_b32 v33, v[223:224], off
	scratch_load_b32 v224, off, off offset:308 ; 4-byte Folded Reload
.LBB51_214:                             ;   in Loop: Header=BB51_147 Depth=1
	s_wait_alu 0xfffe
	s_or_b32 exec_lo, exec_lo, s2
	scratch_load_b32 v222, off, off offset:236 th:TH_LOAD_LU ; 4-byte Folded Reload
	s_wait_loadcnt 0x2
	ds_bpermute_b32 v221, v1, v206 offset:4
	ds_bpermute_b32 v165, v1, v206
	v_mov_b32_e32 v223, v225
	s_mov_b32 s2, 0
	s_wait_dscnt 0x0
	v_sub_f32_e32 v165, v226, v165
	s_wait_loadcnt 0x1
	s_delay_alu instid0(VALU_DEP_1) | instskip(NEXT) | instid1(VALU_DEP_1)
	v_dual_mul_f32 v165, v2, v165 :: v_dual_add_f32 v2, v223, v2
	v_add_f32_e32 v2, v3, v2
	s_delay_alu instid0(VALU_DEP_1) | instskip(NEXT) | instid1(VALU_DEP_1)
	v_add_f32_e32 v2, v4, v2
	v_add_f32_e32 v2, v5, v2
	s_delay_alu instid0(VALU_DEP_1) | instskip(NEXT) | instid1(VALU_DEP_1)
	v_add_f32_e32 v2, v6, v2
	;; [unrolled: 3-line block ×14, first 2 shown]
	v_add_f32_e32 v2, v31, v2
	s_wait_loadcnt 0x0
	s_delay_alu instid0(VALU_DEP_1)
	v_dual_add_f32 v2, v32, v2 :: v_dual_sub_f32 v221, v222, v221
	ds_bpermute_b32 v222, v1, v205
	v_mul_f32_e32 v221, v3, v221
	s_wait_dscnt 0x0
	v_fma_f32 v165, v165, v222, v170
	ds_bpermute_b32 v222, v1, v205 offset:4
	s_wait_dscnt 0x0
	v_fmac_f32_e32 v165, v221, v222
	scratch_load_b32 v222, off, off offset:232 th:TH_LOAD_LU ; 4-byte Folded Reload
	ds_bpermute_b32 v221, v1, v206 offset:8
	s_wait_loadcnt_dscnt 0x0
	v_sub_f32_e32 v221, v222, v221
	ds_bpermute_b32 v222, v1, v205 offset:8
	v_mul_f32_e32 v221, v4, v221
	s_wait_dscnt 0x0
	s_delay_alu instid0(VALU_DEP_1)
	v_fmac_f32_e32 v165, v221, v222
	scratch_load_b32 v222, off, off offset:244 th:TH_LOAD_LU ; 4-byte Folded Reload
	ds_bpermute_b32 v221, v1, v206 offset:12
	s_wait_loadcnt_dscnt 0x0
	v_sub_f32_e32 v221, v222, v221
	ds_bpermute_b32 v222, v1, v205 offset:12
	v_mul_f32_e32 v221, v5, v221
	s_wait_dscnt 0x0
	s_delay_alu instid0(VALU_DEP_1)
	;; [unrolled: 9-line block ×17, first 2 shown]
	v_fmac_f32_e32 v165, v221, v222
	ds_bpermute_b32 v221, v1, v206 offset:76
	s_wait_dscnt 0x0
	v_sub_f32_e32 v208, v208, v221
	ds_bpermute_b32 v221, v1, v205 offset:76
	v_mul_f32_e32 v208, v21, v208
	s_wait_dscnt 0x0
	s_delay_alu instid0(VALU_DEP_1)
	v_fmac_f32_e32 v165, v208, v221
	ds_bpermute_b32 v208, v1, v206 offset:80
	s_wait_dscnt 0x0
	v_sub_f32_e32 v207, v207, v208
	ds_bpermute_b32 v208, v1, v205 offset:80
	v_mul_f32_e32 v207, v22, v207
	s_wait_dscnt 0x0
	s_delay_alu instid0(VALU_DEP_1) | instskip(SKIP_4) | instid1(VALU_DEP_1)
	v_fmac_f32_e32 v165, v207, v208
	ds_bpermute_b32 v207, v1, v206 offset:84
	ds_bpermute_b32 v208, v1, v205 offset:84
	s_wait_dscnt 0x1
	v_sub_f32_e32 v207, v210, v207
	v_mul_f32_e32 v207, v23, v207
	s_wait_dscnt 0x0
	s_delay_alu instid0(VALU_DEP_1) | instskip(SKIP_4) | instid1(VALU_DEP_1)
	v_fmac_f32_e32 v165, v207, v208
	ds_bpermute_b32 v207, v1, v206 offset:88
	ds_bpermute_b32 v208, v1, v205 offset:88
	s_wait_dscnt 0x1
	v_sub_f32_e32 v207, v209, v207
	;; [unrolled: 8-line block ×9, first 2 shown]
	v_mul_f32_e32 v207, v31, v207
	s_wait_dscnt 0x0
	s_delay_alu instid0(VALU_DEP_1)
	v_fmac_f32_e32 v165, v207, v208
	ds_bpermute_b32 v207, v1, v206 offset:120
	ds_bpermute_b32 v206, v1, v206 offset:124
	;; [unrolled: 1-line block ×4, first 2 shown]
	s_wait_dscnt 0x2
	v_dual_sub_f32 v207, v217, v207 :: v_dual_sub_f32 v206, v219, v206
	s_delay_alu instid0(VALU_DEP_1) | instskip(SKIP_1) | instid1(VALU_DEP_1)
	v_dual_mul_f32 v207, v32, v207 :: v_dual_mul_f32 v206, v33, v206
	s_wait_dscnt 0x1
	v_fmac_f32_e32 v165, v207, v208
	s_wait_dscnt 0x0
	s_delay_alu instid0(VALU_DEP_2)
	v_mul_f32_e32 v205, v206, v205
.LBB51_215:                             ;   in Loop: Header=BB51_147 Depth=1
	s_wait_alu 0xfffe
	s_and_b32 vcc_lo, exec_lo, s2
	s_wait_alu 0xfffe
	s_cbranch_vccz .LBB51_146
; %bb.216:                              ;   in Loop: Header=BB51_147 Depth=1
	scratch_load_b32 v2, off, off offset:304 ; 4-byte Folded Reload
	s_load_b32 s2, s[10:11], 0x0
	v_dual_mov_b32 v4, 0 :: v_dual_mov_b32 v5, 0
	s_wait_kmcnt 0x0
	s_cmp_lt_u32 ttmp9, s2
	s_cselect_b32 s2, 12, 18
	s_wait_alu 0xfffe
	s_add_nc_u64 s[24:25], s[10:11], s[2:3]
	s_load_u16 s2, s[24:25], 0x0
	s_wait_loadcnt 0x0
	s_wait_kmcnt 0x0
	v_mad_u32_u24 v2, v224, s2, v2
	s_mov_b32 s2, exec_lo
	s_delay_alu instid0(VALU_DEP_1) | instskip(NEXT) | instid1(VALU_DEP_1)
	v_and_b32_e32 v2, 31, v2
	v_add_co_u32 v2, vcc_lo, v160, v2
	s_wait_alu 0xfffd
	v_add_co_ci_u32_e64 v3, null, 0, v161, vcc_lo
	s_delay_alu instid0(VALU_DEP_1)
	v_cmpx_gt_i64_e64 s[4:5], v[2:3]
	s_cbranch_execz .LBB51_145
; %bb.217:                              ;   in Loop: Header=BB51_147 Depth=1
	v_lshlrev_b64_e32 v[2:3], 2, v[2:3]
	s_delay_alu instid0(VALU_DEP_1) | instskip(SKIP_1) | instid1(VALU_DEP_2)
	v_add_co_u32 v4, vcc_lo, s12, v2
	s_wait_alu 0xfffd
	v_add_co_ci_u32_e64 v5, null, s13, v3, vcc_lo
	v_add_co_u32 v2, vcc_lo, s14, v2
	s_wait_alu 0xfffd
	v_add_co_ci_u32_e64 v3, null, s15, v3, vcc_lo
	global_load_b32 v5, v[4:5], off
	global_load_b32 v4, v[2:3], off
	s_branch .LBB51_145
.LBB51_218:
	scratch_load_b32 v227, off, off offset:312 ; 4-byte Folded Reload
.LBB51_219:
	s_mov_b32 s2, ttmp9
	s_mov_b32 s3, 0
	s_wait_alu 0xfffe
	s_lshl_b64 s[2:3], s[2:3], 6
	s_wait_loadcnt 0x0
	s_wait_alu 0xfffe
	v_and_or_b32 v4, 0x3ff, v227, s2
	v_mov_b32_e32 v5, s3
	s_mov_b32 s2, exec_lo
	s_delay_alu instid0(VALU_DEP_1)
	v_cmpx_gt_i64_e64 s[6:7], v[4:5]
	s_cbranch_execz .LBB51_224
; %bb.220:
	s_clause 0x1
	s_load_u16 s4, s[0:1], 0x4e
	s_load_b128 s[0:3], s[0:1], 0x30
	v_bfe_u32 v0, v227, 10, 10
	v_mov_b32_e32 v1, 0
	s_wait_kmcnt 0x0
	s_delay_alu instid0(VALU_DEP_1) | instskip(SKIP_2) | instid1(VALU_DEP_2)
	v_mad_co_u64_u32 v[2:3], null, s4, ttmp7, v[0:1]
	v_lshlrev_b64_e32 v[0:1], 2, v[4:5]
	s_cmp_eq_u64 s[0:1], 0
	v_mul_lo_u32 v3, v3, s6
	s_delay_alu instid0(VALU_DEP_3)
	v_mul_lo_u32 v6, v2, s7
	s_cbranch_scc1 .LBB51_222
; %bb.221:
	v_mad_co_u64_u32 v[4:5], null, v2, s6, 0
	s_delay_alu instid0(VALU_DEP_1) | instskip(NEXT) | instid1(VALU_DEP_1)
	v_add3_u32 v5, v5, v6, v3
	v_lshlrev_b64_e32 v[4:5], 2, v[4:5]
	s_delay_alu instid0(VALU_DEP_1) | instskip(SKIP_1) | instid1(VALU_DEP_2)
	v_add_co_u32 v4, vcc_lo, s0, v4
	s_wait_alu 0xfffd
	v_add_co_ci_u32_e64 v5, null, s1, v5, vcc_lo
	s_delay_alu instid0(VALU_DEP_2) | instskip(SKIP_1) | instid1(VALU_DEP_2)
	v_add_co_u32 v4, vcc_lo, v4, v0
	s_wait_alu 0xfffd
	v_add_co_ci_u32_e64 v5, null, v5, v1, vcc_lo
	global_store_b32 v[4:5], v170, off
.LBB51_222:
	s_cmp_eq_u64 s[2:3], 0
	s_cbranch_scc1 .LBB51_224
; %bb.223:
	v_mad_co_u64_u32 v[4:5], null, v2, s6, 0
	s_delay_alu instid0(VALU_DEP_1) | instskip(NEXT) | instid1(VALU_DEP_1)
	v_add3_u32 v5, v5, v6, v3
	v_lshlrev_b64_e32 v[2:3], 2, v[4:5]
	s_delay_alu instid0(VALU_DEP_1) | instskip(SKIP_1) | instid1(VALU_DEP_2)
	v_add_co_u32 v2, vcc_lo, s2, v2
	s_wait_alu 0xfffd
	v_add_co_ci_u32_e64 v3, null, s3, v3, vcc_lo
	s_delay_alu instid0(VALU_DEP_2) | instskip(SKIP_1) | instid1(VALU_DEP_2)
	v_add_co_u32 v0, vcc_lo, v2, v0
	s_wait_alu 0xfffd
	v_add_co_ci_u32_e64 v1, null, v3, v1, vcc_lo
	global_store_b32 v[0:1], v223, off
.LBB51_224:
	s_nop 0
	s_sendmsg sendmsg(MSG_DEALLOC_VGPRS)
	s_endpgm
	.section	.rodata,"a",@progbits
	.p2align	6, 0x0
	.amdhsa_kernel _ZN2at6native12_GLOBAL__N_135GammaBetaBackwardCUDAKernelTemplateIffLj64ELj1ELj32ELb1ELb0ELb0EEEvllPKT_S5_PKT0_S8_PS3_S9_
		.amdhsa_group_segment_fixed_size 0
		.amdhsa_private_segment_fixed_size 320
		.amdhsa_kernarg_size 320
		.amdhsa_user_sgpr_count 2
		.amdhsa_user_sgpr_dispatch_ptr 0
		.amdhsa_user_sgpr_queue_ptr 0
		.amdhsa_user_sgpr_kernarg_segment_ptr 1
		.amdhsa_user_sgpr_dispatch_id 0
		.amdhsa_user_sgpr_private_segment_size 0
		.amdhsa_wavefront_size32 1
		.amdhsa_uses_dynamic_stack 0
		.amdhsa_enable_private_segment 1
		.amdhsa_system_sgpr_workgroup_id_x 1
		.amdhsa_system_sgpr_workgroup_id_y 1
		.amdhsa_system_sgpr_workgroup_id_z 0
		.amdhsa_system_sgpr_workgroup_info 0
		.amdhsa_system_vgpr_workitem_id 1
		.amdhsa_next_free_vgpr 256
		.amdhsa_next_free_sgpr 36
		.amdhsa_reserve_vcc 1
		.amdhsa_float_round_mode_32 0
		.amdhsa_float_round_mode_16_64 0
		.amdhsa_float_denorm_mode_32 3
		.amdhsa_float_denorm_mode_16_64 3
		.amdhsa_fp16_overflow 0
		.amdhsa_workgroup_processor_mode 1
		.amdhsa_memory_ordered 1
		.amdhsa_forward_progress 1
		.amdhsa_inst_pref_size 255
		.amdhsa_round_robin_scheduling 0
		.amdhsa_exception_fp_ieee_invalid_op 0
		.amdhsa_exception_fp_denorm_src 0
		.amdhsa_exception_fp_ieee_div_zero 0
		.amdhsa_exception_fp_ieee_overflow 0
		.amdhsa_exception_fp_ieee_underflow 0
		.amdhsa_exception_fp_ieee_inexact 0
		.amdhsa_exception_int_div_zero 0
	.end_amdhsa_kernel
	.section	.text._ZN2at6native12_GLOBAL__N_135GammaBetaBackwardCUDAKernelTemplateIffLj64ELj1ELj32ELb1ELb0ELb0EEEvllPKT_S5_PKT0_S8_PS3_S9_,"axG",@progbits,_ZN2at6native12_GLOBAL__N_135GammaBetaBackwardCUDAKernelTemplateIffLj64ELj1ELj32ELb1ELb0ELb0EEEvllPKT_S5_PKT0_S8_PS3_S9_,comdat
.Lfunc_end51:
	.size	_ZN2at6native12_GLOBAL__N_135GammaBetaBackwardCUDAKernelTemplateIffLj64ELj1ELj32ELb1ELb0ELb0EEEvllPKT_S5_PKT0_S8_PS3_S9_, .Lfunc_end51-_ZN2at6native12_GLOBAL__N_135GammaBetaBackwardCUDAKernelTemplateIffLj64ELj1ELj32ELb1ELb0ELb0EEEvllPKT_S5_PKT0_S8_PS3_S9_
                                        ; -- End function
	.set _ZN2at6native12_GLOBAL__N_135GammaBetaBackwardCUDAKernelTemplateIffLj64ELj1ELj32ELb1ELb0ELb0EEEvllPKT_S5_PKT0_S8_PS3_S9_.num_vgpr, 256
	.set _ZN2at6native12_GLOBAL__N_135GammaBetaBackwardCUDAKernelTemplateIffLj64ELj1ELj32ELb1ELb0ELb0EEEvllPKT_S5_PKT0_S8_PS3_S9_.num_agpr, 0
	.set _ZN2at6native12_GLOBAL__N_135GammaBetaBackwardCUDAKernelTemplateIffLj64ELj1ELj32ELb1ELb0ELb0EEEvllPKT_S5_PKT0_S8_PS3_S9_.numbered_sgpr, 36
	.set _ZN2at6native12_GLOBAL__N_135GammaBetaBackwardCUDAKernelTemplateIffLj64ELj1ELj32ELb1ELb0ELb0EEEvllPKT_S5_PKT0_S8_PS3_S9_.num_named_barrier, 0
	.set _ZN2at6native12_GLOBAL__N_135GammaBetaBackwardCUDAKernelTemplateIffLj64ELj1ELj32ELb1ELb0ELb0EEEvllPKT_S5_PKT0_S8_PS3_S9_.private_seg_size, 320
	.set _ZN2at6native12_GLOBAL__N_135GammaBetaBackwardCUDAKernelTemplateIffLj64ELj1ELj32ELb1ELb0ELb0EEEvllPKT_S5_PKT0_S8_PS3_S9_.uses_vcc, 1
	.set _ZN2at6native12_GLOBAL__N_135GammaBetaBackwardCUDAKernelTemplateIffLj64ELj1ELj32ELb1ELb0ELb0EEEvllPKT_S5_PKT0_S8_PS3_S9_.uses_flat_scratch, 1
	.set _ZN2at6native12_GLOBAL__N_135GammaBetaBackwardCUDAKernelTemplateIffLj64ELj1ELj32ELb1ELb0ELb0EEEvllPKT_S5_PKT0_S8_PS3_S9_.has_dyn_sized_stack, 0
	.set _ZN2at6native12_GLOBAL__N_135GammaBetaBackwardCUDAKernelTemplateIffLj64ELj1ELj32ELb1ELb0ELb0EEEvllPKT_S5_PKT0_S8_PS3_S9_.has_recursion, 0
	.set _ZN2at6native12_GLOBAL__N_135GammaBetaBackwardCUDAKernelTemplateIffLj64ELj1ELj32ELb1ELb0ELb0EEEvllPKT_S5_PKT0_S8_PS3_S9_.has_indirect_call, 0
	.section	.AMDGPU.csdata,"",@progbits
; Kernel info:
; codeLenInByte = 37068
; TotalNumSgprs: 38
; NumVgprs: 256
; ScratchSize: 320
; MemoryBound: 0
; FloatMode: 240
; IeeeMode: 1
; LDSByteSize: 0 bytes/workgroup (compile time only)
; SGPRBlocks: 0
; VGPRBlocks: 31
; NumSGPRsForWavesPerEU: 38
; NumVGPRsForWavesPerEU: 256
; Occupancy: 5
; WaveLimiterHint : 0
; COMPUTE_PGM_RSRC2:SCRATCH_EN: 1
; COMPUTE_PGM_RSRC2:USER_SGPR: 2
; COMPUTE_PGM_RSRC2:TRAP_HANDLER: 0
; COMPUTE_PGM_RSRC2:TGID_X_EN: 1
; COMPUTE_PGM_RSRC2:TGID_Y_EN: 1
; COMPUTE_PGM_RSRC2:TGID_Z_EN: 0
; COMPUTE_PGM_RSRC2:TIDIG_COMP_CNT: 1
	.section	.text._ZN2at6native12_GLOBAL__N_135GammaBetaBackwardCUDAKernelTemplateIffLj64ELj1ELj8ELb1ELb1ELb0EEEvllPKT_S5_PKT0_S8_PS3_S9_,"axG",@progbits,_ZN2at6native12_GLOBAL__N_135GammaBetaBackwardCUDAKernelTemplateIffLj64ELj1ELj8ELb1ELb1ELb0EEEvllPKT_S5_PKT0_S8_PS3_S9_,comdat
	.globl	_ZN2at6native12_GLOBAL__N_135GammaBetaBackwardCUDAKernelTemplateIffLj64ELj1ELj8ELb1ELb1ELb0EEEvllPKT_S5_PKT0_S8_PS3_S9_ ; -- Begin function _ZN2at6native12_GLOBAL__N_135GammaBetaBackwardCUDAKernelTemplateIffLj64ELj1ELj8ELb1ELb1ELb0EEEvllPKT_S5_PKT0_S8_PS3_S9_
	.p2align	8
	.type	_ZN2at6native12_GLOBAL__N_135GammaBetaBackwardCUDAKernelTemplateIffLj64ELj1ELj8ELb1ELb1ELb0EEEvllPKT_S5_PKT0_S8_PS3_S9_,@function
_ZN2at6native12_GLOBAL__N_135GammaBetaBackwardCUDAKernelTemplateIffLj64ELj1ELj8ELb1ELb1ELb0EEEvllPKT_S5_PKT0_S8_PS3_S9_: ; @_ZN2at6native12_GLOBAL__N_135GammaBetaBackwardCUDAKernelTemplateIffLj64ELj1ELj8ELb1ELb1ELb0EEEvllPKT_S5_PKT0_S8_PS3_S9_
; %bb.0:
	s_load_b128 s[12:15], s[0:1], 0x0
	s_lshl_b32 s2, ttmp7, 3
	s_mov_b32 s3, 0
	v_bfe_u32 v6, v0, 10, 10
	s_add_nc_u64 s[20:21], s[0:1], 64
	s_wait_kmcnt 0x0
	v_cmp_gt_i64_e64 s4, s[12:13], s[2:3]
	s_and_b32 vcc_lo, exec_lo, s4
	s_cbranch_vccnz .LBB52_2
; %bb.1:
	v_bfe_u32 v1, v0, 10, 10
	s_add_nc_u64 s[4:5], s[0:1], 64
	s_mov_b32 s6, s3
	s_branch .LBB52_3
.LBB52_2:
	s_mov_b32 s6, -1
                                        ; implicit-def: $sgpr4_sgpr5
                                        ; implicit-def: $vgpr1
.LBB52_3:
	s_load_b128 s[16:19], s[0:1], 0x30
	v_and_b32_e32 v7, 0x3ff, v0
	v_mov_b32_e32 v15, 0
	v_mov_b32_e32 v9, 0
	s_and_not1_b32 vcc_lo, exec_lo, s6
	s_cbranch_vccnz .LBB52_11
; %bb.4:
	s_load_b32 s22, s[0:1], 0x4c
	v_dual_mov_b32 v1, 0 :: v_dual_lshlrev_b32 v0, 3, v6
	s_clause 0x1
	s_load_b32 s24, s[0:1], 0x44
	s_load_b256 s[4:11], s[0:1], 0x10
	s_mov_b32 s23, 0
	v_dual_mov_b32 v8, 8 :: v_dual_mov_b32 v11, 12
	v_add_co_u32 v2, s0, v0, s2
	s_delay_alu instid0(VALU_DEP_1) | instskip(SKIP_1) | instid1(VALU_DEP_3)
	v_add_co_ci_u32_e64 v3, null, 0, 0, s0
	v_lshl_add_u32 v0, ttmp9, 6, v7
	v_mul_lo_u32 v9, s15, v2
	v_mad_co_u64_u32 v[4:5], null, s14, v2, 0
	s_delay_alu instid0(VALU_DEP_4) | instskip(NEXT) | instid1(VALU_DEP_4)
	v_mul_lo_u32 v15, s14, v3
	v_lshlrev_b64_e32 v[16:17], 2, v[0:1]
	v_dual_mov_b32 v10, 4 :: v_dual_mov_b32 v13, 20
	v_mov_b32_e32 v12, 16
	s_wait_kmcnt 0x0
	s_and_b32 s0, s22, 0xffff
	v_mov_b32_e32 v0, 28
	s_wait_alu 0xfffe
	v_mad_u32_u24 v14, v6, s0, v7
	v_add3_u32 v5, v5, v15, v9
	s_lshl_b32 s22, s24, 3
	v_mov_b32_e32 v9, 0
	s_mul_u64 s[26:27], s[14:15], s[22:23]
	v_dual_mov_b32 v15, 0 :: v_dual_and_b32 v20, 31, v14
	v_lshlrev_b64_e32 v[18:19], 2, v[4:5]
	v_mov_b32_e32 v14, 24
	s_lshl_b64 s[24:25], s[22:23], 2
	s_delay_alu instid0(VALU_DEP_3) | instskip(NEXT) | instid1(VALU_DEP_1)
	v_add_co_u32 v2, vcc_lo, v2, v20
	v_add_co_ci_u32_e64 v3, null, 0, v3, vcc_lo
	s_delay_alu instid0(VALU_DEP_4) | instskip(SKIP_1) | instid1(VALU_DEP_3)
	v_add_co_u32 v16, vcc_lo, v18, v16
	v_cmp_gt_u32_e64 s0, 8, v20
	v_lshlrev_b64_e32 v[4:5], 2, v[2:3]
	s_wait_alu 0xfffd
	v_add_co_ci_u32_e64 v17, null, v19, v17, vcc_lo
	s_lshl_b64 s[26:27], s[26:27], 2
	s_lshl_b64 s[28:29], s[14:15], 2
	s_branch .LBB52_7
.LBB52_5:                               ;   in Loop: Header=BB52_7 Depth=1
	s_or_b32 exec_lo, exec_lo, s30
.LBB52_6:                               ;   in Loop: Header=BB52_7 Depth=1
	s_wait_alu 0xfffe
	s_or_b32 exec_lo, exec_lo, s1
	v_add_co_u32 v20, vcc_lo, s4, v16
	s_wait_alu 0xfffd
	v_add_co_ci_u32_e64 v21, null, s5, v17, vcc_lo
	v_add_co_u32 v22, vcc_lo, s6, v16
	s_wait_alu 0xfffd
	v_add_co_ci_u32_e64 v23, null, s7, v17, vcc_lo
	global_load_b32 v30, v[20:21], off
	v_add_co_u32 v20, vcc_lo, v20, s28
	s_wait_alu 0xfffd
	v_add_co_ci_u32_e64 v21, null, s29, v21, vcc_lo
	v_add_co_u32 v24, vcc_lo, v22, s28
	s_wait_alu 0xfffd
	v_add_co_ci_u32_e64 v25, null, s29, v23, vcc_lo
	;; [unrolled: 3-line block ×4, first 2 shown]
	global_load_b32 v31, v[22:23], off
	global_load_b32 v32, v[20:21], off
	;; [unrolled: 1-line block ×5, first 2 shown]
	v_add_co_u32 v20, vcc_lo, v28, s28
	s_wait_alu 0xfffd
	v_add_co_ci_u32_e64 v21, null, s29, v29, vcc_lo
	v_add_co_u32 v22, vcc_lo, v26, s28
	s_wait_alu 0xfffd
	v_add_co_ci_u32_e64 v23, null, s29, v27, vcc_lo
	global_load_b32 v36, v[20:21], off
	v_add_co_u32 v24, vcc_lo, v22, s28
	s_wait_alu 0xfffd
	v_add_co_ci_u32_e64 v25, null, s29, v23, vcc_lo
	v_add_co_u32 v20, vcc_lo, v20, s28
	s_wait_alu 0xfffd
	v_add_co_ci_u32_e64 v21, null, s29, v21, vcc_lo
	;; [unrolled: 3-line block ×4, first 2 shown]
	s_clause 0x1
	global_load_b32 v37, v[22:23], off
	global_load_b32 v24, v[24:25], off
	;; [unrolled: 1-line block ×5, first 2 shown]
	v_add_co_u32 v20, vcc_lo, v28, s28
	s_wait_alu 0xfffd
	v_add_co_ci_u32_e64 v21, null, s29, v29, vcc_lo
	v_add_co_u32 v22, vcc_lo, v26, s28
	s_wait_alu 0xfffd
	v_add_co_ci_u32_e64 v23, null, s29, v27, vcc_lo
	global_load_b32 v26, v[20:21], off
	v_add_co_u32 v20, vcc_lo, v20, s28
	s_wait_alu 0xfffd
	v_add_co_ci_u32_e64 v21, null, s29, v21, vcc_lo
	global_load_b32 v27, v[22:23], off
	global_load_b32 v28, v[20:21], off
	v_add_co_u32 v20, vcc_lo, v22, s28
	s_wait_alu 0xfffd
	v_add_co_ci_u32_e64 v21, null, s29, v23, vcc_lo
	s_wait_loadcnt 0x10
	ds_bpermute_b32 v22, v10, v19
	s_wait_loadcnt 0xf
	ds_bpermute_b32 v23, v1, v18
	ds_bpermute_b32 v29, v8, v19
	global_load_b32 v20, v[20:21], off
	ds_bpermute_b32 v21, v1, v19
	ds_bpermute_b32 v40, v10, v18
	;; [unrolled: 1-line block ×5, first 2 shown]
	v_add_co_u32 v4, vcc_lo, v4, s24
	s_add_nc_u64 s[2:3], s[2:3], s[22:23]
	s_wait_alu 0xfffd
	v_add_co_ci_u32_e64 v5, null, s25, v5, vcc_lo
	v_add_co_u32 v2, vcc_lo, v2, s22
	s_wait_alu 0xfffe
	v_cmp_lt_i64_e64 s1, s[2:3], s[12:13]
	s_wait_alu 0xfffd
	v_add_co_ci_u32_e64 v3, null, 0, v3, vcc_lo
	v_add_co_u32 v16, vcc_lo, v16, s26
	s_wait_alu 0xfffd
	v_add_co_ci_u32_e64 v17, null, s27, v17, vcc_lo
	s_and_b32 vcc_lo, exec_lo, s1
	s_wait_loadcnt 0xf
	v_add_f32_e32 v15, v15, v30
	s_wait_loadcnt_dscnt 0xe04
	v_sub_f32_e32 v21, v31, v21
	ds_bpermute_b32 v31, v8, v18
	s_wait_loadcnt 0xc
	v_sub_f32_e32 v22, v33, v22
	ds_bpermute_b32 v33, v11, v18
	v_mul_f32_e32 v21, v30, v21
	ds_bpermute_b32 v30, v13, v18
	v_fmac_f32_e32 v9, v21, v23
	s_wait_loadcnt 0xa
	v_dual_mul_f32 v21, v32, v22 :: v_dual_sub_f32 v22, v35, v29
	ds_bpermute_b32 v23, v12, v18
	ds_bpermute_b32 v29, v14, v19
	ds_bpermute_b32 v19, v0, v19
	s_wait_dscnt 0x9
	v_fmac_f32_e32 v9, v21, v40
	s_wait_loadcnt_dscnt 0x908
	v_dual_mul_f32 v21, v34, v22 :: v_dual_sub_f32 v22, v36, v41
	v_add_f32_e32 v15, v15, v32
	s_wait_dscnt 0x5
	s_delay_alu instid0(VALU_DEP_2)
	v_fmac_f32_e32 v9, v21, v31
	s_wait_loadcnt 0x8
	v_mul_f32_e32 v21, v37, v22
	s_wait_loadcnt 0x6
	v_sub_f32_e32 v22, v25, v42
	ds_bpermute_b32 v25, v14, v18
	ds_bpermute_b32 v18, v0, v18
	s_wait_dscnt 0x6
	v_fmac_f32_e32 v9, v21, v33
	s_wait_loadcnt 0x4
	v_dual_mul_f32 v21, v24, v22 :: v_dual_sub_f32 v22, v39, v43
	s_wait_dscnt 0x4
	s_delay_alu instid0(VALU_DEP_1) | instskip(NEXT) | instid1(VALU_DEP_2)
	v_fmac_f32_e32 v9, v21, v23
	v_mul_f32_e32 v21, v38, v22
	s_wait_loadcnt_dscnt 0x303
	v_dual_sub_f32 v22, v26, v29 :: v_dual_add_f32 v15, v15, v34
	s_delay_alu instid0(VALU_DEP_2) | instskip(SKIP_1) | instid1(VALU_DEP_2)
	v_fmac_f32_e32 v9, v21, v30
	s_wait_loadcnt 0x2
	v_mul_f32_e32 v21, v27, v22
	s_delay_alu instid0(VALU_DEP_3)
	v_add_f32_e32 v15, v15, v37
	s_wait_loadcnt_dscnt 0x102
	v_sub_f32_e32 v19, v28, v19
	s_wait_dscnt 0x1
	v_fmac_f32_e32 v9, v21, v25
	v_add_f32_e32 v15, v15, v24
	s_wait_loadcnt 0x0
	v_mul_f32_e32 v19, v20, v19
	s_delay_alu instid0(VALU_DEP_2) | instskip(SKIP_1) | instid1(VALU_DEP_2)
	v_add_f32_e32 v15, v15, v38
	s_wait_dscnt 0x0
	v_fmac_f32_e32 v9, v19, v18
	s_delay_alu instid0(VALU_DEP_2) | instskip(NEXT) | instid1(VALU_DEP_1)
	v_add_f32_e32 v15, v15, v27
	v_add_f32_e32 v15, v15, v20
	s_wait_alu 0xfffe
	s_cbranch_vccz .LBB52_10
.LBB52_7:                               ; =>This Inner Loop Header: Depth=1
	v_dual_mov_b32 v18, 0 :: v_dual_mov_b32 v19, 0
	s_and_saveexec_b32 s1, s0
	s_cbranch_execz .LBB52_6
; %bb.8:                                ;   in Loop: Header=BB52_7 Depth=1
	v_dual_mov_b32 v19, 0 :: v_dual_mov_b32 v18, 0
	s_mov_b32 s30, exec_lo
	v_cmpx_gt_i64_e64 s[12:13], v[2:3]
	s_cbranch_execz .LBB52_5
; %bb.9:                                ;   in Loop: Header=BB52_7 Depth=1
	v_add_co_u32 v18, vcc_lo, s8, v4
	s_wait_alu 0xfffd
	v_add_co_ci_u32_e64 v19, null, s9, v5, vcc_lo
	v_add_co_u32 v20, vcc_lo, s10, v4
	s_wait_alu 0xfffd
	v_add_co_ci_u32_e64 v21, null, s11, v5, vcc_lo
	global_load_b32 v19, v[18:19], off
	global_load_b32 v18, v[20:21], off
	s_branch .LBB52_5
.LBB52_10:
	v_mov_b32_e32 v1, v6
	s_mov_b64 s[4:5], s[20:21]
.LBB52_11:
	s_load_u16 s2, s[4:5], 0xe
	v_mov_b32_e32 v2, 0
	s_mov_b32 s0, ttmp9
	s_mov_b32 s1, 0
	s_wait_alu 0xfffe
	s_lshl_b64 s[0:1], s[0:1], 6
	s_wait_kmcnt 0x0
	s_cmp_eq_u64 s[16:17], 0
	s_wait_alu 0xfffe
	v_add_co_u32 v0, s0, s0, v7
	s_wait_alu 0xf1ff
	v_mad_co_u64_u32 v[2:3], null, s2, ttmp7, v[1:2]
	v_add_co_ci_u32_e64 v1, null, s1, 0, s0
	s_delay_alu instid0(VALU_DEP_1) | instskip(NEXT) | instid1(VALU_DEP_3)
	v_lshlrev_b64_e32 v[0:1], 2, v[0:1]
	v_mul_lo_u32 v3, v3, s14
	s_delay_alu instid0(VALU_DEP_4)
	v_mul_lo_u32 v4, v2, s15
	s_cbranch_scc1 .LBB52_13
; %bb.12:
	v_mad_co_u64_u32 v[5:6], null, v2, s14, 0
	s_delay_alu instid0(VALU_DEP_1) | instskip(NEXT) | instid1(VALU_DEP_1)
	v_add3_u32 v6, v6, v4, v3
	v_lshlrev_b64_e32 v[5:6], 2, v[5:6]
	s_delay_alu instid0(VALU_DEP_1) | instskip(SKIP_1) | instid1(VALU_DEP_2)
	v_add_co_u32 v5, vcc_lo, s16, v5
	s_wait_alu 0xfffd
	v_add_co_ci_u32_e64 v6, null, s17, v6, vcc_lo
	s_delay_alu instid0(VALU_DEP_2) | instskip(SKIP_1) | instid1(VALU_DEP_2)
	v_add_co_u32 v5, vcc_lo, v5, v0
	s_wait_alu 0xfffd
	v_add_co_ci_u32_e64 v6, null, v6, v1, vcc_lo
	global_store_b32 v[5:6], v9, off
.LBB52_13:
	s_cmp_eq_u64 s[18:19], 0
	s_cbranch_scc1 .LBB52_15
; %bb.14:
	v_mad_co_u64_u32 v[5:6], null, v2, s14, 0
	s_delay_alu instid0(VALU_DEP_1) | instskip(NEXT) | instid1(VALU_DEP_1)
	v_add3_u32 v6, v6, v4, v3
	v_lshlrev_b64_e32 v[2:3], 2, v[5:6]
	s_delay_alu instid0(VALU_DEP_1) | instskip(SKIP_1) | instid1(VALU_DEP_2)
	v_add_co_u32 v2, vcc_lo, s18, v2
	s_wait_alu 0xfffd
	v_add_co_ci_u32_e64 v3, null, s19, v3, vcc_lo
	s_delay_alu instid0(VALU_DEP_2) | instskip(SKIP_1) | instid1(VALU_DEP_2)
	v_add_co_u32 v0, vcc_lo, v2, v0
	s_wait_alu 0xfffd
	v_add_co_ci_u32_e64 v1, null, v3, v1, vcc_lo
	global_store_b32 v[0:1], v15, off
.LBB52_15:
	s_endpgm
	.section	.rodata,"a",@progbits
	.p2align	6, 0x0
	.amdhsa_kernel _ZN2at6native12_GLOBAL__N_135GammaBetaBackwardCUDAKernelTemplateIffLj64ELj1ELj8ELb1ELb1ELb0EEEvllPKT_S5_PKT0_S8_PS3_S9_
		.amdhsa_group_segment_fixed_size 0
		.amdhsa_private_segment_fixed_size 0
		.amdhsa_kernarg_size 320
		.amdhsa_user_sgpr_count 2
		.amdhsa_user_sgpr_dispatch_ptr 0
		.amdhsa_user_sgpr_queue_ptr 0
		.amdhsa_user_sgpr_kernarg_segment_ptr 1
		.amdhsa_user_sgpr_dispatch_id 0
		.amdhsa_user_sgpr_private_segment_size 0
		.amdhsa_wavefront_size32 1
		.amdhsa_uses_dynamic_stack 0
		.amdhsa_enable_private_segment 0
		.amdhsa_system_sgpr_workgroup_id_x 1
		.amdhsa_system_sgpr_workgroup_id_y 1
		.amdhsa_system_sgpr_workgroup_id_z 0
		.amdhsa_system_sgpr_workgroup_info 0
		.amdhsa_system_vgpr_workitem_id 1
		.amdhsa_next_free_vgpr 44
		.amdhsa_next_free_sgpr 31
		.amdhsa_reserve_vcc 1
		.amdhsa_float_round_mode_32 0
		.amdhsa_float_round_mode_16_64 0
		.amdhsa_float_denorm_mode_32 3
		.amdhsa_float_denorm_mode_16_64 3
		.amdhsa_fp16_overflow 0
		.amdhsa_workgroup_processor_mode 1
		.amdhsa_memory_ordered 1
		.amdhsa_forward_progress 1
		.amdhsa_inst_pref_size 14
		.amdhsa_round_robin_scheduling 0
		.amdhsa_exception_fp_ieee_invalid_op 0
		.amdhsa_exception_fp_denorm_src 0
		.amdhsa_exception_fp_ieee_div_zero 0
		.amdhsa_exception_fp_ieee_overflow 0
		.amdhsa_exception_fp_ieee_underflow 0
		.amdhsa_exception_fp_ieee_inexact 0
		.amdhsa_exception_int_div_zero 0
	.end_amdhsa_kernel
	.section	.text._ZN2at6native12_GLOBAL__N_135GammaBetaBackwardCUDAKernelTemplateIffLj64ELj1ELj8ELb1ELb1ELb0EEEvllPKT_S5_PKT0_S8_PS3_S9_,"axG",@progbits,_ZN2at6native12_GLOBAL__N_135GammaBetaBackwardCUDAKernelTemplateIffLj64ELj1ELj8ELb1ELb1ELb0EEEvllPKT_S5_PKT0_S8_PS3_S9_,comdat
.Lfunc_end52:
	.size	_ZN2at6native12_GLOBAL__N_135GammaBetaBackwardCUDAKernelTemplateIffLj64ELj1ELj8ELb1ELb1ELb0EEEvllPKT_S5_PKT0_S8_PS3_S9_, .Lfunc_end52-_ZN2at6native12_GLOBAL__N_135GammaBetaBackwardCUDAKernelTemplateIffLj64ELj1ELj8ELb1ELb1ELb0EEEvllPKT_S5_PKT0_S8_PS3_S9_
                                        ; -- End function
	.set _ZN2at6native12_GLOBAL__N_135GammaBetaBackwardCUDAKernelTemplateIffLj64ELj1ELj8ELb1ELb1ELb0EEEvllPKT_S5_PKT0_S8_PS3_S9_.num_vgpr, 44
	.set _ZN2at6native12_GLOBAL__N_135GammaBetaBackwardCUDAKernelTemplateIffLj64ELj1ELj8ELb1ELb1ELb0EEEvllPKT_S5_PKT0_S8_PS3_S9_.num_agpr, 0
	.set _ZN2at6native12_GLOBAL__N_135GammaBetaBackwardCUDAKernelTemplateIffLj64ELj1ELj8ELb1ELb1ELb0EEEvllPKT_S5_PKT0_S8_PS3_S9_.numbered_sgpr, 31
	.set _ZN2at6native12_GLOBAL__N_135GammaBetaBackwardCUDAKernelTemplateIffLj64ELj1ELj8ELb1ELb1ELb0EEEvllPKT_S5_PKT0_S8_PS3_S9_.num_named_barrier, 0
	.set _ZN2at6native12_GLOBAL__N_135GammaBetaBackwardCUDAKernelTemplateIffLj64ELj1ELj8ELb1ELb1ELb0EEEvllPKT_S5_PKT0_S8_PS3_S9_.private_seg_size, 0
	.set _ZN2at6native12_GLOBAL__N_135GammaBetaBackwardCUDAKernelTemplateIffLj64ELj1ELj8ELb1ELb1ELb0EEEvllPKT_S5_PKT0_S8_PS3_S9_.uses_vcc, 1
	.set _ZN2at6native12_GLOBAL__N_135GammaBetaBackwardCUDAKernelTemplateIffLj64ELj1ELj8ELb1ELb1ELb0EEEvllPKT_S5_PKT0_S8_PS3_S9_.uses_flat_scratch, 0
	.set _ZN2at6native12_GLOBAL__N_135GammaBetaBackwardCUDAKernelTemplateIffLj64ELj1ELj8ELb1ELb1ELb0EEEvllPKT_S5_PKT0_S8_PS3_S9_.has_dyn_sized_stack, 0
	.set _ZN2at6native12_GLOBAL__N_135GammaBetaBackwardCUDAKernelTemplateIffLj64ELj1ELj8ELb1ELb1ELb0EEEvllPKT_S5_PKT0_S8_PS3_S9_.has_recursion, 0
	.set _ZN2at6native12_GLOBAL__N_135GammaBetaBackwardCUDAKernelTemplateIffLj64ELj1ELj8ELb1ELb1ELb0EEEvllPKT_S5_PKT0_S8_PS3_S9_.has_indirect_call, 0
	.section	.AMDGPU.csdata,"",@progbits
; Kernel info:
; codeLenInByte = 1732
; TotalNumSgprs: 33
; NumVgprs: 44
; ScratchSize: 0
; MemoryBound: 0
; FloatMode: 240
; IeeeMode: 1
; LDSByteSize: 0 bytes/workgroup (compile time only)
; SGPRBlocks: 0
; VGPRBlocks: 5
; NumSGPRsForWavesPerEU: 33
; NumVGPRsForWavesPerEU: 44
; Occupancy: 16
; WaveLimiterHint : 0
; COMPUTE_PGM_RSRC2:SCRATCH_EN: 0
; COMPUTE_PGM_RSRC2:USER_SGPR: 2
; COMPUTE_PGM_RSRC2:TRAP_HANDLER: 0
; COMPUTE_PGM_RSRC2:TGID_X_EN: 1
; COMPUTE_PGM_RSRC2:TGID_Y_EN: 1
; COMPUTE_PGM_RSRC2:TGID_Z_EN: 0
; COMPUTE_PGM_RSRC2:TIDIG_COMP_CNT: 1
	.section	.text._ZN2at6native12_GLOBAL__N_135GammaBetaBackwardCUDAKernelTemplateIffLj64ELj1ELj8ELb1ELb0ELb0EEEvllPKT_S5_PKT0_S8_PS3_S9_,"axG",@progbits,_ZN2at6native12_GLOBAL__N_135GammaBetaBackwardCUDAKernelTemplateIffLj64ELj1ELj8ELb1ELb0ELb0EEEvllPKT_S5_PKT0_S8_PS3_S9_,comdat
	.globl	_ZN2at6native12_GLOBAL__N_135GammaBetaBackwardCUDAKernelTemplateIffLj64ELj1ELj8ELb1ELb0ELb0EEEvllPKT_S5_PKT0_S8_PS3_S9_ ; -- Begin function _ZN2at6native12_GLOBAL__N_135GammaBetaBackwardCUDAKernelTemplateIffLj64ELj1ELj8ELb1ELb0ELb0EEEvllPKT_S5_PKT0_S8_PS3_S9_
	.p2align	8
	.type	_ZN2at6native12_GLOBAL__N_135GammaBetaBackwardCUDAKernelTemplateIffLj64ELj1ELj8ELb1ELb0ELb0EEEvllPKT_S5_PKT0_S8_PS3_S9_,@function
_ZN2at6native12_GLOBAL__N_135GammaBetaBackwardCUDAKernelTemplateIffLj64ELj1ELj8ELb1ELb0ELb0EEEvllPKT_S5_PKT0_S8_PS3_S9_: ; @_ZN2at6native12_GLOBAL__N_135GammaBetaBackwardCUDAKernelTemplateIffLj64ELj1ELj8ELb1ELb0ELb0EEEvllPKT_S5_PKT0_S8_PS3_S9_
; %bb.0:
	s_clause 0x1
	s_load_b256 s[4:11], s[0:1], 0x0
	s_load_b128 s[12:15], s[0:1], 0x20
	s_lshl_b32 s30, ttmp9, 6
	s_mov_b32 s17, 0
	s_or_b32 s16, s30, 63
	s_wait_kmcnt 0x0
	v_cmp_le_i64_e64 s2, s[6:7], s[16:17]
	s_lshl_b32 s16, ttmp7, 3
	s_wait_alu 0xfffe
	v_cmp_gt_i64_e64 s31, s[4:5], s[16:17]
	s_and_b32 vcc_lo, exec_lo, s2
	v_cndmask_b32_e64 v1, 0, 1, s31
	s_delay_alu instid0(VALU_DEP_1)
	v_cmp_ne_u32_e64 s2, 1, v1
	s_cbranch_vccz .LBB53_49
; %bb.1:
	v_dual_mov_b32 v50, 0 :: v_dual_mov_b32 v59, 0
	s_and_b32 vcc_lo, exec_lo, s2
	s_cbranch_vccnz .LBB53_50
; %bb.2:
	v_bfe_u32 v22, v0, 10, 10
	v_dual_mov_b32 v1, 0 :: v_dual_and_b32 v24, 0x3ff, v0
	s_load_b32 s3, s[0:1], 0x44
	s_mov_b32 s19, 0
	s_delay_alu instid0(VALU_DEP_2) | instskip(NEXT) | instid1(VALU_DEP_2)
	v_dual_mov_b32 v60, 0 :: v_dual_lshlrev_b32 v23, 3, v22
	v_dual_mov_b32 v5, v1 :: v_dual_add_nc_u32 v4, s30, v24
	s_mov_b32 s23, s19
	s_delay_alu instid0(VALU_DEP_2) | instskip(NEXT) | instid1(VALU_DEP_1)
	v_add_co_u32 v10, s2, v23, s16
	v_add_co_ci_u32_e64 v11, null, 0, 0, s2
	s_delay_alu instid0(VALU_DEP_3) | instskip(NEXT) | instid1(VALU_DEP_3)
	v_cmp_gt_i64_e64 s2, s[6:7], v[4:5]
	v_mul_lo_u32 v6, s7, v10
	v_mad_co_u64_u32 v[2:3], null, s6, v10, 0
	s_delay_alu instid0(VALU_DEP_4)
	v_mul_lo_u32 v7, s6, v11
	v_lshlrev_b64_e32 v[18:19], 2, v[4:5]
	v_dual_mov_b32 v25, v1 :: v_dual_mov_b32 v50, 0
	s_add_nc_u64 s[20:21], s[0:1], 64
	s_wait_kmcnt 0x0
	s_lshl_b32 s22, s3, 3
	s_mov_b64 s[26:27], 7
	s_mul_u64 s[24:25], s[6:7], s[22:23]
	v_add3_u32 v3, v3, v7, v6
	v_add_co_u32 v6, vcc_lo, v10, 7
	s_delay_alu instid0(VALU_DEP_1)
	v_add_co_ci_u32_e64 v7, null, 0, v11, vcc_lo
	v_add_co_u32 v8, vcc_lo, v10, 6
	s_wait_alu 0xfffd
	v_add_co_ci_u32_e64 v9, null, 0, v11, vcc_lo
	v_lshlrev_b64_e32 v[4:5], 2, v[2:3]
	v_mul_lo_u32 v12, s7, v6
	v_mul_lo_u32 v13, s6, v7
	v_mad_co_u64_u32 v[6:7], null, s6, v6, 0
	v_mul_lo_u32 v14, s7, v8
	v_mul_lo_u32 v15, s6, v9
	v_mad_co_u64_u32 v[8:9], null, s6, v8, 0
	v_add_co_u32 v26, vcc_lo, s8, v4
	s_wait_alu 0xfffd
	v_add_co_ci_u32_e64 v27, null, s9, v5, vcc_lo
	v_add_co_u32 v28, vcc_lo, s10, v4
	v_add3_u32 v7, v7, v13, v12
	s_wait_alu 0xfffd
	v_add_co_ci_u32_e64 v29, null, s11, v5, vcc_lo
	v_add_co_u32 v12, vcc_lo, v10, 5
	v_add3_u32 v9, v9, v15, v14
	s_wait_alu 0xfffd
	v_add_co_ci_u32_e64 v13, null, 0, v11, vcc_lo
	v_lshlrev_b64_e32 v[4:5], 2, v[6:7]
	v_mul_lo_u32 v14, s7, v12
	v_lshlrev_b64_e32 v[6:7], 2, v[8:9]
	s_delay_alu instid0(VALU_DEP_4)
	v_mul_lo_u32 v13, s6, v13
	v_mad_co_u64_u32 v[8:9], null, s6, v12, 0
	v_add_co_u32 v30, vcc_lo, s8, v4
	s_wait_alu 0xfffd
	v_add_co_ci_u32_e64 v31, null, s9, v5, vcc_lo
	v_add_co_u32 v32, vcc_lo, s10, v4
	s_wait_alu 0xfffd
	v_add_co_ci_u32_e64 v33, null, s11, v5, vcc_lo
	v_add_co_u32 v34, vcc_lo, s8, v6
	v_add3_u32 v9, v9, v13, v14
	s_wait_alu 0xfffd
	v_add_co_ci_u32_e64 v35, null, s9, v7, vcc_lo
	v_add_co_u32 v12, vcc_lo, v10, 4
	v_add_co_u32 v36, s3, s10, v6
	s_wait_alu 0xfffd
	v_add_co_ci_u32_e64 v6, null, 0, v11, vcc_lo
	v_lshlrev_b64_e32 v[4:5], 2, v[8:9]
	v_add_co_u32 v8, vcc_lo, v10, 3
	s_wait_alu 0xfffd
	v_add_co_ci_u32_e64 v9, null, 0, v11, vcc_lo
	s_wait_alu 0xf1ff
	v_add_co_ci_u32_e64 v37, null, s11, v7, s3
	v_mul_lo_u32 v13, s7, v12
	v_mul_lo_u32 v14, s6, v6
	v_mad_co_u64_u32 v[6:7], null, s6, v12, 0
	v_mul_lo_u32 v12, s7, v8
	v_mul_lo_u32 v15, s6, v9
	v_mad_co_u64_u32 v[8:9], null, s6, v8, 0
	v_add_co_u32 v38, vcc_lo, s8, v4
	s_wait_alu 0xfffd
	v_add_co_ci_u32_e64 v39, null, s9, v5, vcc_lo
	v_add3_u32 v7, v7, v14, v13
	v_add_co_u32 v40, vcc_lo, s10, v4
	s_wait_alu 0xfffd
	v_add_co_ci_u32_e64 v41, null, s11, v5, vcc_lo
	v_add_co_u32 v10, vcc_lo, v10, 2
	v_add3_u32 v9, v9, v15, v12
	s_wait_alu 0xfffd
	v_add_co_ci_u32_e64 v11, null, 0, v11, vcc_lo
	v_lshlrev_b64_e32 v[4:5], 2, v[6:7]
	v_mul_lo_u32 v12, s7, v10
	v_lshlrev_b64_e32 v[6:7], 2, v[8:9]
	s_delay_alu instid0(VALU_DEP_4)
	v_mul_lo_u32 v11, s6, v11
	v_mad_co_u64_u32 v[8:9], null, s6, v10, 0
	v_add_co_u32 v42, vcc_lo, s8, v4
	s_wait_alu 0xfffd
	v_add_co_ci_u32_e64 v43, null, s9, v5, vcc_lo
	v_add_co_u32 v44, vcc_lo, s10, v4
	s_wait_alu 0xfffd
	v_add_co_ci_u32_e64 v45, null, s11, v5, vcc_lo
	;; [unrolled: 3-line block ×3, first 2 shown]
	v_add3_u32 v9, v9, v11, v12
	v_add_co_u32 v48, vcc_lo, s10, v6
	s_wait_alu 0xfffd
	v_add_co_ci_u32_e64 v49, null, s11, v7, vcc_lo
	v_add_co_u32 v2, vcc_lo, v2, s6
	s_wait_alu 0xfffd
	v_add_co_ci_u32_e64 v3, null, s7, v3, vcc_lo
	v_lshlrev_b64_e32 v[4:5], 2, v[8:9]
	s_lshl_b64 s[24:25], s[24:25], 2
	s_mov_b64 s[28:29], s[16:17]
	s_delay_alu instid0(VALU_DEP_2) | instskip(NEXT) | instid1(VALU_DEP_2)
	v_lshlrev_b64_e32 v[2:3], 2, v[2:3]
	v_add_co_u32 v51, vcc_lo, s8, v4
	s_wait_alu 0xfffd
	v_add_co_ci_u32_e64 v52, null, s9, v5, vcc_lo
	v_add_co_u32 v53, vcc_lo, s10, v4
	s_wait_alu 0xfffd
	v_add_co_ci_u32_e64 v54, null, s11, v5, vcc_lo
	v_add_co_u32 v55, vcc_lo, s8, v2
	s_wait_alu 0xfffd
	v_add_co_ci_u32_e64 v56, null, s9, v3, vcc_lo
	v_add_co_u32 v57, vcc_lo, s10, v2
	s_wait_alu 0xfffd
	v_add_co_ci_u32_e64 v58, null, s11, v3, vcc_lo
.LBB53_3:                               ; =>This Inner Loop Header: Depth=1
	s_add_nc_u64 s[34:35], s[16:17], s[26:27]
	v_add_co_u32 v20, vcc_lo, s16, v23
	s_wait_alu 0xfffe
	v_cmp_ge_i64_e64 s3, s[34:35], s[4:5]
	s_wait_alu 0xfffd
	v_add_co_ci_u32_e64 v21, null, 0, v25, vcc_lo
                                        ; implicit-def: $vgpr2_vgpr3_vgpr4_vgpr5_vgpr6_vgpr7_vgpr8_vgpr9
                                        ; implicit-def: $vgpr62
                                        ; implicit-def: $vgpr10_vgpr11_vgpr12_vgpr13_vgpr14_vgpr15_vgpr16_vgpr17
                                        ; implicit-def: $vgpr2
                                        ; implicit-def: $vgpr3
                                        ; implicit-def: $vgpr59
	s_and_b32 vcc_lo, exec_lo, s3
	s_mov_b32 s3, -1
	s_wait_alu 0xfffe
	s_cbranch_vccz .LBB53_25
; %bb.4:                                ;   in Loop: Header=BB53_3 Depth=1
	s_load_b32 s3, s[20:21], 0xc
	v_dual_mov_b32 v62, 0 :: v_dual_mov_b32 v61, 0
	s_wait_kmcnt 0x0
	s_and_b32 s3, s3, 0xffff
	s_wait_alu 0xfffe
	v_mad_u32_u24 v2, v22, s3, v24
	s_mov_b32 s3, exec_lo
	s_delay_alu instid0(VALU_DEP_1) | instskip(NEXT) | instid1(VALU_DEP_1)
	v_and_b32_e32 v2, 31, v2
	v_cmpx_gt_u32_e32 8, v2
	s_cbranch_execz .LBB53_8
; %bb.5:                                ;   in Loop: Header=BB53_3 Depth=1
	v_add_co_u32 v2, vcc_lo, v20, v2
	s_wait_alu 0xfffd
	v_add_co_ci_u32_e64 v3, null, 0, v21, vcc_lo
	v_dual_mov_b32 v61, 0 :: v_dual_mov_b32 v62, 0
	s_mov_b32 s18, exec_lo
	s_delay_alu instid0(VALU_DEP_2)
	v_cmpx_gt_i64_e64 s[4:5], v[2:3]
	s_cbranch_execz .LBB53_7
; %bb.6:                                ;   in Loop: Header=BB53_3 Depth=1
	v_lshlrev_b64_e32 v[2:3], 2, v[2:3]
	s_delay_alu instid0(VALU_DEP_1) | instskip(SKIP_1) | instid1(VALU_DEP_2)
	v_add_co_u32 v4, vcc_lo, s12, v2
	s_wait_alu 0xfffd
	v_add_co_ci_u32_e64 v5, null, s13, v3, vcc_lo
	v_add_co_u32 v2, vcc_lo, s14, v2
	s_wait_alu 0xfffd
	v_add_co_ci_u32_e64 v3, null, s15, v3, vcc_lo
	global_load_b32 v61, v[4:5], off
	global_load_b32 v62, v[2:3], off
.LBB53_7:                               ;   in Loop: Header=BB53_3 Depth=1
	s_or_b32 exec_lo, exec_lo, s18
.LBB53_8:                               ;   in Loop: Header=BB53_3 Depth=1
	s_wait_alu 0xfffe
	s_or_b32 exec_lo, exec_lo, s3
	v_mov_b32_e32 v8, v1
	v_dual_mov_b32 v2, v1 :: v_dual_mov_b32 v3, v1
	v_dual_mov_b32 v4, v1 :: v_dual_mov_b32 v5, v1
	;; [unrolled: 1-line block ×3, first 2 shown]
	v_cmp_gt_i64_e32 vcc_lo, s[4:5], v[20:21]
	s_delay_alu instid0(VALU_DEP_3) | instskip(NEXT) | instid1(VALU_DEP_3)
	v_dual_mov_b32 v17, v8 :: v_dual_mov_b32 v14, v5
	v_dual_mov_b32 v15, v6 :: v_dual_mov_b32 v16, v7
	;; [unrolled: 1-line block ×4, first 2 shown]
	v_mov_b32_e32 v9, v8
	v_mov_b32_e32 v8, v7
	;; [unrolled: 1-line block ×8, first 2 shown]
	s_and_b32 s18, s2, vcc_lo
	s_delay_alu instid0(SALU_CYCLE_1)
	s_and_saveexec_b32 s3, s18
	s_cbranch_execz .LBB53_10
; %bb.9:                                ;   in Loop: Header=BB53_3 Depth=1
	v_add_co_u32 v2, vcc_lo, v26, v18
	s_wait_alu 0xfffd
	v_add_co_ci_u32_e64 v3, null, v27, v19, vcc_lo
	v_add_co_u32 v4, vcc_lo, v28, v18
	s_wait_alu 0xfffd
	v_add_co_ci_u32_e64 v5, null, v29, v19, vcc_lo
	global_load_b32 v2, v[2:3], off
	global_load_b32 v10, v[4:5], off
	v_dual_mov_b32 v3, v1 :: v_dual_mov_b32 v4, v1
	v_dual_mov_b32 v5, v1 :: v_dual_mov_b32 v6, v1
	;; [unrolled: 1-line block ×6, first 2 shown]
	v_mov_b32_e32 v15, v1
	v_mov_b32_e32 v17, v1
.LBB53_10:                              ;   in Loop: Header=BB53_3 Depth=1
	s_wait_alu 0xfffe
	s_or_b32 exec_lo, exec_lo, s3
	v_add_co_u32 v63, vcc_lo, v20, 1
	s_wait_alu 0xfffd
	v_add_co_ci_u32_e64 v64, null, 0, v21, vcc_lo
	s_delay_alu instid0(VALU_DEP_1) | instskip(SKIP_1) | instid1(SALU_CYCLE_1)
	v_cmp_gt_i64_e32 vcc_lo, s[4:5], v[63:64]
	s_and_b32 s18, s2, vcc_lo
	s_and_saveexec_b32 s3, s18
	s_cbranch_execz .LBB53_12
; %bb.11:                               ;   in Loop: Header=BB53_3 Depth=1
	v_add_co_u32 v63, vcc_lo, v55, v18
	s_wait_alu 0xfffd
	v_add_co_ci_u32_e64 v64, null, v56, v19, vcc_lo
	v_add_co_u32 v65, vcc_lo, v57, v18
	s_wait_alu 0xfffd
	v_add_co_ci_u32_e64 v66, null, v58, v19, vcc_lo
	global_load_b32 v3, v[63:64], off
	global_load_b32 v11, v[65:66], off
.LBB53_12:                              ;   in Loop: Header=BB53_3 Depth=1
	s_wait_alu 0xfffe
	s_or_b32 exec_lo, exec_lo, s3
	v_add_co_u32 v63, vcc_lo, v20, 2
	s_wait_alu 0xfffd
	v_add_co_ci_u32_e64 v64, null, 0, v21, vcc_lo
	s_delay_alu instid0(VALU_DEP_1) | instskip(SKIP_1) | instid1(SALU_CYCLE_1)
	v_cmp_gt_i64_e32 vcc_lo, s[4:5], v[63:64]
	s_and_b32 s18, s2, vcc_lo
	s_and_saveexec_b32 s3, s18
	s_cbranch_execz .LBB53_14
; %bb.13:                               ;   in Loop: Header=BB53_3 Depth=1
	v_add_co_u32 v63, vcc_lo, v51, v18
	s_wait_alu 0xfffd
	v_add_co_ci_u32_e64 v64, null, v52, v19, vcc_lo
	v_add_co_u32 v65, vcc_lo, v53, v18
	s_wait_alu 0xfffd
	v_add_co_ci_u32_e64 v66, null, v54, v19, vcc_lo
	global_load_b32 v4, v[63:64], off
	global_load_b32 v12, v[65:66], off
.LBB53_14:                              ;   in Loop: Header=BB53_3 Depth=1
	;; [unrolled: 20-line block ×7, first 2 shown]
	s_wait_alu 0xfffe
	s_or_b32 exec_lo, exec_lo, s3
	s_wait_loadcnt 0x1
	ds_bpermute_b32 v59, v1, v61
	ds_bpermute_b32 v63, v1, v61 offset:4
	ds_bpermute_b32 v64, v1, v61 offset:8
	s_wait_loadcnt 0x0
	ds_bpermute_b32 v65, v1, v62
	ds_bpermute_b32 v66, v1, v61 offset:12
	ds_bpermute_b32 v67, v1, v62 offset:4
	;; [unrolled: 1-line block ×4, first 2 shown]
	v_add_f32_e32 v70, v50, v2
	ds_bpermute_b32 v72, v1, v61 offset:20
	ds_bpermute_b32 v71, v1, v62 offset:12
	s_mov_b32 s3, 0
	s_wait_dscnt 0x8
	v_sub_f32_e32 v11, v11, v63
	v_sub_f32_e32 v10, v10, v59
	s_wait_dscnt 0x7
	v_sub_f32_e32 v12, v12, v64
	ds_bpermute_b32 v63, v1, v61 offset:24
	ds_bpermute_b32 v64, v1, v62 offset:20
	v_mul_f32_e32 v11, v3, v11
	v_add_f32_e32 v3, v3, v70
	v_mul_f32_e32 v2, v2, v10
	ds_bpermute_b32 v10, v1, v62 offset:16
	v_add_f32_e32 v3, v4, v3
	s_wait_dscnt 0x9
	v_fma_f32 v59, v2, v65, v60
	s_wait_dscnt 0x8
	v_sub_f32_e32 v2, v13, v66
	ds_bpermute_b32 v65, v1, v62 offset:24
	ds_bpermute_b32 v62, v1, v62 offset:28
	s_wait_dscnt 0x9
	v_fmac_f32_e32 v59, v11, v67
	s_wait_dscnt 0x8
	v_sub_f32_e32 v11, v14, v68
	v_dual_mul_f32 v12, v4, v12 :: v_dual_mul_f32 v13, v5, v2
	s_wait_dscnt 0x6
	v_sub_f32_e32 v4, v15, v72
	ds_bpermute_b32 v2, v1, v61 offset:28
	v_mul_f32_e32 v11, v6, v11
	v_dual_fmac_f32 v59, v12, v69 :: v_dual_mul_f32 v4, v7, v4
	v_add_f32_e32 v3, v5, v3
	s_wait_dscnt 0x5
	v_sub_f32_e32 v5, v16, v63
	s_delay_alu instid0(VALU_DEP_3) | instskip(NEXT) | instid1(VALU_DEP_3)
	v_fmac_f32_e32 v59, v13, v71
	v_add_f32_e32 v3, v6, v3
	s_delay_alu instid0(VALU_DEP_3) | instskip(SKIP_1) | instid1(VALU_DEP_3)
	v_mul_f32_e32 v5, v8, v5
	s_wait_dscnt 0x3
	v_fmac_f32_e32 v59, v11, v10
	s_delay_alu instid0(VALU_DEP_3) | instskip(NEXT) | instid1(VALU_DEP_2)
	v_add_f32_e32 v3, v7, v3
	v_fmac_f32_e32 v59, v4, v64
	s_delay_alu instid0(VALU_DEP_2) | instskip(SKIP_1) | instid1(VALU_DEP_2)
	v_add_f32_e32 v3, v8, v3
	s_wait_dscnt 0x2
	v_fmac_f32_e32 v59, v5, v65
.LBB53_25:                              ;   in Loop: Header=BB53_3 Depth=1
	s_wait_alu 0xfffe
	s_and_b32 vcc_lo, exec_lo, s3
	s_wait_alu 0xfffe
	s_cbranch_vccz .LBB53_40
; %bb.26:                               ;   in Loop: Header=BB53_3 Depth=1
	s_load_b32 s3, s[20:21], 0x0
	v_mov_b32_e32 v59, 0
	v_mov_b32_e32 v61, 0
	s_wait_kmcnt 0x0
	s_cmp_lt_u32 ttmp9, s3
	s_cselect_b32 s18, 12, 18
	s_delay_alu instid0(SALU_CYCLE_1)
	s_add_nc_u64 s[34:35], s[20:21], s[18:19]
	s_load_u16 s3, s[34:35], 0x0
	s_wait_dscnt 0x0
	s_wait_kmcnt 0x0
	v_mad_u32_u24 v2, v22, s3, v24
	s_mov_b32 s3, exec_lo
	s_delay_alu instid0(VALU_DEP_1) | instskip(NEXT) | instid1(VALU_DEP_1)
	v_and_b32_e32 v2, 31, v2
	v_cmpx_gt_u32_e32 8, v2
	s_cbranch_execz .LBB53_30
; %bb.27:                               ;   in Loop: Header=BB53_3 Depth=1
	v_add_co_u32 v2, vcc_lo, v20, v2
	s_wait_alu 0xfffd
	v_add_co_ci_u32_e64 v3, null, 0, v21, vcc_lo
	v_mov_b32_e32 v59, 0
	v_mov_b32_e32 v61, 0
	s_mov_b32 s18, exec_lo
	s_delay_alu instid0(VALU_DEP_3)
	v_cmpx_gt_i64_e64 s[4:5], v[2:3]
	s_cbranch_execz .LBB53_29
; %bb.28:                               ;   in Loop: Header=BB53_3 Depth=1
	v_lshlrev_b64_e32 v[2:3], 2, v[2:3]
	s_delay_alu instid0(VALU_DEP_1) | instskip(SKIP_1) | instid1(VALU_DEP_2)
	v_add_co_u32 v4, vcc_lo, s12, v2
	s_wait_alu 0xfffd
	v_add_co_ci_u32_e64 v5, null, s13, v3, vcc_lo
	v_add_co_u32 v2, vcc_lo, s14, v2
	s_wait_alu 0xfffd
	v_add_co_ci_u32_e64 v3, null, s15, v3, vcc_lo
	global_load_b32 v59, v[4:5], off
	global_load_b32 v61, v[2:3], off
.LBB53_29:                              ;   in Loop: Header=BB53_3 Depth=1
	s_or_b32 exec_lo, exec_lo, s18
.LBB53_30:                              ;   in Loop: Header=BB53_3 Depth=1
	s_wait_alu 0xfffe
	s_or_b32 exec_lo, exec_lo, s3
	v_mov_b32_e32 v8, v1
	v_dual_mov_b32 v2, v1 :: v_dual_mov_b32 v3, v1
	v_dual_mov_b32 v4, v1 :: v_dual_mov_b32 v5, v1
	;; [unrolled: 1-line block ×3, first 2 shown]
	s_delay_alu instid0(VALU_DEP_4) | instskip(NEXT) | instid1(VALU_DEP_3)
	v_mov_b32_e32 v17, v8
	v_dual_mov_b32 v13, v4 :: v_dual_mov_b32 v12, v3
	s_delay_alu instid0(VALU_DEP_3) | instskip(NEXT) | instid1(VALU_DEP_4)
	v_dual_mov_b32 v15, v6 :: v_dual_mov_b32 v14, v5
	v_dual_mov_b32 v16, v7 :: v_dual_mov_b32 v11, v2
	;; [unrolled: 1-line block ×3, first 2 shown]
	v_mov_b32_e32 v8, v7
	v_mov_b32_e32 v7, v6
	;; [unrolled: 1-line block ×7, first 2 shown]
	s_and_saveexec_b32 s3, s2
	s_cbranch_execnz .LBB53_42
; %bb.31:                               ;   in Loop: Header=BB53_3 Depth=1
	s_wait_alu 0xfffe
	s_or_b32 exec_lo, exec_lo, s3
	s_and_saveexec_b32 s3, s2
	s_cbranch_execnz .LBB53_43
.LBB53_32:                              ;   in Loop: Header=BB53_3 Depth=1
	s_wait_alu 0xfffe
	s_or_b32 exec_lo, exec_lo, s3
	s_and_saveexec_b32 s3, s2
	s_cbranch_execnz .LBB53_44
.LBB53_33:                              ;   in Loop: Header=BB53_3 Depth=1
	s_wait_alu 0xfffe
	s_or_b32 exec_lo, exec_lo, s3
	s_and_saveexec_b32 s3, s2
	s_cbranch_execnz .LBB53_45
.LBB53_34:                              ;   in Loop: Header=BB53_3 Depth=1
	s_wait_alu 0xfffe
	s_or_b32 exec_lo, exec_lo, s3
	s_and_saveexec_b32 s3, s2
	s_cbranch_execnz .LBB53_46
.LBB53_35:                              ;   in Loop: Header=BB53_3 Depth=1
	s_wait_alu 0xfffe
	s_or_b32 exec_lo, exec_lo, s3
	s_and_saveexec_b32 s3, s2
	s_cbranch_execnz .LBB53_47
.LBB53_36:                              ;   in Loop: Header=BB53_3 Depth=1
	s_wait_alu 0xfffe
	s_or_b32 exec_lo, exec_lo, s3
	s_and_saveexec_b32 s3, s2
	s_cbranch_execnz .LBB53_48
.LBB53_37:                              ;   in Loop: Header=BB53_3 Depth=1
	s_wait_alu 0xfffe
	s_or_b32 exec_lo, exec_lo, s3
	s_and_saveexec_b32 s3, s2
	s_cbranch_execz .LBB53_39
.LBB53_38:                              ;   in Loop: Header=BB53_3 Depth=1
	v_add_co_u32 v20, vcc_lo, v30, v18
	s_wait_alu 0xfffd
	v_add_co_ci_u32_e64 v21, null, v31, v19, vcc_lo
	v_add_co_u32 v62, vcc_lo, v32, v18
	s_wait_alu 0xfffd
	v_add_co_ci_u32_e64 v63, null, v33, v19, vcc_lo
	global_load_b32 v9, v[20:21], off
	global_load_b32 v17, v[62:63], off
.LBB53_39:                              ;   in Loop: Header=BB53_3 Depth=1
	s_wait_alu 0xfffe
	s_or_b32 exec_lo, exec_lo, s3
	s_wait_loadcnt 0x1
	ds_bpermute_b32 v20, v1, v59
	ds_bpermute_b32 v21, v1, v59 offset:4
	ds_bpermute_b32 v62, v1, v59 offset:8
	s_wait_loadcnt 0x0
	ds_bpermute_b32 v63, v1, v61
	ds_bpermute_b32 v64, v1, v59 offset:12
	ds_bpermute_b32 v65, v1, v61 offset:4
	;; [unrolled: 1-line block ×5, first 2 shown]
	s_wait_dscnt 0x7
	v_dual_sub_f32 v10, v10, v20 :: v_dual_sub_f32 v11, v11, v21
	ds_bpermute_b32 v20, v1, v61 offset:12
	ds_bpermute_b32 v21, v1, v61 offset:16
	s_wait_dscnt 0x6
	v_dual_sub_f32 v13, v13, v64 :: v_dual_mul_f32 v10, v2, v10
	v_dual_mul_f32 v11, v3, v11 :: v_dual_add_f32 v2, v50, v2
	v_sub_f32_e32 v12, v12, v62
	ds_bpermute_b32 v50, v1, v61 offset:20
	v_fmac_f32_e32 v60, v10, v63
	ds_bpermute_b32 v10, v1, v59 offset:24
	v_add_f32_e32 v2, v3, v2
	ds_bpermute_b32 v62, v1, v61 offset:28
	s_wait_dscnt 0x7
	v_dual_sub_f32 v3, v14, v66 :: v_dual_fmac_f32 v60, v11, v65
	v_dual_mul_f32 v11, v5, v13 :: v_dual_mul_f32 v12, v4, v12
	s_wait_dscnt 0x5
	v_sub_f32_e32 v13, v15, v68
	s_delay_alu instid0(VALU_DEP_3) | instskip(NEXT) | instid1(VALU_DEP_3)
	v_mul_f32_e32 v3, v6, v3
	v_fmac_f32_e32 v60, v12, v67
	ds_bpermute_b32 v12, v1, v61 offset:24
	s_wait_dscnt 0x5
	v_fmac_f32_e32 v60, v11, v20
	s_wait_dscnt 0x2
	s_delay_alu instid0(VALU_DEP_1) | instskip(NEXT) | instid1(VALU_DEP_1)
	v_dual_fmac_f32 v60, v3, v21 :: v_dual_sub_f32 v3, v16, v10
	v_mul_f32_e32 v3, v8, v3
	v_add_f32_e32 v4, v4, v2
	ds_bpermute_b32 v2, v1, v59 offset:28
	v_dual_add_f32 v4, v5, v4 :: v_dual_mul_f32 v5, v7, v13
	s_delay_alu instid0(VALU_DEP_1) | instskip(SKIP_1) | instid1(VALU_DEP_1)
	v_fmac_f32_e32 v60, v5, v50
	s_wait_dscnt 0x1
	v_fmac_f32_e32 v60, v3, v12
	s_delay_alu instid0(VALU_DEP_1) | instskip(NEXT) | instid1(VALU_DEP_1)
	v_dual_mov_b32 v59, v60 :: v_dual_add_f32 v4, v6, v4
	v_add_f32_e32 v4, v7, v4
	s_delay_alu instid0(VALU_DEP_1)
	v_add_f32_e32 v3, v8, v4
.LBB53_40:                              ;   in Loop: Header=BB53_3 Depth=1
	v_add_co_u32 v26, vcc_lo, v26, s24
	s_wait_alu 0xfffd
	v_add_co_ci_u32_e64 v27, null, s25, v27, vcc_lo
	v_add_co_u32 v28, vcc_lo, v28, s24
	s_wait_alu 0xfffd
	v_add_co_ci_u32_e64 v29, null, s25, v29, vcc_lo
	;; [unrolled: 3-line block ×11, first 2 shown]
	v_add_co_u32 v48, vcc_lo, v48, s24
	s_wait_dscnt 0x0
	v_sub_f32_e32 v2, v17, v2
	s_wait_alu 0xfffd
	v_add_co_ci_u32_e64 v49, null, s25, v49, vcc_lo
	v_add_co_u32 v51, vcc_lo, v51, s24
	s_wait_alu 0xfffd
	v_add_co_ci_u32_e64 v52, null, s25, v52, vcc_lo
	v_add_co_u32 v53, vcc_lo, v53, s24
	;; [unrolled: 3-line block ×3, first 2 shown]
	s_add_nc_u64 s[28:29], s[28:29], s[22:23]
	v_mul_f32_e32 v2, v9, v2
	s_wait_alu 0xfffd
	v_add_co_ci_u32_e64 v56, null, s25, v56, vcc_lo
	v_add_co_u32 v57, vcc_lo, v57, s24
	s_wait_alu 0xfffe
	v_cmp_lt_i64_e64 s3, s[28:29], s[4:5]
	s_wait_alu 0xfffd
	v_add_co_ci_u32_e64 v58, null, s25, v58, vcc_lo
	v_add_co_u32 v23, vcc_lo, v23, s22
	v_dual_add_f32 v50, v3, v9 :: v_dual_fmac_f32 v59, v2, v62
	s_wait_alu 0xfffd
	v_add_co_ci_u32_e64 v25, null, 0, v25, vcc_lo
	s_and_b32 vcc_lo, exec_lo, s3
	s_add_nc_u64 s[26:27], s[26:27], s[22:23]
	s_wait_alu 0xfffe
	s_cbranch_vccz .LBB53_50
; %bb.41:                               ;   in Loop: Header=BB53_3 Depth=1
	v_mov_b32_e32 v60, v59
	s_branch .LBB53_3
.LBB53_42:                              ;   in Loop: Header=BB53_3 Depth=1
	v_add_co_u32 v2, vcc_lo, v26, v18
	s_wait_alu 0xfffd
	v_add_co_ci_u32_e64 v3, null, v27, v19, vcc_lo
	v_add_co_u32 v4, vcc_lo, v28, v18
	s_wait_alu 0xfffd
	v_add_co_ci_u32_e64 v5, null, v29, v19, vcc_lo
	global_load_b32 v2, v[2:3], off
	global_load_b32 v10, v[4:5], off
	v_dual_mov_b32 v3, v1 :: v_dual_mov_b32 v4, v1
	v_dual_mov_b32 v5, v1 :: v_dual_mov_b32 v6, v1
	;; [unrolled: 1-line block ×6, first 2 shown]
	v_mov_b32_e32 v15, v1
	v_mov_b32_e32 v17, v1
	s_wait_alu 0xfffe
	s_or_b32 exec_lo, exec_lo, s3
	s_and_saveexec_b32 s3, s2
	s_cbranch_execz .LBB53_32
.LBB53_43:                              ;   in Loop: Header=BB53_3 Depth=1
	v_add_co_u32 v20, vcc_lo, v55, v18
	s_wait_alu 0xfffd
	v_add_co_ci_u32_e64 v21, null, v56, v19, vcc_lo
	v_add_co_u32 v62, vcc_lo, v57, v18
	s_wait_alu 0xfffd
	v_add_co_ci_u32_e64 v63, null, v58, v19, vcc_lo
	global_load_b32 v3, v[20:21], off
	global_load_b32 v11, v[62:63], off
	s_wait_alu 0xfffe
	s_or_b32 exec_lo, exec_lo, s3
	s_and_saveexec_b32 s3, s2
	s_cbranch_execz .LBB53_33
.LBB53_44:                              ;   in Loop: Header=BB53_3 Depth=1
	v_add_co_u32 v20, vcc_lo, v51, v18
	s_wait_alu 0xfffd
	v_add_co_ci_u32_e64 v21, null, v52, v19, vcc_lo
	v_add_co_u32 v62, vcc_lo, v53, v18
	s_wait_alu 0xfffd
	v_add_co_ci_u32_e64 v63, null, v54, v19, vcc_lo
	global_load_b32 v4, v[20:21], off
	global_load_b32 v12, v[62:63], off
	s_wait_alu 0xfffe
	s_or_b32 exec_lo, exec_lo, s3
	s_and_saveexec_b32 s3, s2
	s_cbranch_execz .LBB53_34
.LBB53_45:                              ;   in Loop: Header=BB53_3 Depth=1
	v_add_co_u32 v20, vcc_lo, v46, v18
	s_wait_alu 0xfffd
	v_add_co_ci_u32_e64 v21, null, v47, v19, vcc_lo
	v_add_co_u32 v62, vcc_lo, v48, v18
	s_wait_alu 0xfffd
	v_add_co_ci_u32_e64 v63, null, v49, v19, vcc_lo
	global_load_b32 v5, v[20:21], off
	global_load_b32 v13, v[62:63], off
	s_wait_alu 0xfffe
	s_or_b32 exec_lo, exec_lo, s3
	s_and_saveexec_b32 s3, s2
	s_cbranch_execz .LBB53_35
.LBB53_46:                              ;   in Loop: Header=BB53_3 Depth=1
	v_add_co_u32 v20, vcc_lo, v42, v18
	s_wait_alu 0xfffd
	v_add_co_ci_u32_e64 v21, null, v43, v19, vcc_lo
	v_add_co_u32 v62, vcc_lo, v44, v18
	s_wait_alu 0xfffd
	v_add_co_ci_u32_e64 v63, null, v45, v19, vcc_lo
	global_load_b32 v6, v[20:21], off
	global_load_b32 v14, v[62:63], off
	s_wait_alu 0xfffe
	s_or_b32 exec_lo, exec_lo, s3
	s_and_saveexec_b32 s3, s2
	s_cbranch_execz .LBB53_36
.LBB53_47:                              ;   in Loop: Header=BB53_3 Depth=1
	v_add_co_u32 v20, vcc_lo, v38, v18
	s_wait_alu 0xfffd
	v_add_co_ci_u32_e64 v21, null, v39, v19, vcc_lo
	v_add_co_u32 v62, vcc_lo, v40, v18
	s_wait_alu 0xfffd
	v_add_co_ci_u32_e64 v63, null, v41, v19, vcc_lo
	global_load_b32 v7, v[20:21], off
	global_load_b32 v15, v[62:63], off
	s_wait_alu 0xfffe
	s_or_b32 exec_lo, exec_lo, s3
	s_and_saveexec_b32 s3, s2
	s_cbranch_execz .LBB53_37
.LBB53_48:                              ;   in Loop: Header=BB53_3 Depth=1
	v_add_co_u32 v20, vcc_lo, v34, v18
	s_wait_alu 0xfffd
	v_add_co_ci_u32_e64 v21, null, v35, v19, vcc_lo
	v_add_co_u32 v62, vcc_lo, v36, v18
	s_wait_alu 0xfffd
	v_add_co_ci_u32_e64 v63, null, v37, v19, vcc_lo
	global_load_b32 v8, v[20:21], off
	global_load_b32 v16, v[62:63], off
	s_wait_alu 0xfffe
	s_or_b32 exec_lo, exec_lo, s3
	s_and_saveexec_b32 s3, s2
	s_cbranch_execnz .LBB53_38
	s_branch .LBB53_39
.LBB53_49:
                                        ; implicit-def: $vgpr50
                                        ; implicit-def: $vgpr59
	s_branch .LBB53_51
.LBB53_50:
	s_cbranch_execnz .LBB53_82
.LBB53_51:
	v_dual_mov_b32 v50, 0 :: v_dual_mov_b32 v59, 0
	s_and_not1_b32 vcc_lo, exec_lo, s31
	s_wait_alu 0xfffe
	s_cbranch_vccnz .LBB53_82
; %bb.52:
	v_bfe_u32 v51, v0, 10, 10
	s_lshl_b64 s[22:23], s[16:17], 2
	s_mov_b32 s3, 0
	s_add_nc_u64 s[18:19], s[0:1], 64
	s_wait_alu 0xfffe
	s_mov_b32 s21, s3
	v_dual_mov_b32 v1, 0 :: v_dual_lshlrev_b32 v52, 3, v51
	v_and_b32_e32 v53, 0x3ff, v0
	v_lshlrev_b32_e32 v8, 5, v51
	s_delay_alu instid0(VALU_DEP_3) | instskip(SKIP_3) | instid1(VALU_DEP_3)
	v_add_co_u32 v10, s2, v52, s16
	s_wait_alu 0xf1ff
	v_add_co_ci_u32_e64 v11, null, 0, 0, s2
	v_mov_b32_e32 v5, v1
	v_mul_lo_u32 v6, s7, v10
	v_mad_co_u64_u32 v[2:3], null, s6, v10, 0
	s_delay_alu instid0(VALU_DEP_4) | instskip(SKIP_3) | instid1(VALU_DEP_1)
	v_mul_lo_u32 v7, s6, v11
	v_mov_b32_e32 v54, v1
	v_add_nc_u32_e32 v4, s30, v53
	s_load_b32 s2, s[0:1], 0x44
	v_lshlrev_b64_e32 v[18:19], 2, v[4:5]
	s_delay_alu instid0(VALU_DEP_4) | instskip(SKIP_1) | instid1(VALU_DEP_1)
	v_add3_u32 v3, v3, v7, v6
	v_add_co_u32 v6, s20, v8, s22
	v_add_co_ci_u32_e64 v7, null, 0, s23, s20
	s_delay_alu instid0(VALU_DEP_3) | instskip(NEXT) | instid1(VALU_DEP_3)
	v_lshlrev_b64_e32 v[4:5], 2, v[2:3]
	v_add_co_u32 v8, vcc_lo, v6, 4
	s_wait_alu 0xfffd
	s_delay_alu instid0(VALU_DEP_3) | instskip(NEXT) | instid1(VALU_DEP_3)
	v_add_co_ci_u32_e64 v9, null, 0, v7, vcc_lo
	v_add_co_u32 v55, vcc_lo, s8, v4
	s_wait_alu 0xfffd
	v_add_co_ci_u32_e64 v56, null, s9, v5, vcc_lo
	v_add_co_u32 v57, vcc_lo, s10, v4
	s_wait_alu 0xfffd
	;; [unrolled: 3-line block ×5, first 2 shown]
	v_add_co_ci_u32_e64 v28, null, 0, v7, vcc_lo
	v_add_co_u32 v42, vcc_lo, v6, 20
	v_mad_co_u64_u32 v[22:23], null, s6, v4, s[8:9]
	v_mul_lo_u32 v5, s6, v5
	v_mul_lo_u32 v15, s7, v4
	v_mad_co_u64_u32 v[36:37], null, s6, v4, s[10:11]
	s_wait_alu 0xfffd
	v_add_co_ci_u32_e64 v30, null, 0, v7, vcc_lo
	v_add_co_u32 v44, vcc_lo, v6, 24
	s_wait_alu 0xfffd
	v_add_co_ci_u32_e64 v32, null, 0, v7, vcc_lo
	v_add_co_u32 v6, vcc_lo, v6, 28
	v_mad_co_u64_u32 v[20:21], null, s6, v8, s[8:9]
	v_mul_lo_u32 v9, s6, v9
	v_mul_lo_u32 v12, s7, v8
	v_mad_co_u64_u32 v[34:35], null, s6, v8, s[10:11]
	s_wait_alu 0xfffd
	v_add_co_ci_u32_e64 v7, null, 0, v7, vcc_lo
	v_add_co_u32 v4, vcc_lo, v10, 7
	v_add3_u32 v23, v15, v23, v5
	v_add3_u32 v37, v15, v37, v5
	s_wait_alu 0xfffd
	v_add_co_ci_u32_e64 v5, null, 0, v11, vcc_lo
	v_mul_lo_u32 v62, s6, v7
	v_add_co_u32 v7, vcc_lo, v10, 6
	v_add3_u32 v21, v12, v21, v9
	v_add3_u32 v35, v12, v35, v9
	s_wait_alu 0xfffd
	v_add_co_ci_u32_e64 v12, null, 0, v11, vcc_lo
	v_mul_lo_u32 v8, s7, v4
	v_mul_lo_u32 v9, s6, v5
	v_mad_co_u64_u32 v[4:5], null, s6, v4, 0
	v_mad_co_u64_u32 v[24:25], null, s6, v13, s[8:9]
	v_mul_lo_u32 v17, s7, v13
	v_mul_lo_u32 v60, s6, v32
	v_mad_co_u64_u32 v[32:33], null, s6, v6, s[8:9]
	v_mul_lo_u32 v63, s7, v6
	v_mad_co_u64_u32 v[38:39], null, s6, v13, s[10:11]
	v_mad_co_u64_u32 v[46:47], null, s6, v6, s[10:11]
	v_mul_lo_u32 v13, s7, v7
	v_mul_lo_u32 v12, s6, v12
	v_mad_co_u64_u32 v[6:7], null, s6, v7, 0
	v_add3_u32 v5, v5, v9, v8
	v_add_co_u32 v8, vcc_lo, v10, 5
	v_mul_lo_u32 v50, s6, v30
	v_mad_co_u64_u32 v[30:31], null, s6, v44, s[8:9]
	v_mul_lo_u32 v61, s7, v44
	v_mad_co_u64_u32 v[44:45], null, s6, v44, s[10:11]
	s_wait_alu 0xfffd
	v_add_co_ci_u32_e64 v9, null, 0, v11, vcc_lo
	v_add3_u32 v7, v7, v12, v13
	v_lshlrev_b64_e32 v[4:5], 2, v[4:5]
	v_mul_lo_u32 v12, s7, v8
	s_delay_alu instid0(VALU_DEP_4)
	v_mul_lo_u32 v13, s6, v9
	v_mad_co_u64_u32 v[8:9], null, s6, v8, 0
	v_lshlrev_b64_e32 v[6:7], 2, v[6:7]
	v_add3_u32 v31, v61, v31, v60
	v_add3_u32 v45, v61, v45, v60
	v_add_co_u32 v60, vcc_lo, s8, v4
	v_add3_u32 v33, v63, v33, v62
	v_add3_u32 v47, v63, v47, v62
	s_wait_alu 0xfffd
	v_add_co_ci_u32_e64 v61, null, s9, v5, vcc_lo
	v_add_co_u32 v62, vcc_lo, s10, v4
	s_wait_alu 0xfffd
	v_add_co_ci_u32_e64 v63, null, s11, v5, vcc_lo
	v_add_co_u32 v64, vcc_lo, s8, v6
	v_mul_lo_u32 v14, s6, v14
	v_add3_u32 v9, v9, v13, v12
	s_wait_alu 0xfffd
	v_add_co_ci_u32_e64 v65, null, s9, v7, vcc_lo
	v_add_co_u32 v12, vcc_lo, v10, 4
	s_wait_kmcnt 0x0
	s_lshl_b32 s20, s2, 3
	v_add_co_u32 v66, s2, s10, v6
	s_wait_alu 0xfffd
	v_add_co_ci_u32_e64 v6, null, 0, v11, vcc_lo
	v_lshlrev_b64_e32 v[4:5], 2, v[8:9]
	v_add_co_u32 v8, vcc_lo, v10, 3
	s_wait_alu 0xfffd
	v_add_co_ci_u32_e64 v9, null, 0, v11, vcc_lo
	v_add3_u32 v25, v17, v25, v14
	v_add3_u32 v39, v17, v39, v14
	s_wait_alu 0xf1ff
	v_add_co_ci_u32_e64 v67, null, s11, v7, s2
	v_mul_lo_u32 v13, s7, v12
	v_mul_lo_u32 v14, s6, v6
	v_mad_co_u64_u32 v[6:7], null, s6, v12, 0
	v_mul_lo_u32 v12, s7, v8
	v_mul_lo_u32 v15, s6, v9
	v_mad_co_u64_u32 v[8:9], null, s6, v8, 0
	v_add_co_u32 v68, vcc_lo, s8, v4
	s_wait_alu 0xfffd
	v_add_co_ci_u32_e64 v69, null, s9, v5, vcc_lo
	v_add3_u32 v7, v7, v14, v13
	v_add_co_u32 v70, vcc_lo, s10, v4
	s_wait_alu 0xfffd
	v_add_co_ci_u32_e64 v71, null, s11, v5, vcc_lo
	v_add_co_u32 v10, vcc_lo, v10, 2
	v_add3_u32 v9, v9, v15, v12
	s_wait_alu 0xfffd
	v_add_co_ci_u32_e64 v11, null, 0, v11, vcc_lo
	v_lshlrev_b64_e32 v[4:5], 2, v[6:7]
	v_mul_lo_u32 v12, s7, v10
	v_lshlrev_b64_e32 v[6:7], 2, v[8:9]
	s_delay_alu instid0(VALU_DEP_4)
	v_mul_lo_u32 v11, s6, v11
	v_mad_co_u64_u32 v[8:9], null, s6, v10, 0
	v_add_co_u32 v72, vcc_lo, s8, v4
	s_wait_alu 0xfffd
	v_add_co_ci_u32_e64 v73, null, s9, v5, vcc_lo
	v_add_co_u32 v74, vcc_lo, s10, v4
	s_wait_alu 0xfffd
	v_add_co_ci_u32_e64 v75, null, s11, v5, vcc_lo
	;; [unrolled: 3-line block ×3, first 2 shown]
	v_add3_u32 v9, v9, v11, v12
	v_add_co_u32 v78, vcc_lo, s10, v6
	s_wait_alu 0xfffd
	v_add_co_ci_u32_e64 v79, null, s11, v7, vcc_lo
	v_add_co_u32 v2, vcc_lo, v2, s6
	s_wait_alu 0xfffd
	v_add_co_ci_u32_e64 v3, null, s7, v3, vcc_lo
	v_lshlrev_b64_e32 v[4:5], 2, v[8:9]
	v_mad_co_u64_u32 v[26:27], null, s6, v16, s[8:9]
	s_delay_alu instid0(VALU_DEP_3)
	v_lshlrev_b64_e32 v[2:3], 2, v[2:3]
	v_mul_lo_u32 v48, s6, v28
	v_mul_lo_u32 v49, s7, v16
	v_mad_co_u64_u32 v[28:29], null, s6, v42, s[8:9]
	v_mul_lo_u32 v59, s7, v42
	v_mad_co_u64_u32 v[40:41], null, s6, v16, s[10:11]
	v_mad_co_u64_u32 v[42:43], null, s6, v42, s[10:11]
	v_add_co_u32 v80, vcc_lo, s8, v4
	s_wait_alu 0xfffd
	v_add_co_ci_u32_e64 v81, null, s9, v5, vcc_lo
	v_add_co_u32 v82, vcc_lo, s10, v4
	s_wait_alu 0xfffd
	v_add_co_ci_u32_e64 v83, null, s11, v5, vcc_lo
	;; [unrolled: 3-line block ×3, first 2 shown]
	v_add_co_u32 v86, vcc_lo, s10, v2
	v_add3_u32 v27, v49, v27, v48
	v_add3_u32 v29, v59, v29, v50
	;; [unrolled: 1-line block ×4, first 2 shown]
	s_wait_alu 0xfffd
	v_add_co_ci_u32_e64 v87, null, s11, v3, vcc_lo
	v_dual_mov_b32 v59, 0 :: v_dual_mov_b32 v50, 0
	s_wait_alu 0xfffe
	s_mul_u64 s[22:23], s[6:7], s[20:21]
	s_mov_b64 s[10:11], 7
	s_wait_alu 0xfffe
	s_lshl_b64 s[8:9], s[22:23], 2
	s_mov_b64 s[22:23], s[16:17]
	s_branch .LBB53_56
.LBB53_53:                              ;   in Loop: Header=BB53_56 Depth=1
	s_wait_alu 0xfffe
	s_or_b32 exec_lo, exec_lo, s24
.LBB53_54:                              ;   in Loop: Header=BB53_56 Depth=1
	s_wait_alu 0xfffe
	s_or_b32 exec_lo, exec_lo, s2
	v_add_co_u32 v2, vcc_lo, v55, v18
	s_wait_alu 0xfffd
	v_add_co_ci_u32_e64 v3, null, v56, v19, vcc_lo
	s_wait_loadcnt 0x1
	ds_bpermute_b32 v89, v1, v4
	global_load_b32 v6, v[2:3], off
	v_add_co_u32 v2, vcc_lo, v57, v18
	s_wait_alu 0xfffd
	v_add_co_ci_u32_e64 v3, null, v58, v19, vcc_lo
	global_load_b32 v7, v[2:3], off
	v_add_co_u32 v2, vcc_lo, v20, v18
	s_wait_alu 0xfffd
	v_add_co_ci_u32_e64 v3, null, v21, v19, vcc_lo
	;; [unrolled: 4-line block ×15, first 2 shown]
	global_load_b32 v3, v[2:3], off
	s_wait_loadcnt 0x10
	ds_bpermute_b32 v2, v1, v5
	s_wait_loadcnt_dscnt 0xe01
	v_sub_f32_e32 v7, v7, v89
	s_delay_alu instid0(VALU_DEP_1) | instskip(SKIP_1) | instid1(VALU_DEP_1)
	v_mul_f32_e32 v7, v6, v7
	s_wait_dscnt 0x0
	v_fmac_f32_e32 v59, v7, v2
	ds_bpermute_b32 v7, v1, v4 offset:4
	v_add_f32_e32 v2, v50, v6
	ds_bpermute_b32 v6, v1, v5 offset:4
	s_wait_loadcnt 0xd
	v_add_f32_e32 v2, v2, v8
	s_wait_loadcnt 0xb
	s_delay_alu instid0(VALU_DEP_1) | instskip(SKIP_3) | instid1(VALU_DEP_1)
	v_add_f32_e32 v2, v2, v11
	s_wait_dscnt 0x1
	v_sub_f32_e32 v7, v10, v7
	s_wait_loadcnt 0x9
	v_dual_mul_f32 v7, v8, v7 :: v_dual_add_f32 v2, v2, v13
	s_wait_dscnt 0x0
	s_delay_alu instid0(VALU_DEP_1)
	v_fmac_f32_e32 v59, v7, v6
	ds_bpermute_b32 v7, v1, v4 offset:8
	ds_bpermute_b32 v6, v1, v5 offset:8
	s_wait_loadcnt 0x7
	v_add_f32_e32 v2, v2, v15
	s_wait_loadcnt_dscnt 0x501
	s_delay_alu instid0(VALU_DEP_1) | instskip(SKIP_1) | instid1(VALU_DEP_1)
	v_dual_sub_f32 v7, v12, v7 :: v_dual_add_f32 v2, v2, v17
	s_wait_loadcnt 0x3
	v_dual_mul_f32 v7, v11, v7 :: v_dual_add_f32 v2, v2, v49
	s_wait_dscnt 0x0
	s_delay_alu instid0(VALU_DEP_1) | instskip(SKIP_4) | instid1(VALU_DEP_1)
	v_fmac_f32_e32 v59, v7, v6
	ds_bpermute_b32 v7, v1, v4 offset:12
	ds_bpermute_b32 v6, v1, v5 offset:12
	s_wait_dscnt 0x1
	v_sub_f32_e32 v7, v14, v7
	v_mul_f32_e32 v7, v13, v7
	s_wait_dscnt 0x0
	s_delay_alu instid0(VALU_DEP_1) | instskip(SKIP_4) | instid1(VALU_DEP_1)
	v_fmac_f32_e32 v59, v7, v6
	ds_bpermute_b32 v7, v1, v4 offset:16
	ds_bpermute_b32 v6, v1, v5 offset:16
	s_wait_dscnt 0x1
	v_sub_f32_e32 v7, v16, v7
	v_mul_f32_e32 v7, v15, v7
	;; [unrolled: 8-line block ×3, first 2 shown]
	s_wait_dscnt 0x0
	s_delay_alu instid0(VALU_DEP_1)
	v_fmac_f32_e32 v59, v7, v6
	ds_bpermute_b32 v7, v1, v4 offset:24
	ds_bpermute_b32 v4, v1, v4 offset:28
	;; [unrolled: 1-line block ×4, first 2 shown]
	s_wait_loadcnt_dscnt 0x203
	v_sub_f32_e32 v7, v88, v7
	s_wait_loadcnt_dscnt 0x2
	v_sub_f32_e32 v3, v3, v4
	s_delay_alu instid0(VALU_DEP_2) | instskip(NEXT) | instid1(VALU_DEP_2)
	v_mul_f32_e32 v7, v49, v7
	v_mul_f32_e32 v3, v9, v3
	s_wait_dscnt 0x1
	s_delay_alu instid0(VALU_DEP_2) | instskip(SKIP_1) | instid1(VALU_DEP_2)
	v_fmac_f32_e32 v59, v7, v6
	s_wait_dscnt 0x0
	v_mul_f32_e32 v3, v3, v5
	s_delay_alu instid0(VALU_DEP_2)
	v_mov_b32_e32 v10, v59
.LBB53_55:                              ;   in Loop: Header=BB53_56 Depth=1
	v_add_co_u32 v55, vcc_lo, v55, s8
	s_wait_alu 0xfffd
	v_add_co_ci_u32_e64 v56, null, s9, v56, vcc_lo
	v_add_co_u32 v57, vcc_lo, v57, s8
	s_wait_alu 0xfffd
	v_add_co_ci_u32_e64 v58, null, s9, v58, vcc_lo
	;; [unrolled: 3-line block ×28, first 2 shown]
	v_add_co_u32 v82, vcc_lo, v82, s8
	s_add_nc_u64 s[22:23], s[22:23], s[20:21]
	s_wait_alu 0xfffd
	v_add_co_ci_u32_e64 v83, null, s9, v83, vcc_lo
	v_add_co_u32 v84, vcc_lo, v84, s8
	s_wait_alu 0xfffe
	v_cmp_ge_i64_e64 s2, s[22:23], s[4:5]
	s_wait_alu 0xfffd
	v_add_co_ci_u32_e64 v85, null, s9, v85, vcc_lo
	v_add_co_u32 v86, vcc_lo, v86, s8
	v_add_f32_e32 v59, v10, v3
	v_add_f32_e32 v50, v2, v9
	s_wait_alu 0xfffd
	v_add_co_ci_u32_e64 v87, null, s9, v87, vcc_lo
	s_and_b32 vcc_lo, exec_lo, s2
	s_add_nc_u64 s[10:11], s[10:11], s[20:21]
	s_wait_alu 0xfffe
	s_cbranch_vccnz .LBB53_82
.LBB53_56:                              ; =>This Inner Loop Header: Depth=1
	s_add_nc_u64 s[24:25], s[16:17], s[10:11]
	v_add_co_u32 v48, vcc_lo, s16, v52
	s_wait_alu 0xfffe
	v_cmp_ge_i64_e64 s2, s[24:25], s[4:5]
	s_wait_alu 0xfffd
	v_add_co_ci_u32_e64 v49, null, 0, v54, vcc_lo
                                        ; implicit-def: $vgpr9
                                        ; implicit-def: $vgpr3
                                        ; implicit-def: $vgpr2
                                        ; implicit-def: $vgpr10
	s_and_b32 vcc_lo, exec_lo, s2
	s_mov_b32 s2, -1
	s_wait_alu 0xfffe
	s_cbranch_vccz .LBB53_78
; %bb.57:                               ;   in Loop: Header=BB53_56 Depth=1
	s_load_b32 s2, s[18:19], 0xc
	v_dual_mov_b32 v88, 0 :: v_dual_mov_b32 v89, 0
	s_wait_kmcnt 0x0
	s_and_b32 s2, s2, 0xffff
	s_wait_alu 0xfffe
	v_mad_u32_u24 v2, v51, s2, v53
	s_mov_b32 s2, exec_lo
	s_delay_alu instid0(VALU_DEP_1) | instskip(NEXT) | instid1(VALU_DEP_1)
	v_and_b32_e32 v2, 31, v2
	v_cmpx_gt_u32_e32 8, v2
	s_cbranch_execz .LBB53_61
; %bb.58:                               ;   in Loop: Header=BB53_56 Depth=1
	v_add_co_u32 v2, vcc_lo, v48, v2
	s_wait_alu 0xfffd
	v_add_co_ci_u32_e64 v3, null, 0, v49, vcc_lo
	v_dual_mov_b32 v89, 0 :: v_dual_mov_b32 v88, 0
	s_mov_b32 s24, exec_lo
	s_delay_alu instid0(VALU_DEP_2)
	v_cmpx_gt_i64_e64 s[4:5], v[2:3]
	s_cbranch_execz .LBB53_60
; %bb.59:                               ;   in Loop: Header=BB53_56 Depth=1
	v_lshlrev_b64_e32 v[2:3], 2, v[2:3]
	s_delay_alu instid0(VALU_DEP_1) | instskip(SKIP_1) | instid1(VALU_DEP_2)
	v_add_co_u32 v4, vcc_lo, s12, v2
	s_wait_alu 0xfffd
	v_add_co_ci_u32_e64 v5, null, s13, v3, vcc_lo
	v_add_co_u32 v2, vcc_lo, s14, v2
	s_wait_alu 0xfffd
	v_add_co_ci_u32_e64 v3, null, s15, v3, vcc_lo
	global_load_b32 v89, v[4:5], off
	global_load_b32 v88, v[2:3], off
.LBB53_60:                              ;   in Loop: Header=BB53_56 Depth=1
	s_wait_alu 0xfffe
	s_or_b32 exec_lo, exec_lo, s24
.LBB53_61:                              ;   in Loop: Header=BB53_56 Depth=1
	s_wait_alu 0xfffe
	s_or_b32 exec_lo, exec_lo, s2
	v_mov_b32_e32 v8, v1
	v_dual_mov_b32 v2, v1 :: v_dual_mov_b32 v3, v1
	v_dual_mov_b32 v4, v1 :: v_dual_mov_b32 v5, v1
	;; [unrolled: 1-line block ×3, first 2 shown]
	s_delay_alu instid0(VALU_DEP_4) | instskip(NEXT) | instid1(VALU_DEP_3)
	v_mov_b32_e32 v17, v8
	v_dual_mov_b32 v13, v4 :: v_dual_mov_b32 v12, v3
	s_delay_alu instid0(VALU_DEP_3) | instskip(NEXT) | instid1(VALU_DEP_4)
	v_dual_mov_b32 v15, v6 :: v_dual_mov_b32 v14, v5
	v_dual_mov_b32 v16, v7 :: v_dual_mov_b32 v11, v2
	;; [unrolled: 1-line block ×3, first 2 shown]
	v_mov_b32_e32 v8, v7
	v_mov_b32_e32 v7, v6
	;; [unrolled: 1-line block ×7, first 2 shown]
	s_mov_b32 s2, exec_lo
	v_cmpx_gt_i64_e64 s[4:5], v[48:49]
	s_cbranch_execz .LBB53_63
; %bb.62:                               ;   in Loop: Header=BB53_56 Depth=1
	v_add_co_u32 v2, vcc_lo, v55, v18
	s_wait_alu 0xfffd
	v_add_co_ci_u32_e64 v3, null, v56, v19, vcc_lo
	v_add_co_u32 v4, vcc_lo, v57, v18
	s_wait_alu 0xfffd
	v_add_co_ci_u32_e64 v5, null, v58, v19, vcc_lo
	global_load_b32 v2, v[2:3], off
	global_load_b32 v10, v[4:5], off
	v_dual_mov_b32 v3, v1 :: v_dual_mov_b32 v4, v1
	v_dual_mov_b32 v5, v1 :: v_dual_mov_b32 v6, v1
	;; [unrolled: 1-line block ×6, first 2 shown]
	v_mov_b32_e32 v15, v1
	v_mov_b32_e32 v17, v1
.LBB53_63:                              ;   in Loop: Header=BB53_56 Depth=1
	s_wait_alu 0xfffe
	s_or_b32 exec_lo, exec_lo, s2
	v_add_co_u32 v90, vcc_lo, v48, 1
	s_wait_alu 0xfffd
	v_add_co_ci_u32_e64 v91, null, 0, v49, vcc_lo
	s_mov_b32 s2, exec_lo
	v_cmpx_gt_i64_e64 s[4:5], v[90:91]
	s_cbranch_execz .LBB53_65
; %bb.64:                               ;   in Loop: Header=BB53_56 Depth=1
	v_add_co_u32 v90, vcc_lo, v84, v18
	s_wait_alu 0xfffd
	v_add_co_ci_u32_e64 v91, null, v85, v19, vcc_lo
	v_add_co_u32 v92, vcc_lo, v86, v18
	s_wait_alu 0xfffd
	v_add_co_ci_u32_e64 v93, null, v87, v19, vcc_lo
	global_load_b32 v3, v[90:91], off
	global_load_b32 v11, v[92:93], off
.LBB53_65:                              ;   in Loop: Header=BB53_56 Depth=1
	s_wait_alu 0xfffe
	s_or_b32 exec_lo, exec_lo, s2
	v_add_co_u32 v90, vcc_lo, v48, 2
	s_wait_alu 0xfffd
	v_add_co_ci_u32_e64 v91, null, 0, v49, vcc_lo
	s_mov_b32 s2, exec_lo
	v_cmpx_gt_i64_e64 s[4:5], v[90:91]
	s_cbranch_execz .LBB53_67
; %bb.66:                               ;   in Loop: Header=BB53_56 Depth=1
	v_add_co_u32 v90, vcc_lo, v80, v18
	s_wait_alu 0xfffd
	v_add_co_ci_u32_e64 v91, null, v81, v19, vcc_lo
	v_add_co_u32 v92, vcc_lo, v82, v18
	s_wait_alu 0xfffd
	v_add_co_ci_u32_e64 v93, null, v83, v19, vcc_lo
	global_load_b32 v4, v[90:91], off
	global_load_b32 v12, v[92:93], off
.LBB53_67:                              ;   in Loop: Header=BB53_56 Depth=1
	;; [unrolled: 18-line block ×7, first 2 shown]
	s_wait_alu 0xfffe
	s_or_b32 exec_lo, exec_lo, s2
	s_wait_loadcnt 0x1
	ds_bpermute_b32 v90, v1, v89
	ds_bpermute_b32 v91, v1, v89 offset:4
	s_wait_loadcnt 0x0
	ds_bpermute_b32 v93, v1, v88
	v_add_f32_e32 v96, v50, v2
	ds_bpermute_b32 v92, v1, v89 offset:8
	ds_bpermute_b32 v94, v1, v89 offset:12
	;; [unrolled: 1-line block ×8, first 2 shown]
	s_mov_b32 s2, 0
	s_wait_dscnt 0x9
	v_dual_sub_f32 v11, v11, v91 :: v_dual_sub_f32 v10, v10, v90
	ds_bpermute_b32 v90, v1, v88 offset:12
	s_wait_dscnt 0x7
	v_dual_sub_f32 v12, v12, v92 :: v_dual_sub_f32 v13, v13, v94
	v_dual_mul_f32 v11, v3, v11 :: v_dual_mul_f32 v2, v2, v10
	v_add_f32_e32 v3, v3, v96
	ds_bpermute_b32 v91, v1, v88 offset:20
	v_dual_mul_f32 v12, v4, v12 :: v_dual_mul_f32 v13, v5, v13
	v_fma_f32 v10, v2, v93, v59
	ds_bpermute_b32 v2, v1, v89 offset:28
	s_wait_dscnt 0x7
	v_dual_add_f32 v3, v4, v3 :: v_dual_sub_f32 v4, v14, v97
	s_delay_alu instid0(VALU_DEP_1) | instskip(SKIP_1) | instid1(VALU_DEP_1)
	v_add_f32_e32 v3, v5, v3
	s_wait_dscnt 0x0
	v_dual_add_f32 v3, v6, v3 :: v_dual_sub_f32 v2, v17, v2
	v_fmac_f32_e32 v10, v11, v95
	ds_bpermute_b32 v11, v1, v88 offset:24
	v_fmac_f32_e32 v10, v12, v98
	ds_bpermute_b32 v12, v1, v88 offset:28
	v_dual_sub_f32 v5, v15, v100 :: v_dual_fmac_f32 v10, v13, v90
	s_delay_alu instid0(VALU_DEP_1) | instskip(SKIP_1) | instid1(VALU_DEP_2)
	v_dual_mul_f32 v4, v6, v4 :: v_dual_mul_f32 v5, v7, v5
	v_dual_sub_f32 v6, v16, v101 :: v_dual_add_f32 v3, v7, v3
	v_fmac_f32_e32 v10, v4, v99
	s_delay_alu instid0(VALU_DEP_2) | instskip(NEXT) | instid1(VALU_DEP_2)
	v_mul_f32_e32 v4, v8, v6
	v_fmac_f32_e32 v10, v5, v91
	s_delay_alu instid0(VALU_DEP_4) | instskip(SKIP_1) | instid1(VALU_DEP_1)
	v_dual_mul_f32 v5, v9, v2 :: v_dual_add_f32 v2, v8, v3
	s_wait_dscnt 0x0
	v_dual_fmac_f32 v10, v4, v11 :: v_dual_mul_f32 v3, v5, v12
.LBB53_78:                              ;   in Loop: Header=BB53_56 Depth=1
	s_wait_alu 0xfffe
	s_and_b32 vcc_lo, exec_lo, s2
	s_wait_alu 0xfffe
	s_cbranch_vccz .LBB53_55
; %bb.79:                               ;   in Loop: Header=BB53_56 Depth=1
	s_load_b32 s2, s[18:19], 0x0
	v_dual_mov_b32 v4, 0 :: v_dual_mov_b32 v5, 0
	s_wait_kmcnt 0x0
	s_cmp_lt_u32 ttmp9, s2
	s_cselect_b32 s2, 12, 18
	s_wait_alu 0xfffe
	s_add_nc_u64 s[24:25], s[18:19], s[2:3]
	s_load_u16 s2, s[24:25], 0x0
	s_wait_kmcnt 0x0
	v_mad_u32_u24 v2, v51, s2, v53
	s_mov_b32 s2, exec_lo
	s_delay_alu instid0(VALU_DEP_1) | instskip(NEXT) | instid1(VALU_DEP_1)
	v_and_b32_e32 v2, 31, v2
	v_cmpx_gt_u32_e32 8, v2
	s_cbranch_execz .LBB53_54
; %bb.80:                               ;   in Loop: Header=BB53_56 Depth=1
	v_add_co_u32 v2, vcc_lo, v48, v2
	s_wait_alu 0xfffd
	v_add_co_ci_u32_e64 v3, null, 0, v49, vcc_lo
	v_dual_mov_b32 v4, 0 :: v_dual_mov_b32 v5, 0
	s_mov_b32 s24, exec_lo
	s_delay_alu instid0(VALU_DEP_2)
	v_cmpx_gt_i64_e64 s[4:5], v[2:3]
	s_cbranch_execz .LBB53_53
; %bb.81:                               ;   in Loop: Header=BB53_56 Depth=1
	v_lshlrev_b64_e32 v[2:3], 2, v[2:3]
	s_delay_alu instid0(VALU_DEP_1) | instskip(SKIP_1) | instid1(VALU_DEP_2)
	v_add_co_u32 v4, vcc_lo, s12, v2
	s_wait_alu 0xfffd
	v_add_co_ci_u32_e64 v5, null, s13, v3, vcc_lo
	v_add_co_u32 v2, vcc_lo, s14, v2
	s_wait_alu 0xfffd
	v_add_co_ci_u32_e64 v3, null, s15, v3, vcc_lo
	global_load_b32 v4, v[4:5], off
	global_load_b32 v5, v[2:3], off
	s_branch .LBB53_53
.LBB53_82:
	s_mov_b32 s2, ttmp9
	s_mov_b32 s3, 0
	s_wait_alu 0xfffe
	s_lshl_b64 s[2:3], s[2:3], 6
	s_wait_alu 0xfffe
	v_and_or_b32 v4, 0x3ff, v0, s2
	v_mov_b32_e32 v5, s3
	s_mov_b32 s2, exec_lo
	s_delay_alu instid0(VALU_DEP_1)
	v_cmpx_gt_i64_e64 s[6:7], v[4:5]
	s_cbranch_execz .LBB53_87
; %bb.83:
	s_clause 0x1
	s_load_u16 s4, s[0:1], 0x4e
	s_load_b128 s[0:3], s[0:1], 0x30
	v_bfe_u32 v0, v0, 10, 10
	v_mov_b32_e32 v1, 0
	s_wait_kmcnt 0x0
	s_delay_alu instid0(VALU_DEP_1) | instskip(SKIP_2) | instid1(VALU_DEP_2)
	v_mad_co_u64_u32 v[2:3], null, s4, ttmp7, v[0:1]
	v_lshlrev_b64_e32 v[0:1], 2, v[4:5]
	s_cmp_eq_u64 s[0:1], 0
	v_mul_lo_u32 v3, v3, s6
	s_delay_alu instid0(VALU_DEP_3)
	v_mul_lo_u32 v6, v2, s7
	s_cbranch_scc1 .LBB53_85
; %bb.84:
	v_mad_co_u64_u32 v[4:5], null, v2, s6, 0
	s_delay_alu instid0(VALU_DEP_1) | instskip(NEXT) | instid1(VALU_DEP_1)
	v_add3_u32 v5, v5, v6, v3
	v_lshlrev_b64_e32 v[4:5], 2, v[4:5]
	s_delay_alu instid0(VALU_DEP_1) | instskip(SKIP_1) | instid1(VALU_DEP_2)
	v_add_co_u32 v4, vcc_lo, s0, v4
	s_wait_alu 0xfffd
	v_add_co_ci_u32_e64 v5, null, s1, v5, vcc_lo
	s_delay_alu instid0(VALU_DEP_2) | instskip(SKIP_1) | instid1(VALU_DEP_2)
	v_add_co_u32 v4, vcc_lo, v4, v0
	s_wait_alu 0xfffd
	v_add_co_ci_u32_e64 v5, null, v5, v1, vcc_lo
	global_store_b32 v[4:5], v59, off
.LBB53_85:
	s_cmp_eq_u64 s[2:3], 0
	s_cbranch_scc1 .LBB53_87
; %bb.86:
	v_mad_co_u64_u32 v[4:5], null, v2, s6, 0
	s_delay_alu instid0(VALU_DEP_1) | instskip(NEXT) | instid1(VALU_DEP_1)
	v_add3_u32 v5, v5, v6, v3
	v_lshlrev_b64_e32 v[2:3], 2, v[4:5]
	s_delay_alu instid0(VALU_DEP_1) | instskip(SKIP_1) | instid1(VALU_DEP_2)
	v_add_co_u32 v2, vcc_lo, s2, v2
	s_wait_alu 0xfffd
	v_add_co_ci_u32_e64 v3, null, s3, v3, vcc_lo
	s_delay_alu instid0(VALU_DEP_2) | instskip(SKIP_1) | instid1(VALU_DEP_2)
	v_add_co_u32 v0, vcc_lo, v2, v0
	s_wait_alu 0xfffd
	v_add_co_ci_u32_e64 v1, null, v3, v1, vcc_lo
	global_store_b32 v[0:1], v50, off
.LBB53_87:
	s_nop 0
	s_sendmsg sendmsg(MSG_DEALLOC_VGPRS)
	s_endpgm
	.section	.rodata,"a",@progbits
	.p2align	6, 0x0
	.amdhsa_kernel _ZN2at6native12_GLOBAL__N_135GammaBetaBackwardCUDAKernelTemplateIffLj64ELj1ELj8ELb1ELb0ELb0EEEvllPKT_S5_PKT0_S8_PS3_S9_
		.amdhsa_group_segment_fixed_size 0
		.amdhsa_private_segment_fixed_size 0
		.amdhsa_kernarg_size 320
		.amdhsa_user_sgpr_count 2
		.amdhsa_user_sgpr_dispatch_ptr 0
		.amdhsa_user_sgpr_queue_ptr 0
		.amdhsa_user_sgpr_kernarg_segment_ptr 1
		.amdhsa_user_sgpr_dispatch_id 0
		.amdhsa_user_sgpr_private_segment_size 0
		.amdhsa_wavefront_size32 1
		.amdhsa_uses_dynamic_stack 0
		.amdhsa_enable_private_segment 0
		.amdhsa_system_sgpr_workgroup_id_x 1
		.amdhsa_system_sgpr_workgroup_id_y 1
		.amdhsa_system_sgpr_workgroup_id_z 0
		.amdhsa_system_sgpr_workgroup_info 0
		.amdhsa_system_vgpr_workitem_id 1
		.amdhsa_next_free_vgpr 102
		.amdhsa_next_free_sgpr 36
		.amdhsa_reserve_vcc 1
		.amdhsa_float_round_mode_32 0
		.amdhsa_float_round_mode_16_64 0
		.amdhsa_float_denorm_mode_32 3
		.amdhsa_float_denorm_mode_16_64 3
		.amdhsa_fp16_overflow 0
		.amdhsa_workgroup_processor_mode 1
		.amdhsa_memory_ordered 1
		.amdhsa_forward_progress 1
		.amdhsa_inst_pref_size 74
		.amdhsa_round_robin_scheduling 0
		.amdhsa_exception_fp_ieee_invalid_op 0
		.amdhsa_exception_fp_denorm_src 0
		.amdhsa_exception_fp_ieee_div_zero 0
		.amdhsa_exception_fp_ieee_overflow 0
		.amdhsa_exception_fp_ieee_underflow 0
		.amdhsa_exception_fp_ieee_inexact 0
		.amdhsa_exception_int_div_zero 0
	.end_amdhsa_kernel
	.section	.text._ZN2at6native12_GLOBAL__N_135GammaBetaBackwardCUDAKernelTemplateIffLj64ELj1ELj8ELb1ELb0ELb0EEEvllPKT_S5_PKT0_S8_PS3_S9_,"axG",@progbits,_ZN2at6native12_GLOBAL__N_135GammaBetaBackwardCUDAKernelTemplateIffLj64ELj1ELj8ELb1ELb0ELb0EEEvllPKT_S5_PKT0_S8_PS3_S9_,comdat
.Lfunc_end53:
	.size	_ZN2at6native12_GLOBAL__N_135GammaBetaBackwardCUDAKernelTemplateIffLj64ELj1ELj8ELb1ELb0ELb0EEEvllPKT_S5_PKT0_S8_PS3_S9_, .Lfunc_end53-_ZN2at6native12_GLOBAL__N_135GammaBetaBackwardCUDAKernelTemplateIffLj64ELj1ELj8ELb1ELb0ELb0EEEvllPKT_S5_PKT0_S8_PS3_S9_
                                        ; -- End function
	.set _ZN2at6native12_GLOBAL__N_135GammaBetaBackwardCUDAKernelTemplateIffLj64ELj1ELj8ELb1ELb0ELb0EEEvllPKT_S5_PKT0_S8_PS3_S9_.num_vgpr, 102
	.set _ZN2at6native12_GLOBAL__N_135GammaBetaBackwardCUDAKernelTemplateIffLj64ELj1ELj8ELb1ELb0ELb0EEEvllPKT_S5_PKT0_S8_PS3_S9_.num_agpr, 0
	.set _ZN2at6native12_GLOBAL__N_135GammaBetaBackwardCUDAKernelTemplateIffLj64ELj1ELj8ELb1ELb0ELb0EEEvllPKT_S5_PKT0_S8_PS3_S9_.numbered_sgpr, 36
	.set _ZN2at6native12_GLOBAL__N_135GammaBetaBackwardCUDAKernelTemplateIffLj64ELj1ELj8ELb1ELb0ELb0EEEvllPKT_S5_PKT0_S8_PS3_S9_.num_named_barrier, 0
	.set _ZN2at6native12_GLOBAL__N_135GammaBetaBackwardCUDAKernelTemplateIffLj64ELj1ELj8ELb1ELb0ELb0EEEvllPKT_S5_PKT0_S8_PS3_S9_.private_seg_size, 0
	.set _ZN2at6native12_GLOBAL__N_135GammaBetaBackwardCUDAKernelTemplateIffLj64ELj1ELj8ELb1ELb0ELb0EEEvllPKT_S5_PKT0_S8_PS3_S9_.uses_vcc, 1
	.set _ZN2at6native12_GLOBAL__N_135GammaBetaBackwardCUDAKernelTemplateIffLj64ELj1ELj8ELb1ELb0ELb0EEEvllPKT_S5_PKT0_S8_PS3_S9_.uses_flat_scratch, 0
	.set _ZN2at6native12_GLOBAL__N_135GammaBetaBackwardCUDAKernelTemplateIffLj64ELj1ELj8ELb1ELb0ELb0EEEvllPKT_S5_PKT0_S8_PS3_S9_.has_dyn_sized_stack, 0
	.set _ZN2at6native12_GLOBAL__N_135GammaBetaBackwardCUDAKernelTemplateIffLj64ELj1ELj8ELb1ELb0ELb0EEEvllPKT_S5_PKT0_S8_PS3_S9_.has_recursion, 0
	.set _ZN2at6native12_GLOBAL__N_135GammaBetaBackwardCUDAKernelTemplateIffLj64ELj1ELj8ELb1ELb0ELb0EEEvllPKT_S5_PKT0_S8_PS3_S9_.has_indirect_call, 0
	.section	.AMDGPU.csdata,"",@progbits
; Kernel info:
; codeLenInByte = 9464
; TotalNumSgprs: 38
; NumVgprs: 102
; ScratchSize: 0
; MemoryBound: 0
; FloatMode: 240
; IeeeMode: 1
; LDSByteSize: 0 bytes/workgroup (compile time only)
; SGPRBlocks: 0
; VGPRBlocks: 12
; NumSGPRsForWavesPerEU: 38
; NumVGPRsForWavesPerEU: 102
; Occupancy: 12
; WaveLimiterHint : 0
; COMPUTE_PGM_RSRC2:SCRATCH_EN: 0
; COMPUTE_PGM_RSRC2:USER_SGPR: 2
; COMPUTE_PGM_RSRC2:TRAP_HANDLER: 0
; COMPUTE_PGM_RSRC2:TGID_X_EN: 1
; COMPUTE_PGM_RSRC2:TGID_Y_EN: 1
; COMPUTE_PGM_RSRC2:TGID_Z_EN: 0
; COMPUTE_PGM_RSRC2:TIDIG_COMP_CNT: 1
	.section	.text._ZN2at6native12_GLOBAL__N_135GammaBetaBackwardCUDAKernelTemplateIffLj64ELj8ELj64ELb0ELb1ELb0EEEvllPKT_S5_PKT0_S8_PS3_S9_,"axG",@progbits,_ZN2at6native12_GLOBAL__N_135GammaBetaBackwardCUDAKernelTemplateIffLj64ELj8ELj64ELb0ELb1ELb0EEEvllPKT_S5_PKT0_S8_PS3_S9_,comdat
	.globl	_ZN2at6native12_GLOBAL__N_135GammaBetaBackwardCUDAKernelTemplateIffLj64ELj8ELj64ELb0ELb1ELb0EEEvllPKT_S5_PKT0_S8_PS3_S9_ ; -- Begin function _ZN2at6native12_GLOBAL__N_135GammaBetaBackwardCUDAKernelTemplateIffLj64ELj8ELj64ELb0ELb1ELb0EEEvllPKT_S5_PKT0_S8_PS3_S9_
	.p2align	8
	.type	_ZN2at6native12_GLOBAL__N_135GammaBetaBackwardCUDAKernelTemplateIffLj64ELj8ELj64ELb0ELb1ELb0EEEvllPKT_S5_PKT0_S8_PS3_S9_,@function
_ZN2at6native12_GLOBAL__N_135GammaBetaBackwardCUDAKernelTemplateIffLj64ELj8ELj64ELb0ELb1ELb0EEEvllPKT_S5_PKT0_S8_PS3_S9_: ; @_ZN2at6native12_GLOBAL__N_135GammaBetaBackwardCUDAKernelTemplateIffLj64ELj8ELj64ELb0ELb1ELb0EEEvllPKT_S5_PKT0_S8_PS3_S9_
; %bb.0:
	s_load_b128 s[16:19], s[0:1], 0x0
	s_lshl_b32 s2, ttmp7, 6
	s_mov_b32 s3, 0
	v_bfe_u32 v7, v0, 10, 10
	s_wait_kmcnt 0x0
	v_cmp_gt_i64_e64 s4, s[16:17], s[2:3]
	s_and_b32 vcc_lo, exec_lo, s4
	s_cbranch_vccnz .LBB54_2
; %bb.1:
	v_bfe_u32 v1, v0, 10, 10
	s_mov_b32 s4, s3
	s_branch .LBB54_3
.LBB54_2:
	s_mov_b32 s4, -1
                                        ; implicit-def: $vgpr1
.LBB54_3:
	s_load_b128 s[12:15], s[0:1], 0x30
	v_dual_mov_b32 v17, 0 :: v_dual_and_b32 v6, 0x3ff, v0
	v_mov_b32_e32 v0, 0
	s_and_not1_b32 vcc_lo, exec_lo, s4
	s_cbranch_vccnz .LBB54_11
; %bb.4:
	s_load_b32 s20, s[0:1], 0x4c
	v_dual_mov_b32 v1, 0 :: v_dual_lshlrev_b32 v0, 3, v7
	s_clause 0x1
	s_load_b32 s22, s[0:1], 0x44
	s_load_b256 s[4:11], s[0:1], 0x10
	s_mov_b32 s21, 0
	v_dual_mov_b32 v8, 8 :: v_dual_mov_b32 v9, 4
	v_add_co_u32 v2, s0, v0, s2
	s_delay_alu instid0(VALU_DEP_1) | instskip(SKIP_1) | instid1(VALU_DEP_3)
	v_add_co_ci_u32_e64 v3, null, 0, 0, s0
	v_lshl_add_u32 v0, ttmp9, 6, v6
	v_mul_lo_u32 v14, s19, v2
	v_mad_co_u64_u32 v[4:5], null, s18, v2, 0
	s_delay_alu instid0(VALU_DEP_4) | instskip(NEXT) | instid1(VALU_DEP_4)
	v_mul_lo_u32 v17, s18, v3
	v_lshlrev_b64_e32 v[15:16], 2, v[0:1]
	v_dual_mov_b32 v10, 12 :: v_dual_mov_b32 v11, 16
	v_mov_b32_e32 v0, 0
	s_wait_kmcnt 0x0
	s_and_b32 s0, s20, 0xffff
	s_lshl_b32 s20, s22, 6
	s_wait_alu 0xfffe
	v_mad_u32_u24 v13, v7, s0, v6
	v_mov_b32_e32 v12, 20
	v_add3_u32 v5, v5, v17, v14
	s_mul_u64 s[24:25], s[18:19], s[20:21]
	s_delay_alu instid0(VALU_DEP_3) | instskip(SKIP_1) | instid1(VALU_DEP_3)
	v_dual_mov_b32 v14, 28 :: v_dual_and_b32 v19, 31, v13
	v_mov_b32_e32 v13, 24
	v_lshlrev_b64_e32 v[17:18], 2, v[4:5]
	s_lshl_b64 s[22:23], s[20:21], 2
	s_lshl_b64 s[24:25], s[24:25], 2
	v_add_co_u32 v2, vcc_lo, v2, v19
	s_delay_alu instid0(VALU_DEP_1) | instskip(NEXT) | instid1(VALU_DEP_3)
	v_add_co_ci_u32_e64 v3, null, 0, v3, vcc_lo
	v_add_co_u32 v15, vcc_lo, v17, v15
	v_cmp_gt_u32_e64 s0, 8, v19
	s_delay_alu instid0(VALU_DEP_3)
	v_lshlrev_b64_e32 v[4:5], 2, v[2:3]
	s_wait_alu 0xfffd
	v_add_co_ci_u32_e64 v16, null, v18, v16, vcc_lo
	v_mov_b32_e32 v17, 0
	s_lshl_b64 s[18:19], s[18:19], 2
	s_branch .LBB54_7
.LBB54_5:                               ;   in Loop: Header=BB54_7 Depth=1
	s_or_b32 exec_lo, exec_lo, s26
.LBB54_6:                               ;   in Loop: Header=BB54_7 Depth=1
	s_wait_alu 0xfffe
	s_or_b32 exec_lo, exec_lo, s1
	v_add_co_u32 v20, vcc_lo, s4, v15
	s_wait_alu 0xfffd
	v_add_co_ci_u32_e64 v21, null, s5, v16, vcc_lo
	v_add_co_u32 v22, vcc_lo, s6, v15
	s_wait_alu 0xfffd
	v_add_co_ci_u32_e64 v23, null, s7, v16, vcc_lo
	global_load_b32 v30, v[20:21], off
	v_add_co_u32 v20, vcc_lo, v20, s18
	s_wait_alu 0xfffd
	v_add_co_ci_u32_e64 v21, null, s19, v21, vcc_lo
	v_add_co_u32 v24, vcc_lo, v22, s18
	s_wait_alu 0xfffd
	v_add_co_ci_u32_e64 v25, null, s19, v23, vcc_lo
	;; [unrolled: 3-line block ×4, first 2 shown]
	global_load_b32 v31, v[22:23], off
	global_load_b32 v32, v[20:21], off
	;; [unrolled: 1-line block ×5, first 2 shown]
	v_add_co_u32 v20, vcc_lo, v28, s18
	s_wait_alu 0xfffd
	v_add_co_ci_u32_e64 v21, null, s19, v29, vcc_lo
	v_add_co_u32 v22, vcc_lo, v26, s18
	s_wait_alu 0xfffd
	v_add_co_ci_u32_e64 v23, null, s19, v27, vcc_lo
	global_load_b32 v36, v[20:21], off
	v_add_co_u32 v24, vcc_lo, v22, s18
	s_wait_alu 0xfffd
	v_add_co_ci_u32_e64 v25, null, s19, v23, vcc_lo
	v_add_co_u32 v20, vcc_lo, v20, s18
	s_wait_alu 0xfffd
	v_add_co_ci_u32_e64 v21, null, s19, v21, vcc_lo
	;; [unrolled: 3-line block ×4, first 2 shown]
	s_clause 0x1
	global_load_b32 v37, v[22:23], off
	global_load_b32 v24, v[24:25], off
	;; [unrolled: 1-line block ×5, first 2 shown]
	v_add_co_u32 v20, vcc_lo, v28, s18
	s_wait_alu 0xfffd
	v_add_co_ci_u32_e64 v21, null, s19, v29, vcc_lo
	v_add_co_u32 v22, vcc_lo, v26, s18
	s_wait_alu 0xfffd
	v_add_co_ci_u32_e64 v23, null, s19, v27, vcc_lo
	global_load_b32 v26, v[20:21], off
	v_add_co_u32 v20, vcc_lo, v20, s18
	s_wait_alu 0xfffd
	v_add_co_ci_u32_e64 v21, null, s19, v21, vcc_lo
	global_load_b32 v27, v[22:23], off
	global_load_b32 v28, v[20:21], off
	v_add_co_u32 v20, vcc_lo, v22, s18
	s_wait_alu 0xfffd
	v_add_co_ci_u32_e64 v21, null, s19, v23, vcc_lo
	s_wait_loadcnt 0x10
	ds_bpermute_b32 v22, v9, v19
	s_wait_loadcnt 0xf
	ds_bpermute_b32 v23, v1, v18
	ds_bpermute_b32 v29, v8, v19
	global_load_b32 v20, v[20:21], off
	ds_bpermute_b32 v21, v1, v19
	ds_bpermute_b32 v40, v9, v18
	;; [unrolled: 1-line block ×5, first 2 shown]
	v_add_co_u32 v4, vcc_lo, v4, s22
	s_add_nc_u64 s[2:3], s[2:3], s[20:21]
	s_wait_alu 0xfffd
	v_add_co_ci_u32_e64 v5, null, s23, v5, vcc_lo
	v_add_co_u32 v2, vcc_lo, v2, s20
	s_wait_alu 0xfffe
	v_cmp_lt_i64_e64 s1, s[2:3], s[16:17]
	s_wait_alu 0xfffd
	v_add_co_ci_u32_e64 v3, null, 0, v3, vcc_lo
	v_add_co_u32 v15, vcc_lo, v15, s24
	s_wait_alu 0xfffd
	v_add_co_ci_u32_e64 v16, null, s25, v16, vcc_lo
	s_and_b32 vcc_lo, exec_lo, s1
	s_wait_loadcnt 0xf
	v_add_f32_e32 v17, v17, v30
	s_wait_loadcnt_dscnt 0xe04
	v_sub_f32_e32 v21, v31, v21
	ds_bpermute_b32 v31, v8, v18
	s_wait_loadcnt 0xc
	v_sub_f32_e32 v22, v33, v22
	ds_bpermute_b32 v33, v10, v18
	v_mul_f32_e32 v21, v30, v21
	ds_bpermute_b32 v30, v12, v18
	v_dual_fmac_f32 v0, v21, v23 :: v_dual_mul_f32 v21, v32, v22
	s_wait_loadcnt 0xa
	v_sub_f32_e32 v22, v35, v29
	ds_bpermute_b32 v23, v11, v18
	ds_bpermute_b32 v29, v13, v19
	v_add_f32_e32 v17, v17, v32
	s_wait_dscnt 0x8
	v_dual_fmac_f32 v0, v21, v40 :: v_dual_mul_f32 v21, v34, v22
	s_wait_loadcnt_dscnt 0x907
	v_sub_f32_e32 v22, v36, v41
	ds_bpermute_b32 v19, v14, v19
	v_add_f32_e32 v17, v17, v34
	s_wait_dscnt 0x5
	v_fmac_f32_e32 v0, v21, v31
	s_wait_loadcnt 0x8
	v_mul_f32_e32 v21, v37, v22
	s_wait_loadcnt 0x6
	v_sub_f32_e32 v22, v25, v42
	ds_bpermute_b32 v25, v13, v18
	ds_bpermute_b32 v18, v14, v18
	s_wait_dscnt 0x6
	v_dual_fmac_f32 v0, v21, v33 :: v_dual_mul_f32 v21, v24, v22
	s_wait_loadcnt 0x4
	v_sub_f32_e32 v22, v39, v43
	s_wait_dscnt 0x4
	s_delay_alu instid0(VALU_DEP_1) | instskip(SKIP_2) | instid1(VALU_DEP_2)
	v_dual_fmac_f32 v0, v21, v23 :: v_dual_mul_f32 v21, v38, v22
	s_wait_loadcnt_dscnt 0x303
	v_sub_f32_e32 v22, v26, v29
	v_fmac_f32_e32 v0, v21, v30
	s_wait_loadcnt 0x2
	s_delay_alu instid0(VALU_DEP_2) | instskip(SKIP_1) | instid1(VALU_DEP_1)
	v_mul_f32_e32 v21, v27, v22
	s_wait_loadcnt_dscnt 0x101
	v_dual_sub_f32 v19, v28, v19 :: v_dual_fmac_f32 v0, v21, v25
	s_wait_loadcnt 0x0
	s_delay_alu instid0(VALU_DEP_1) | instskip(SKIP_1) | instid1(VALU_DEP_1)
	v_mul_f32_e32 v19, v20, v19
	s_wait_dscnt 0x0
	v_dual_add_f32 v17, v17, v37 :: v_dual_fmac_f32 v0, v19, v18
	s_delay_alu instid0(VALU_DEP_1) | instskip(NEXT) | instid1(VALU_DEP_1)
	v_add_f32_e32 v17, v17, v24
	v_add_f32_e32 v17, v17, v38
	s_delay_alu instid0(VALU_DEP_1) | instskip(NEXT) | instid1(VALU_DEP_1)
	v_add_f32_e32 v17, v17, v27
	v_add_f32_e32 v17, v17, v20
	s_wait_alu 0xfffe
	s_cbranch_vccz .LBB54_10
.LBB54_7:                               ; =>This Inner Loop Header: Depth=1
	v_dual_mov_b32 v18, 0 :: v_dual_mov_b32 v19, 0
	s_and_saveexec_b32 s1, s0
	s_cbranch_execz .LBB54_6
; %bb.8:                                ;   in Loop: Header=BB54_7 Depth=1
	v_dual_mov_b32 v19, 0 :: v_dual_mov_b32 v18, 0
	s_mov_b32 s26, exec_lo
	v_cmpx_gt_i64_e64 s[16:17], v[2:3]
	s_cbranch_execz .LBB54_5
; %bb.9:                                ;   in Loop: Header=BB54_7 Depth=1
	v_add_co_u32 v18, vcc_lo, s8, v4
	s_wait_alu 0xfffd
	v_add_co_ci_u32_e64 v19, null, s9, v5, vcc_lo
	v_add_co_u32 v20, vcc_lo, s10, v4
	s_wait_alu 0xfffd
	v_add_co_ci_u32_e64 v21, null, s11, v5, vcc_lo
	global_load_b32 v19, v[18:19], off
	global_load_b32 v18, v[20:21], off
	s_branch .LBB54_5
.LBB54_10:
	v_mov_b32_e32 v1, v7
.LBB54_11:
	s_delay_alu instid0(VALU_DEP_1) | instskip(SKIP_1) | instid1(VALU_DEP_1)
	v_mad_u32_u24 v2, 0x41, v1, v6
	s_mov_b32 s0, exec_lo
	v_lshl_add_u32 v4, v2, 2, 0
	v_sub_nc_u32_e32 v3, v2, v1
	ds_store_b32 v4, v0
	ds_store_b32 v4, v17 offset:2080
	s_wait_dscnt 0x0
	s_barrier_signal -1
	s_barrier_wait -1
	global_inv scope:SCOPE_SE
	v_cmpx_gt_u32_e32 0x800, v3
	s_cbranch_execz .LBB54_43
; %bb.12:
	v_and_b32_e32 v0, 31, v6
	v_lshrrev_b32_e32 v2, 5, v3
                                        ; implicit-def: $vgpr1
	s_delay_alu instid0(VALU_DEP_2)
	v_cmp_gt_u32_e64 s0, 8, v0
	v_mul_u32_u24_e32 v4, 0x41, v0
                                        ; implicit-def: $vgpr0
	s_wait_alu 0xfffe
	s_and_saveexec_b32 s1, s0
	s_cbranch_execz .LBB54_14
; %bb.13:
	s_delay_alu instid0(VALU_DEP_1) | instskip(NEXT) | instid1(VALU_DEP_1)
	v_add_nc_u32_e32 v0, v2, v4
	v_lshl_add_u32 v0, v0, 2, 0
	ds_load_b32 v1, v0
	ds_load_b32 v0, v0 offset:2080
.LBB54_14:
	s_wait_alu 0xfffe
	s_or_b32 exec_lo, exec_lo, s1
	v_mbcnt_lo_u32_b32 v8, -1, 0
	s_mov_b32 s2, ttmp9
	s_mov_b32 s3, 0
	v_cmp_eq_u32_e64 s1, 0, v6
	s_wait_alu 0xfffe
	s_lshl_b64 s[2:3], s[2:3], 6
	v_xor_b32_e32 v5, 4, v8
	v_xor_b32_e32 v7, 2, v8
	;; [unrolled: 1-line block ×3, first 2 shown]
	s_wait_kmcnt 0x0
	s_cmp_lg_u64 s[12:13], 0
	s_cselect_b32 s5, -1, 0
	v_cmp_gt_i32_e32 vcc_lo, 32, v5
	s_cmp_lg_u64 s[14:15], 0
	s_cselect_b32 s4, -1, 0
	s_wait_alu 0xfffd
	v_cndmask_b32_e32 v5, v8, v5, vcc_lo
	v_cmp_gt_i32_e32 vcc_lo, 32, v7
	s_wait_alu 0xfffd
	v_cndmask_b32_e32 v7, v8, v7, vcc_lo
	v_cmp_gt_i32_e32 vcc_lo, 32, v11
	s_wait_alu 0xfffd
	v_cndmask_b32_e32 v8, v8, v11, vcc_lo
	s_delay_alu instid0(VALU_DEP_1)
	v_lshlrev_b32_e32 v8, 2, v8
	v_lshlrev_b32_e32 v5, 2, v5
	s_wait_dscnt 0x0
	ds_bpermute_b32 v10, v5, v0
	s_wait_dscnt 0x0
	v_add_f32_e32 v0, v0, v10
	ds_bpermute_b32 v9, v5, v1
	v_lshlrev_b32_e32 v7, 2, v7
	ds_bpermute_b32 v10, v7, v0
	s_wait_dscnt 0x0
	v_dual_add_f32 v1, v1, v9 :: v_dual_add_f32 v0, v0, v10
	ds_bpermute_b32 v9, v7, v1
	ds_bpermute_b32 v10, v8, v0
	s_wait_dscnt 0x1
	v_add_f32_e32 v1, v1, v9
	ds_bpermute_b32 v9, v8, v1
	s_wait_dscnt 0x0
	v_dual_add_f32 v6, v1, v9 :: v_dual_add_f32 v9, v0, v10
	s_and_saveexec_b32 s6, s1
	s_cbranch_execz .LBB54_19
; %bb.15:
	s_wait_alu 0xfffe
	v_mov_b32_e32 v1, s3
	v_or_b32_e32 v0, s2, v2
	s_and_not1_b32 vcc_lo, exec_lo, s5
	s_delay_alu instid0(VALU_DEP_1)
	v_lshlrev_b64_e32 v[0:1], 2, v[0:1]
	s_wait_alu 0xfffe
	s_cbranch_vccnz .LBB54_17
; %bb.16:
	s_delay_alu instid0(VALU_DEP_1) | instskip(SKIP_1) | instid1(VALU_DEP_2)
	v_add_co_u32 v10, vcc_lo, s12, v0
	s_wait_alu 0xfffd
	v_add_co_ci_u32_e64 v11, null, s13, v1, vcc_lo
	global_store_b32 v[10:11], v6, off
.LBB54_17:
	s_and_not1_b32 vcc_lo, exec_lo, s4
	s_wait_alu 0xfffe
	s_cbranch_vccnz .LBB54_19
; %bb.18:
	v_add_co_u32 v0, vcc_lo, s14, v0
	s_wait_alu 0xfffd
	v_add_co_ci_u32_e64 v1, null, s15, v1, vcc_lo
	global_store_b32 v[0:1], v9, off
.LBB54_19:
	s_wait_alu 0xfffe
	s_or_b32 exec_lo, exec_lo, s6
	v_cmp_gt_u32_e32 vcc_lo, 0x600, v3
	s_and_b32 exec_lo, exec_lo, vcc_lo
	s_cbranch_execz .LBB54_43
; %bb.20:
	s_and_saveexec_b32 s6, s0
	s_cbranch_execz .LBB54_22
; %bb.21:
	v_add_nc_u32_e32 v0, v2, v4
	s_delay_alu instid0(VALU_DEP_1)
	v_lshl_add_u32 v0, v0, 2, 0
	ds_load_b32 v6, v0 offset:64
	ds_load_b32 v9, v0 offset:2144
.LBB54_22:
	s_wait_alu 0xfffe
	s_or_b32 exec_lo, exec_lo, s6
	s_wait_dscnt 0x1
	ds_bpermute_b32 v0, v5, v6
	s_wait_dscnt 0x1
	ds_bpermute_b32 v1, v5, v9
	s_wait_dscnt 0x0
	v_dual_add_f32 v0, v6, v0 :: v_dual_add_f32 v1, v9, v1
	ds_bpermute_b32 v6, v7, v0
	ds_bpermute_b32 v9, v7, v1
	s_wait_dscnt 0x0
	v_dual_add_f32 v0, v0, v6 :: v_dual_add_f32 v1, v1, v9
	ds_bpermute_b32 v6, v8, v0
	ds_bpermute_b32 v9, v8, v1
	s_wait_dscnt 0x0
	v_dual_add_f32 v0, v0, v6 :: v_dual_add_f32 v1, v1, v9
	s_and_saveexec_b32 s6, s1
	s_cbranch_execz .LBB54_27
; %bb.23:
	s_and_not1_b32 vcc_lo, exec_lo, s5
	s_wait_alu 0xfffe
	s_cbranch_vccnz .LBB54_25
; %bb.24:
	v_add_co_u32 v9, s7, s2, v2
	s_wait_alu 0xf1ff
	v_add_co_ci_u32_e64 v10, null, s3, 0, s7
	s_delay_alu instid0(VALU_DEP_1) | instskip(NEXT) | instid1(VALU_DEP_1)
	v_lshlrev_b64_e32 v[9:10], 2, v[9:10]
	v_add_co_u32 v9, vcc_lo, s12, v9
	s_wait_alu 0xfffd
	s_delay_alu instid0(VALU_DEP_2)
	v_add_co_ci_u32_e64 v10, null, s13, v10, vcc_lo
	global_store_b32 v[9:10], v0, off offset:64
.LBB54_25:
	s_and_not1_b32 vcc_lo, exec_lo, s4
	s_wait_alu 0xfffe
	s_cbranch_vccnz .LBB54_27
; %bb.26:
	v_add_co_u32 v9, s7, s2, v2
	s_wait_alu 0xf1ff
	v_add_co_ci_u32_e64 v10, null, s3, 0, s7
	s_delay_alu instid0(VALU_DEP_1) | instskip(NEXT) | instid1(VALU_DEP_1)
	v_lshlrev_b64_e32 v[9:10], 2, v[9:10]
	v_add_co_u32 v9, vcc_lo, s14, v9
	s_wait_alu 0xfffd
	s_delay_alu instid0(VALU_DEP_2)
	v_add_co_ci_u32_e64 v10, null, s15, v10, vcc_lo
	global_store_b32 v[9:10], v1, off offset:64
.LBB54_27:
	s_wait_alu 0xfffe
	s_or_b32 exec_lo, exec_lo, s6
	v_cmp_gt_u32_e32 vcc_lo, 0x400, v3
	s_and_b32 exec_lo, exec_lo, vcc_lo
	s_cbranch_execz .LBB54_43
; %bb.28:
	s_and_saveexec_b32 s6, s0
	s_cbranch_execz .LBB54_30
; %bb.29:
	v_add_nc_u32_e32 v0, v2, v4
	s_delay_alu instid0(VALU_DEP_1)
	v_lshl_add_u32 v1, v0, 2, 0
	ds_load_b32 v0, v1 offset:128
	ds_load_b32 v1, v1 offset:2208
.LBB54_30:
	s_wait_alu 0xfffe
	s_or_b32 exec_lo, exec_lo, s6
	s_wait_dscnt 0x1
	ds_bpermute_b32 v6, v5, v0
	s_wait_dscnt 0x1
	ds_bpermute_b32 v9, v5, v1
	s_wait_dscnt 0x0
	v_dual_add_f32 v0, v0, v6 :: v_dual_add_f32 v1, v1, v9
	ds_bpermute_b32 v6, v7, v0
	ds_bpermute_b32 v9, v7, v1
	s_wait_dscnt 0x0
	v_dual_add_f32 v0, v0, v6 :: v_dual_add_f32 v1, v1, v9
	ds_bpermute_b32 v6, v8, v0
	ds_bpermute_b32 v9, v8, v1
	s_wait_dscnt 0x0
	v_dual_add_f32 v0, v0, v6 :: v_dual_add_f32 v1, v1, v9
	s_and_saveexec_b32 s6, s1
	s_cbranch_execz .LBB54_35
; %bb.31:
	s_and_not1_b32 vcc_lo, exec_lo, s5
	s_wait_alu 0xfffe
	s_cbranch_vccnz .LBB54_33
; %bb.32:
	v_add_co_u32 v9, s7, s2, v2
	s_wait_alu 0xf1ff
	v_add_co_ci_u32_e64 v10, null, s3, 0, s7
	s_delay_alu instid0(VALU_DEP_1) | instskip(NEXT) | instid1(VALU_DEP_1)
	v_lshlrev_b64_e32 v[9:10], 2, v[9:10]
	v_add_co_u32 v9, vcc_lo, s12, v9
	s_wait_alu 0xfffd
	s_delay_alu instid0(VALU_DEP_2)
	v_add_co_ci_u32_e64 v10, null, s13, v10, vcc_lo
	global_store_b32 v[9:10], v0, off offset:128
.LBB54_33:
	s_and_not1_b32 vcc_lo, exec_lo, s4
	s_wait_alu 0xfffe
	s_cbranch_vccnz .LBB54_35
; %bb.34:
	v_add_co_u32 v9, s7, s2, v2
	s_wait_alu 0xf1ff
	v_add_co_ci_u32_e64 v10, null, s3, 0, s7
	s_delay_alu instid0(VALU_DEP_1) | instskip(NEXT) | instid1(VALU_DEP_1)
	v_lshlrev_b64_e32 v[9:10], 2, v[9:10]
	v_add_co_u32 v9, vcc_lo, s14, v9
	s_wait_alu 0xfffd
	s_delay_alu instid0(VALU_DEP_2)
	v_add_co_ci_u32_e64 v10, null, s15, v10, vcc_lo
	global_store_b32 v[9:10], v1, off offset:128
.LBB54_35:
	s_wait_alu 0xfffe
	s_or_b32 exec_lo, exec_lo, s6
	v_cmp_gt_u32_e32 vcc_lo, 0x200, v3
	s_and_b32 exec_lo, exec_lo, vcc_lo
	s_cbranch_execz .LBB54_43
; %bb.36:
	s_and_saveexec_b32 s6, s0
	s_cbranch_execz .LBB54_38
; %bb.37:
	v_add_nc_u32_e32 v0, v2, v4
	s_delay_alu instid0(VALU_DEP_1)
	v_lshl_add_u32 v1, v0, 2, 0
	ds_load_b32 v0, v1 offset:192
	ds_load_b32 v1, v1 offset:2272
.LBB54_38:
	s_wait_alu 0xfffe
	s_or_b32 exec_lo, exec_lo, s6
	s_wait_dscnt 0x1
	ds_bpermute_b32 v3, v5, v0
	s_wait_dscnt 0x1
	ds_bpermute_b32 v4, v5, v1
	s_wait_dscnt 0x0
	v_dual_add_f32 v0, v0, v3 :: v_dual_add_f32 v1, v1, v4
	ds_bpermute_b32 v3, v7, v0
	ds_bpermute_b32 v4, v7, v1
	s_wait_dscnt 0x0
	v_dual_add_f32 v3, v0, v3 :: v_dual_add_f32 v0, v1, v4
	ds_bpermute_b32 v4, v8, v3
	ds_bpermute_b32 v1, v8, v0
	s_and_b32 exec_lo, exec_lo, s1
	s_cbranch_execz .LBB54_43
; %bb.39:
	s_and_not1_b32 vcc_lo, exec_lo, s5
	s_wait_alu 0xfffe
	s_cbranch_vccnz .LBB54_41
; %bb.40:
	v_add_co_u32 v5, s0, s2, v2
	s_wait_alu 0xf1ff
	v_add_co_ci_u32_e64 v6, null, s3, 0, s0
	s_wait_dscnt 0x1
	v_add_f32_e32 v7, v3, v4
	s_delay_alu instid0(VALU_DEP_2) | instskip(NEXT) | instid1(VALU_DEP_1)
	v_lshlrev_b64_e32 v[5:6], 2, v[5:6]
	v_add_co_u32 v3, vcc_lo, s12, v5
	s_wait_alu 0xfffd
	s_delay_alu instid0(VALU_DEP_2)
	v_add_co_ci_u32_e64 v4, null, s13, v6, vcc_lo
	global_store_b32 v[3:4], v7, off offset:192
.LBB54_41:
	s_and_not1_b32 vcc_lo, exec_lo, s4
	s_wait_alu 0xfffe
	s_cbranch_vccnz .LBB54_43
; %bb.42:
	v_add_co_u32 v2, s0, s2, v2
	s_wait_alu 0xf1ff
	v_add_co_ci_u32_e64 v3, null, s3, 0, s0
	s_wait_dscnt 0x0
	v_add_f32_e32 v4, v0, v1
	s_delay_alu instid0(VALU_DEP_2) | instskip(NEXT) | instid1(VALU_DEP_1)
	v_lshlrev_b64_e32 v[2:3], 2, v[2:3]
	v_add_co_u32 v0, vcc_lo, s14, v2
	s_wait_alu 0xfffd
	s_delay_alu instid0(VALU_DEP_2)
	v_add_co_ci_u32_e64 v1, null, s15, v3, vcc_lo
	global_store_b32 v[0:1], v4, off offset:192
.LBB54_43:
	s_endpgm
	.section	.rodata,"a",@progbits
	.p2align	6, 0x0
	.amdhsa_kernel _ZN2at6native12_GLOBAL__N_135GammaBetaBackwardCUDAKernelTemplateIffLj64ELj8ELj64ELb0ELb1ELb0EEEvllPKT_S5_PKT0_S8_PS3_S9_
		.amdhsa_group_segment_fixed_size 0
		.amdhsa_private_segment_fixed_size 0
		.amdhsa_kernarg_size 320
		.amdhsa_user_sgpr_count 2
		.amdhsa_user_sgpr_dispatch_ptr 0
		.amdhsa_user_sgpr_queue_ptr 0
		.amdhsa_user_sgpr_kernarg_segment_ptr 1
		.amdhsa_user_sgpr_dispatch_id 0
		.amdhsa_user_sgpr_private_segment_size 0
		.amdhsa_wavefront_size32 1
		.amdhsa_uses_dynamic_stack 0
		.amdhsa_enable_private_segment 0
		.amdhsa_system_sgpr_workgroup_id_x 1
		.amdhsa_system_sgpr_workgroup_id_y 1
		.amdhsa_system_sgpr_workgroup_id_z 0
		.amdhsa_system_sgpr_workgroup_info 0
		.amdhsa_system_vgpr_workitem_id 1
		.amdhsa_next_free_vgpr 44
		.amdhsa_next_free_sgpr 27
		.amdhsa_reserve_vcc 1
		.amdhsa_float_round_mode_32 0
		.amdhsa_float_round_mode_16_64 0
		.amdhsa_float_denorm_mode_32 3
		.amdhsa_float_denorm_mode_16_64 3
		.amdhsa_fp16_overflow 0
		.amdhsa_workgroup_processor_mode 1
		.amdhsa_memory_ordered 1
		.amdhsa_forward_progress 1
		.amdhsa_inst_pref_size 23
		.amdhsa_round_robin_scheduling 0
		.amdhsa_exception_fp_ieee_invalid_op 0
		.amdhsa_exception_fp_denorm_src 0
		.amdhsa_exception_fp_ieee_div_zero 0
		.amdhsa_exception_fp_ieee_overflow 0
		.amdhsa_exception_fp_ieee_underflow 0
		.amdhsa_exception_fp_ieee_inexact 0
		.amdhsa_exception_int_div_zero 0
	.end_amdhsa_kernel
	.section	.text._ZN2at6native12_GLOBAL__N_135GammaBetaBackwardCUDAKernelTemplateIffLj64ELj8ELj64ELb0ELb1ELb0EEEvllPKT_S5_PKT0_S8_PS3_S9_,"axG",@progbits,_ZN2at6native12_GLOBAL__N_135GammaBetaBackwardCUDAKernelTemplateIffLj64ELj8ELj64ELb0ELb1ELb0EEEvllPKT_S5_PKT0_S8_PS3_S9_,comdat
.Lfunc_end54:
	.size	_ZN2at6native12_GLOBAL__N_135GammaBetaBackwardCUDAKernelTemplateIffLj64ELj8ELj64ELb0ELb1ELb0EEEvllPKT_S5_PKT0_S8_PS3_S9_, .Lfunc_end54-_ZN2at6native12_GLOBAL__N_135GammaBetaBackwardCUDAKernelTemplateIffLj64ELj8ELj64ELb0ELb1ELb0EEEvllPKT_S5_PKT0_S8_PS3_S9_
                                        ; -- End function
	.set _ZN2at6native12_GLOBAL__N_135GammaBetaBackwardCUDAKernelTemplateIffLj64ELj8ELj64ELb0ELb1ELb0EEEvllPKT_S5_PKT0_S8_PS3_S9_.num_vgpr, 44
	.set _ZN2at6native12_GLOBAL__N_135GammaBetaBackwardCUDAKernelTemplateIffLj64ELj8ELj64ELb0ELb1ELb0EEEvllPKT_S5_PKT0_S8_PS3_S9_.num_agpr, 0
	.set _ZN2at6native12_GLOBAL__N_135GammaBetaBackwardCUDAKernelTemplateIffLj64ELj8ELj64ELb0ELb1ELb0EEEvllPKT_S5_PKT0_S8_PS3_S9_.numbered_sgpr, 27
	.set _ZN2at6native12_GLOBAL__N_135GammaBetaBackwardCUDAKernelTemplateIffLj64ELj8ELj64ELb0ELb1ELb0EEEvllPKT_S5_PKT0_S8_PS3_S9_.num_named_barrier, 0
	.set _ZN2at6native12_GLOBAL__N_135GammaBetaBackwardCUDAKernelTemplateIffLj64ELj8ELj64ELb0ELb1ELb0EEEvllPKT_S5_PKT0_S8_PS3_S9_.private_seg_size, 0
	.set _ZN2at6native12_GLOBAL__N_135GammaBetaBackwardCUDAKernelTemplateIffLj64ELj8ELj64ELb0ELb1ELb0EEEvllPKT_S5_PKT0_S8_PS3_S9_.uses_vcc, 1
	.set _ZN2at6native12_GLOBAL__N_135GammaBetaBackwardCUDAKernelTemplateIffLj64ELj8ELj64ELb0ELb1ELb0EEEvllPKT_S5_PKT0_S8_PS3_S9_.uses_flat_scratch, 0
	.set _ZN2at6native12_GLOBAL__N_135GammaBetaBackwardCUDAKernelTemplateIffLj64ELj8ELj64ELb0ELb1ELb0EEEvllPKT_S5_PKT0_S8_PS3_S9_.has_dyn_sized_stack, 0
	.set _ZN2at6native12_GLOBAL__N_135GammaBetaBackwardCUDAKernelTemplateIffLj64ELj8ELj64ELb0ELb1ELb0EEEvllPKT_S5_PKT0_S8_PS3_S9_.has_recursion, 0
	.set _ZN2at6native12_GLOBAL__N_135GammaBetaBackwardCUDAKernelTemplateIffLj64ELj8ELj64ELb0ELb1ELb0EEEvllPKT_S5_PKT0_S8_PS3_S9_.has_indirect_call, 0
	.section	.AMDGPU.csdata,"",@progbits
; Kernel info:
; codeLenInByte = 2908
; TotalNumSgprs: 29
; NumVgprs: 44
; ScratchSize: 0
; MemoryBound: 0
; FloatMode: 240
; IeeeMode: 1
; LDSByteSize: 0 bytes/workgroup (compile time only)
; SGPRBlocks: 0
; VGPRBlocks: 5
; NumSGPRsForWavesPerEU: 29
; NumVGPRsForWavesPerEU: 44
; Occupancy: 16
; WaveLimiterHint : 0
; COMPUTE_PGM_RSRC2:SCRATCH_EN: 0
; COMPUTE_PGM_RSRC2:USER_SGPR: 2
; COMPUTE_PGM_RSRC2:TRAP_HANDLER: 0
; COMPUTE_PGM_RSRC2:TGID_X_EN: 1
; COMPUTE_PGM_RSRC2:TGID_Y_EN: 1
; COMPUTE_PGM_RSRC2:TGID_Z_EN: 0
; COMPUTE_PGM_RSRC2:TIDIG_COMP_CNT: 1
	.section	.text._ZN2at6native12_GLOBAL__N_135GammaBetaBackwardCUDAKernelTemplateIffLj64ELj8ELj64ELb0ELb0ELb0EEEvllPKT_S5_PKT0_S8_PS3_S9_,"axG",@progbits,_ZN2at6native12_GLOBAL__N_135GammaBetaBackwardCUDAKernelTemplateIffLj64ELj8ELj64ELb0ELb0ELb0EEEvllPKT_S5_PKT0_S8_PS3_S9_,comdat
	.globl	_ZN2at6native12_GLOBAL__N_135GammaBetaBackwardCUDAKernelTemplateIffLj64ELj8ELj64ELb0ELb0ELb0EEEvllPKT_S5_PKT0_S8_PS3_S9_ ; -- Begin function _ZN2at6native12_GLOBAL__N_135GammaBetaBackwardCUDAKernelTemplateIffLj64ELj8ELj64ELb0ELb0ELb0EEEvllPKT_S5_PKT0_S8_PS3_S9_
	.p2align	8
	.type	_ZN2at6native12_GLOBAL__N_135GammaBetaBackwardCUDAKernelTemplateIffLj64ELj8ELj64ELb0ELb0ELb0EEEvllPKT_S5_PKT0_S8_PS3_S9_,@function
_ZN2at6native12_GLOBAL__N_135GammaBetaBackwardCUDAKernelTemplateIffLj64ELj8ELj64ELb0ELb0ELb0EEEvllPKT_S5_PKT0_S8_PS3_S9_: ; @_ZN2at6native12_GLOBAL__N_135GammaBetaBackwardCUDAKernelTemplateIffLj64ELj8ELj64ELb0ELb0ELb0EEEvllPKT_S5_PKT0_S8_PS3_S9_
; %bb.0:
	s_clause 0x1
	s_load_b256 s[4:11], s[0:1], 0x0
	s_load_b128 s[12:15], s[0:1], 0x20
	s_lshl_b32 s30, ttmp9, 6
	s_mov_b32 s17, 0
	s_or_b32 s16, s30, 63
	s_wait_kmcnt 0x0
	v_cmp_le_i64_e64 s2, s[6:7], s[16:17]
	s_lshl_b32 s16, ttmp7, 6
	s_wait_alu 0xfffe
	v_cmp_gt_i64_e64 s31, s[4:5], s[16:17]
	s_and_b32 vcc_lo, exec_lo, s2
	v_cndmask_b32_e64 v1, 0, 1, s31
	s_delay_alu instid0(VALU_DEP_1)
	v_cmp_ne_u32_e64 s2, 1, v1
	s_cbranch_vccz .LBB55_49
; %bb.1:
	v_mov_b32_e32 v48, 0
	v_mov_b32_e32 v56, 0
	s_and_b32 vcc_lo, exec_lo, s2
	s_cbranch_vccnz .LBB55_50
; %bb.2:
	v_bfe_u32 v20, v0, 10, 10
	v_dual_mov_b32 v1, 0 :: v_dual_and_b32 v22, 0x3ff, v0
	s_load_b32 s3, s[0:1], 0x44
	s_mov_b32 s19, 0
	s_delay_alu instid0(VALU_DEP_2) | instskip(NEXT) | instid1(VALU_DEP_2)
	v_dual_mov_b32 v48, 0 :: v_dual_lshlrev_b32 v21, 3, v20
	v_dual_mov_b32 v3, v1 :: v_dual_add_nc_u32 v2, s30, v22
	s_mov_b32 s23, s19
	s_delay_alu instid0(VALU_DEP_2) | instskip(NEXT) | instid1(VALU_DEP_1)
	v_add_co_u32 v10, s2, v21, s16
	v_add_co_ci_u32_e64 v11, null, 0, 0, s2
	s_delay_alu instid0(VALU_DEP_3) | instskip(NEXT) | instid1(VALU_DEP_3)
	v_cmp_gt_i64_e64 s2, s[6:7], v[2:3]
	v_mul_lo_u32 v6, s7, v10
	v_mad_co_u64_u32 v[4:5], null, s6, v10, 0
	s_delay_alu instid0(VALU_DEP_4) | instskip(SKIP_1) | instid1(VALU_DEP_1)
	v_mul_lo_u32 v7, s6, v11
	v_add_co_u32 v8, vcc_lo, v10, 7
	v_add_co_ci_u32_e64 v9, null, 0, v11, vcc_lo
	v_lshlrev_b64_e32 v[18:19], 2, v[2:3]
	s_delay_alu instid0(VALU_DEP_3)
	v_mul_lo_u32 v12, s7, v8
	s_wait_kmcnt 0x0
	s_lshl_b32 s22, s3, 6
	v_add3_u32 v5, v5, v7, v6
	v_mad_co_u64_u32 v[6:7], null, s6, v8, 0
	v_add_co_u32 v8, vcc_lo, v10, 6
	v_mul_lo_u32 v13, s6, v9
	s_wait_alu 0xfffd
	v_add_co_ci_u32_e64 v9, null, 0, v11, vcc_lo
	v_lshlrev_b64_e32 v[2:3], 2, v[4:5]
	v_mul_lo_u32 v14, s7, v8
	v_mov_b32_e32 v57, 0
	s_delay_alu instid0(VALU_DEP_4)
	v_mul_lo_u32 v15, s6, v9
	v_mad_co_u64_u32 v[8:9], null, s6, v8, 0
	v_add_co_u32 v23, vcc_lo, s8, v2
	s_wait_alu 0xfffd
	v_add_co_ci_u32_e64 v24, null, s9, v3, vcc_lo
	v_add_co_u32 v25, vcc_lo, s10, v2
	v_add3_u32 v7, v7, v13, v12
	s_wait_alu 0xfffd
	v_add_co_ci_u32_e64 v26, null, s11, v3, vcc_lo
	v_add_co_u32 v12, vcc_lo, v10, 5
	v_add3_u32 v9, v9, v15, v14
	s_wait_alu 0xfffd
	v_add_co_ci_u32_e64 v13, null, 0, v11, vcc_lo
	v_lshlrev_b64_e32 v[2:3], 2, v[6:7]
	v_mul_lo_u32 v14, s7, v12
	v_lshlrev_b64_e32 v[6:7], 2, v[8:9]
	s_delay_alu instid0(VALU_DEP_4)
	v_mul_lo_u32 v13, s6, v13
	v_mad_co_u64_u32 v[8:9], null, s6, v12, 0
	v_add_co_u32 v27, vcc_lo, s8, v2
	s_wait_alu 0xfffd
	v_add_co_ci_u32_e64 v28, null, s9, v3, vcc_lo
	v_add_co_u32 v29, vcc_lo, s10, v2
	s_wait_alu 0xfffd
	v_add_co_ci_u32_e64 v30, null, s11, v3, vcc_lo
	v_add_co_u32 v31, vcc_lo, s8, v6
	v_add3_u32 v9, v9, v13, v14
	s_wait_alu 0xfffd
	v_add_co_ci_u32_e64 v32, null, s9, v7, vcc_lo
	v_add_co_u32 v12, vcc_lo, v10, 4
	v_add_co_u32 v33, s3, s10, v6
	s_wait_alu 0xfffd
	v_add_co_ci_u32_e64 v6, null, 0, v11, vcc_lo
	v_lshlrev_b64_e32 v[2:3], 2, v[8:9]
	v_add_co_u32 v8, vcc_lo, v10, 3
	s_wait_alu 0xfffd
	v_add_co_ci_u32_e64 v9, null, 0, v11, vcc_lo
	s_wait_alu 0xf1ff
	v_add_co_ci_u32_e64 v34, null, s11, v7, s3
	v_mul_lo_u32 v13, s7, v12
	v_mul_lo_u32 v14, s6, v6
	v_mad_co_u64_u32 v[6:7], null, s6, v12, 0
	v_mul_lo_u32 v12, s7, v8
	v_mul_lo_u32 v15, s6, v9
	v_mad_co_u64_u32 v[8:9], null, s6, v8, 0
	v_add_co_u32 v35, vcc_lo, s8, v2
	s_wait_alu 0xfffd
	v_add_co_ci_u32_e64 v36, null, s9, v3, vcc_lo
	v_add3_u32 v7, v7, v14, v13
	v_add_co_u32 v37, vcc_lo, s10, v2
	s_wait_alu 0xfffd
	v_add_co_ci_u32_e64 v38, null, s11, v3, vcc_lo
	v_add_co_u32 v10, vcc_lo, v10, 2
	v_add3_u32 v9, v9, v15, v12
	s_wait_alu 0xfffd
	v_add_co_ci_u32_e64 v11, null, 0, v11, vcc_lo
	v_lshlrev_b64_e32 v[2:3], 2, v[6:7]
	v_mul_lo_u32 v12, s7, v10
	v_lshlrev_b64_e32 v[6:7], 2, v[8:9]
	s_delay_alu instid0(VALU_DEP_4)
	v_mul_lo_u32 v11, s6, v11
	v_mad_co_u64_u32 v[8:9], null, s6, v10, 0
	v_add_co_u32 v39, vcc_lo, s8, v2
	s_wait_alu 0xfffd
	v_add_co_ci_u32_e64 v40, null, s9, v3, vcc_lo
	v_add_co_u32 v41, vcc_lo, s10, v2
	s_wait_alu 0xfffd
	v_add_co_ci_u32_e64 v42, null, s11, v3, vcc_lo
	v_add_co_u32 v43, vcc_lo, s8, v6
	s_wait_alu 0xfffd
	v_add_co_ci_u32_e64 v44, null, s9, v7, vcc_lo
	v_add3_u32 v9, v9, v11, v12
	v_add_co_u32 v45, vcc_lo, s10, v6
	s_wait_alu 0xfffd
	v_add_co_ci_u32_e64 v46, null, s11, v7, vcc_lo
	v_add_co_u32 v4, vcc_lo, v4, s6
	s_wait_alu 0xfffd
	v_add_co_ci_u32_e64 v5, null, s7, v5, vcc_lo
	v_lshlrev_b64_e32 v[2:3], 2, v[8:9]
	s_mul_u64 s[24:25], s[6:7], s[22:23]
	s_add_nc_u64 s[20:21], s[0:1], 64
	s_delay_alu instid0(VALU_DEP_2)
	v_lshlrev_b64_e32 v[4:5], 2, v[4:5]
	s_lshl_b64 s[24:25], s[24:25], 2
	s_add_nc_u64 s[26:27], s[16:17], 63
	v_add_co_u32 v47, vcc_lo, s8, v2
	s_wait_alu 0xfffd
	v_add_co_ci_u32_e64 v49, null, s9, v3, vcc_lo
	v_add_co_u32 v50, vcc_lo, s10, v2
	s_wait_alu 0xfffd
	v_add_co_ci_u32_e64 v51, null, s11, v3, vcc_lo
	;; [unrolled: 3-line block ×4, first 2 shown]
	s_mov_b64 s[28:29], s[16:17]
.LBB55_3:                               ; =>This Inner Loop Header: Depth=1
	v_cmp_ge_i64_e64 s3, s[26:27], s[4:5]
	v_add_co_u32 v58, s18, v21, s26
	s_wait_alu 0xf1ff
	v_add_co_ci_u32_e64 v59, null, 0, s27, s18
                                        ; implicit-def: $vgpr2_vgpr3_vgpr4_vgpr5_vgpr6_vgpr7_vgpr8_vgpr9
                                        ; implicit-def: $vgpr61
                                        ; implicit-def: $vgpr10_vgpr11_vgpr12_vgpr13_vgpr14_vgpr15_vgpr16_vgpr17
                                        ; implicit-def: $vgpr2
	s_and_b32 vcc_lo, exec_lo, s3
	s_mov_b32 s3, -1
                                        ; implicit-def: $vgpr3
                                        ; implicit-def: $vgpr56
	s_wait_alu 0xfffe
	s_cbranch_vccz .LBB55_25
; %bb.4:                                ;   in Loop: Header=BB55_3 Depth=1
	s_load_b32 s3, s[20:21], 0xc
	v_dual_mov_b32 v60, 0 :: v_dual_mov_b32 v61, 0
	s_wait_kmcnt 0x0
	s_and_b32 s3, s3, 0xffff
	s_wait_alu 0xfffe
	v_mad_u32_u24 v2, v20, s3, v22
	s_mov_b32 s3, exec_lo
	s_delay_alu instid0(VALU_DEP_1) | instskip(NEXT) | instid1(VALU_DEP_1)
	v_and_b32_e32 v2, 31, v2
	v_cmpx_gt_u32_e32 8, v2
	s_cbranch_execz .LBB55_8
; %bb.5:                                ;   in Loop: Header=BB55_3 Depth=1
	v_add_co_u32 v2, vcc_lo, v58, v2
	s_wait_alu 0xfffd
	v_add_co_ci_u32_e64 v3, null, 0, v59, vcc_lo
	v_dual_mov_b32 v60, 0 :: v_dual_mov_b32 v61, 0
	s_delay_alu instid0(VALU_DEP_3) | instskip(SKIP_1) | instid1(VALU_DEP_3)
	v_add_co_u32 v2, vcc_lo, 0xffffffc1, v2
	s_wait_alu 0xfffd
	v_add_co_ci_u32_e64 v3, null, -1, v3, vcc_lo
	s_mov_b32 s18, exec_lo
	v_cmpx_gt_i64_e64 s[4:5], v[2:3]
	s_cbranch_execz .LBB55_7
; %bb.6:                                ;   in Loop: Header=BB55_3 Depth=1
	v_lshlrev_b64_e32 v[2:3], 2, v[2:3]
	s_delay_alu instid0(VALU_DEP_1) | instskip(SKIP_1) | instid1(VALU_DEP_2)
	v_add_co_u32 v4, vcc_lo, s12, v2
	s_wait_alu 0xfffd
	v_add_co_ci_u32_e64 v5, null, s13, v3, vcc_lo
	v_add_co_u32 v2, vcc_lo, s14, v2
	s_wait_alu 0xfffd
	v_add_co_ci_u32_e64 v3, null, s15, v3, vcc_lo
	global_load_b32 v60, v[4:5], off
	global_load_b32 v61, v[2:3], off
.LBB55_7:                               ;   in Loop: Header=BB55_3 Depth=1
	s_wait_alu 0xfffe
	s_or_b32 exec_lo, exec_lo, s18
.LBB55_8:                               ;   in Loop: Header=BB55_3 Depth=1
	s_wait_alu 0xfffe
	s_or_b32 exec_lo, exec_lo, s3
	v_add_co_u32 v9, vcc_lo, 0xffffffc1, v58
	s_wait_alu 0xfffd
	v_add_co_ci_u32_e64 v10, null, -1, v59, vcc_lo
	v_mov_b32_e32 v8, v1
	v_dual_mov_b32 v2, v1 :: v_dual_mov_b32 v3, v1
	v_dual_mov_b32 v4, v1 :: v_dual_mov_b32 v5, v1
	;; [unrolled: 1-line block ×3, first 2 shown]
	v_cmp_gt_i64_e32 vcc_lo, s[4:5], v[9:10]
	s_delay_alu instid0(VALU_DEP_3) | instskip(NEXT) | instid1(VALU_DEP_3)
	v_dual_mov_b32 v17, v8 :: v_dual_mov_b32 v14, v5
	v_dual_mov_b32 v15, v6 :: v_dual_mov_b32 v16, v7
	;; [unrolled: 1-line block ×4, first 2 shown]
	v_mov_b32_e32 v9, v8
	v_mov_b32_e32 v8, v7
	v_mov_b32_e32 v7, v6
	v_mov_b32_e32 v6, v5
	v_mov_b32_e32 v5, v4
	v_mov_b32_e32 v4, v3
	v_mov_b32_e32 v3, v2
	v_mov_b32_e32 v2, v1
	s_and_b32 s18, s2, vcc_lo
	s_wait_alu 0xfffe
	s_and_saveexec_b32 s3, s18
	s_cbranch_execz .LBB55_10
; %bb.9:                                ;   in Loop: Header=BB55_3 Depth=1
	v_add_co_u32 v2, vcc_lo, v23, v18
	s_wait_alu 0xfffd
	v_add_co_ci_u32_e64 v3, null, v24, v19, vcc_lo
	v_add_co_u32 v4, vcc_lo, v25, v18
	s_wait_alu 0xfffd
	v_add_co_ci_u32_e64 v5, null, v26, v19, vcc_lo
	global_load_b32 v2, v[2:3], off
	global_load_b32 v10, v[4:5], off
	v_dual_mov_b32 v3, v1 :: v_dual_mov_b32 v4, v1
	v_dual_mov_b32 v5, v1 :: v_dual_mov_b32 v6, v1
	;; [unrolled: 1-line block ×6, first 2 shown]
	v_mov_b32_e32 v15, v1
	v_mov_b32_e32 v17, v1
.LBB55_10:                              ;   in Loop: Header=BB55_3 Depth=1
	s_wait_alu 0xfffe
	s_or_b32 exec_lo, exec_lo, s3
	v_add_co_u32 v62, vcc_lo, 0xffffffc2, v58
	s_wait_alu 0xfffd
	v_add_co_ci_u32_e64 v63, null, -1, v59, vcc_lo
	s_delay_alu instid0(VALU_DEP_1)
	v_cmp_gt_i64_e32 vcc_lo, s[4:5], v[62:63]
	s_and_b32 s18, s2, vcc_lo
	s_wait_alu 0xfffe
	s_and_saveexec_b32 s3, s18
	s_cbranch_execz .LBB55_12
; %bb.11:                               ;   in Loop: Header=BB55_3 Depth=1
	v_add_co_u32 v62, vcc_lo, v52, v18
	s_wait_alu 0xfffd
	v_add_co_ci_u32_e64 v63, null, v53, v19, vcc_lo
	v_add_co_u32 v64, vcc_lo, v54, v18
	s_wait_alu 0xfffd
	v_add_co_ci_u32_e64 v65, null, v55, v19, vcc_lo
	global_load_b32 v3, v[62:63], off
	global_load_b32 v11, v[64:65], off
.LBB55_12:                              ;   in Loop: Header=BB55_3 Depth=1
	s_wait_alu 0xfffe
	s_or_b32 exec_lo, exec_lo, s3
	v_add_co_u32 v62, vcc_lo, 0xffffffc3, v58
	s_wait_alu 0xfffd
	v_add_co_ci_u32_e64 v63, null, -1, v59, vcc_lo
	s_delay_alu instid0(VALU_DEP_1)
	v_cmp_gt_i64_e32 vcc_lo, s[4:5], v[62:63]
	s_and_b32 s18, s2, vcc_lo
	s_wait_alu 0xfffe
	s_and_saveexec_b32 s3, s18
	s_cbranch_execz .LBB55_14
; %bb.13:                               ;   in Loop: Header=BB55_3 Depth=1
	v_add_co_u32 v62, vcc_lo, v47, v18
	s_wait_alu 0xfffd
	v_add_co_ci_u32_e64 v63, null, v49, v19, vcc_lo
	v_add_co_u32 v64, vcc_lo, v50, v18
	s_wait_alu 0xfffd
	v_add_co_ci_u32_e64 v65, null, v51, v19, vcc_lo
	global_load_b32 v4, v[62:63], off
	global_load_b32 v12, v[64:65], off
.LBB55_14:                              ;   in Loop: Header=BB55_3 Depth=1
	;; [unrolled: 21-line block ×7, first 2 shown]
	s_wait_alu 0xfffe
	s_or_b32 exec_lo, exec_lo, s3
	s_wait_loadcnt 0x1
	ds_bpermute_b32 v56, v1, v60
	ds_bpermute_b32 v62, v1, v60 offset:4
	ds_bpermute_b32 v63, v1, v60 offset:8
	s_wait_loadcnt 0x0
	ds_bpermute_b32 v64, v1, v61
	ds_bpermute_b32 v65, v1, v60 offset:12
	ds_bpermute_b32 v66, v1, v61 offset:4
	;; [unrolled: 1-line block ×6, first 2 shown]
	s_mov_b32 s3, 0
	s_wait_dscnt 0x9
	v_dual_add_f32 v69, v48, v2 :: v_dual_sub_f32 v10, v10, v56
	s_wait_dscnt 0x7
	v_dual_sub_f32 v11, v11, v62 :: v_dual_sub_f32 v12, v12, v63
	ds_bpermute_b32 v62, v1, v60 offset:24
	ds_bpermute_b32 v63, v1, v61 offset:20
	v_dual_mul_f32 v2, v2, v10 :: v_dual_mul_f32 v11, v3, v11
	ds_bpermute_b32 v10, v1, v61 offset:16
	v_dual_mul_f32 v12, v4, v12 :: v_dual_add_f32 v3, v3, v69
	s_wait_dscnt 0x9
	v_fma_f32 v56, v2, v64, v57
	s_wait_dscnt 0x8
	v_sub_f32_e32 v2, v13, v65
	ds_bpermute_b32 v64, v1, v61 offset:24
	ds_bpermute_b32 v61, v1, v61 offset:28
	s_wait_dscnt 0x9
	v_dual_add_f32 v3, v4, v3 :: v_dual_fmac_f32 v56, v11, v66
	s_wait_dscnt 0x8
	v_sub_f32_e32 v11, v14, v67
	v_mul_f32_e32 v13, v5, v2
	ds_bpermute_b32 v2, v1, v60 offset:28
	s_wait_dscnt 0x6
	v_sub_f32_e32 v4, v15, v71
	v_dual_fmac_f32 v56, v12, v68 :: v_dual_mul_f32 v11, v6, v11
	v_add_f32_e32 v3, v5, v3
	s_wait_dscnt 0x5
	s_delay_alu instid0(VALU_DEP_3) | instskip(NEXT) | instid1(VALU_DEP_2)
	v_dual_sub_f32 v5, v16, v62 :: v_dual_mul_f32 v4, v7, v4
	v_dual_fmac_f32 v56, v13, v70 :: v_dual_add_f32 v3, v6, v3
	s_wait_dscnt 0x3
	s_delay_alu instid0(VALU_DEP_1) | instskip(NEXT) | instid1(VALU_DEP_1)
	v_dual_mul_f32 v5, v8, v5 :: v_dual_fmac_f32 v56, v11, v10
	v_fmac_f32_e32 v56, v4, v63
	s_wait_dscnt 0x2
	s_delay_alu instid0(VALU_DEP_1) | instskip(NEXT) | instid1(VALU_DEP_1)
	v_dual_add_f32 v3, v7, v3 :: v_dual_fmac_f32 v56, v5, v64
	v_add_f32_e32 v3, v8, v3
.LBB55_25:                              ;   in Loop: Header=BB55_3 Depth=1
	s_wait_alu 0xfffe
	s_and_b32 vcc_lo, exec_lo, s3
	s_wait_alu 0xfffe
	s_cbranch_vccz .LBB55_40
; %bb.26:                               ;   in Loop: Header=BB55_3 Depth=1
	s_load_b32 s3, s[20:21], 0x0
	v_mov_b32_e32 v60, 0
	v_mov_b32_e32 v56, 0
	s_wait_kmcnt 0x0
	s_cmp_lt_u32 ttmp9, s3
	s_cselect_b32 s18, 12, 18
	s_wait_alu 0xfffe
	s_add_nc_u64 s[34:35], s[20:21], s[18:19]
	s_load_u16 s3, s[34:35], 0x0
	s_wait_dscnt 0x0
	s_wait_kmcnt 0x0
	v_mad_u32_u24 v2, v20, s3, v22
	s_mov_b32 s3, exec_lo
	s_delay_alu instid0(VALU_DEP_1) | instskip(NEXT) | instid1(VALU_DEP_1)
	v_and_b32_e32 v2, 31, v2
	v_cmpx_gt_u32_e32 8, v2
	s_cbranch_execz .LBB55_30
; %bb.27:                               ;   in Loop: Header=BB55_3 Depth=1
	v_add_co_u32 v2, vcc_lo, v58, v2
	s_wait_alu 0xfffd
	v_add_co_ci_u32_e64 v3, null, 0, v59, vcc_lo
	v_mov_b32_e32 v56, 0
	s_delay_alu instid0(VALU_DEP_3) | instskip(SKIP_1) | instid1(VALU_DEP_3)
	v_add_co_u32 v2, vcc_lo, 0xffffffc1, v2
	s_wait_alu 0xfffd
	v_add_co_ci_u32_e64 v3, null, -1, v3, vcc_lo
	v_mov_b32_e32 v60, 0
	s_mov_b32 s18, exec_lo
	s_delay_alu instid0(VALU_DEP_2)
	v_cmpx_gt_i64_e64 s[4:5], v[2:3]
	s_cbranch_execz .LBB55_29
; %bb.28:                               ;   in Loop: Header=BB55_3 Depth=1
	v_lshlrev_b64_e32 v[2:3], 2, v[2:3]
	s_delay_alu instid0(VALU_DEP_1) | instskip(SKIP_1) | instid1(VALU_DEP_2)
	v_add_co_u32 v4, vcc_lo, s12, v2
	s_wait_alu 0xfffd
	v_add_co_ci_u32_e64 v5, null, s13, v3, vcc_lo
	v_add_co_u32 v2, vcc_lo, s14, v2
	s_wait_alu 0xfffd
	v_add_co_ci_u32_e64 v3, null, s15, v3, vcc_lo
	global_load_b32 v56, v[4:5], off
	global_load_b32 v60, v[2:3], off
.LBB55_29:                              ;   in Loop: Header=BB55_3 Depth=1
	s_wait_alu 0xfffe
	s_or_b32 exec_lo, exec_lo, s18
.LBB55_30:                              ;   in Loop: Header=BB55_3 Depth=1
	s_wait_alu 0xfffe
	s_or_b32 exec_lo, exec_lo, s3
	v_mov_b32_e32 v8, v1
	v_dual_mov_b32 v2, v1 :: v_dual_mov_b32 v3, v1
	v_dual_mov_b32 v4, v1 :: v_dual_mov_b32 v5, v1
	;; [unrolled: 1-line block ×3, first 2 shown]
	s_delay_alu instid0(VALU_DEP_4) | instskip(NEXT) | instid1(VALU_DEP_3)
	v_mov_b32_e32 v17, v8
	v_dual_mov_b32 v13, v4 :: v_dual_mov_b32 v12, v3
	s_delay_alu instid0(VALU_DEP_3) | instskip(NEXT) | instid1(VALU_DEP_4)
	v_dual_mov_b32 v15, v6 :: v_dual_mov_b32 v14, v5
	v_dual_mov_b32 v16, v7 :: v_dual_mov_b32 v11, v2
	;; [unrolled: 1-line block ×3, first 2 shown]
	v_mov_b32_e32 v8, v7
	v_mov_b32_e32 v7, v6
	;; [unrolled: 1-line block ×7, first 2 shown]
	s_and_saveexec_b32 s3, s2
	s_cbranch_execnz .LBB55_42
; %bb.31:                               ;   in Loop: Header=BB55_3 Depth=1
	s_wait_alu 0xfffe
	s_or_b32 exec_lo, exec_lo, s3
	s_and_saveexec_b32 s3, s2
	s_cbranch_execnz .LBB55_43
.LBB55_32:                              ;   in Loop: Header=BB55_3 Depth=1
	s_wait_alu 0xfffe
	s_or_b32 exec_lo, exec_lo, s3
	s_and_saveexec_b32 s3, s2
	s_cbranch_execnz .LBB55_44
.LBB55_33:                              ;   in Loop: Header=BB55_3 Depth=1
	s_wait_alu 0xfffe
	s_or_b32 exec_lo, exec_lo, s3
	s_and_saveexec_b32 s3, s2
	s_cbranch_execnz .LBB55_45
.LBB55_34:                              ;   in Loop: Header=BB55_3 Depth=1
	s_wait_alu 0xfffe
	s_or_b32 exec_lo, exec_lo, s3
	s_and_saveexec_b32 s3, s2
	s_cbranch_execnz .LBB55_46
.LBB55_35:                              ;   in Loop: Header=BB55_3 Depth=1
	s_wait_alu 0xfffe
	s_or_b32 exec_lo, exec_lo, s3
	s_and_saveexec_b32 s3, s2
	s_cbranch_execnz .LBB55_47
.LBB55_36:                              ;   in Loop: Header=BB55_3 Depth=1
	s_wait_alu 0xfffe
	s_or_b32 exec_lo, exec_lo, s3
	s_and_saveexec_b32 s3, s2
	s_cbranch_execnz .LBB55_48
.LBB55_37:                              ;   in Loop: Header=BB55_3 Depth=1
	s_wait_alu 0xfffe
	s_or_b32 exec_lo, exec_lo, s3
	s_and_saveexec_b32 s3, s2
	s_cbranch_execz .LBB55_39
.LBB55_38:                              ;   in Loop: Header=BB55_3 Depth=1
	v_add_co_u32 v58, vcc_lo, v27, v18
	s_wait_alu 0xfffd
	v_add_co_ci_u32_e64 v59, null, v28, v19, vcc_lo
	v_add_co_u32 v61, vcc_lo, v29, v18
	s_wait_alu 0xfffd
	v_add_co_ci_u32_e64 v62, null, v30, v19, vcc_lo
	global_load_b32 v9, v[58:59], off
	global_load_b32 v17, v[61:62], off
.LBB55_39:                              ;   in Loop: Header=BB55_3 Depth=1
	s_wait_alu 0xfffe
	s_or_b32 exec_lo, exec_lo, s3
	s_wait_loadcnt 0x1
	ds_bpermute_b32 v58, v1, v56
	ds_bpermute_b32 v59, v1, v56 offset:4
	ds_bpermute_b32 v61, v1, v56 offset:8
	s_wait_loadcnt 0x0
	ds_bpermute_b32 v62, v1, v60
	ds_bpermute_b32 v63, v1, v56 offset:12
	ds_bpermute_b32 v64, v1, v60 offset:4
	;; [unrolled: 1-line block ×5, first 2 shown]
	s_wait_dscnt 0x7
	v_dual_sub_f32 v10, v10, v58 :: v_dual_sub_f32 v11, v11, v59
	ds_bpermute_b32 v58, v1, v60 offset:12
	ds_bpermute_b32 v59, v1, v60 offset:20
	s_wait_dscnt 0x6
	v_dual_sub_f32 v13, v13, v63 :: v_dual_mul_f32 v10, v2, v10
	v_dual_mul_f32 v11, v3, v11 :: v_dual_add_f32 v2, v48, v2
	ds_bpermute_b32 v48, v1, v60 offset:16
	v_dual_sub_f32 v12, v12, v61 :: v_dual_fmac_f32 v57, v10, v62
	ds_bpermute_b32 v10, v1, v56 offset:24
	s_wait_dscnt 0x6
	v_dual_add_f32 v2, v3, v2 :: v_dual_sub_f32 v3, v14, v65
	v_mul_f32_e32 v12, v4, v12
	v_fmac_f32_e32 v57, v11, v64
	s_delay_alu instid0(VALU_DEP_3)
	v_dual_mul_f32 v11, v5, v13 :: v_dual_add_f32 v4, v4, v2
	ds_bpermute_b32 v61, v1, v60 offset:28
	ds_bpermute_b32 v2, v1, v56 offset:28
	s_wait_dscnt 0x7
	v_fmac_f32_e32 v57, v12, v66
	ds_bpermute_b32 v12, v1, v60 offset:24
	s_wait_dscnt 0x7
	v_dual_add_f32 v4, v5, v4 :: v_dual_sub_f32 v13, v15, v67
	s_wait_dscnt 0x6
	s_delay_alu instid0(VALU_DEP_1) | instskip(SKIP_1) | instid1(VALU_DEP_3)
	v_dual_fmac_f32 v57, v11, v58 :: v_dual_add_f32 v4, v6, v4
	v_mul_f32_e32 v3, v6, v3
	v_mul_f32_e32 v5, v7, v13
	s_delay_alu instid0(VALU_DEP_3) | instskip(SKIP_1) | instid1(VALU_DEP_3)
	v_add_f32_e32 v4, v7, v4
	s_wait_dscnt 0x4
	v_fmac_f32_e32 v57, v3, v48
	s_wait_dscnt 0x3
	v_sub_f32_e32 v3, v16, v10
	s_delay_alu instid0(VALU_DEP_2) | instskip(NEXT) | instid1(VALU_DEP_2)
	v_fmac_f32_e32 v57, v5, v59
	v_mul_f32_e32 v3, v8, v3
	s_wait_dscnt 0x0
	s_delay_alu instid0(VALU_DEP_1) | instskip(NEXT) | instid1(VALU_DEP_1)
	v_fmac_f32_e32 v57, v3, v12
	v_dual_add_f32 v3, v8, v4 :: v_dual_mov_b32 v56, v57
.LBB55_40:                              ;   in Loop: Header=BB55_3 Depth=1
	v_add_co_u32 v23, vcc_lo, v23, s24
	s_wait_alu 0xfffd
	v_add_co_ci_u32_e64 v24, null, s25, v24, vcc_lo
	v_add_co_u32 v25, vcc_lo, v25, s24
	s_wait_alu 0xfffd
	v_add_co_ci_u32_e64 v26, null, s25, v26, vcc_lo
	;; [unrolled: 3-line block ×10, first 2 shown]
	v_add_co_u32 v43, vcc_lo, v43, s24
	s_wait_dscnt 0x0
	v_sub_f32_e32 v2, v17, v2
	s_wait_alu 0xfffd
	v_add_co_ci_u32_e64 v44, null, s25, v44, vcc_lo
	v_add_co_u32 v45, vcc_lo, v45, s24
	s_wait_alu 0xfffd
	v_add_co_ci_u32_e64 v46, null, s25, v46, vcc_lo
	v_add_co_u32 v47, vcc_lo, v47, s24
	;; [unrolled: 3-line block ×3, first 2 shown]
	s_add_nc_u64 s[28:29], s[28:29], s[22:23]
	v_mul_f32_e32 v2, v9, v2
	s_wait_alu 0xfffd
	v_add_co_ci_u32_e64 v51, null, s25, v51, vcc_lo
	v_add_co_u32 v52, vcc_lo, v52, s24
	s_wait_alu 0xfffe
	v_cmp_lt_i64_e64 s3, s[28:29], s[4:5]
	s_wait_alu 0xfffd
	v_add_co_ci_u32_e64 v53, null, s25, v53, vcc_lo
	v_add_co_u32 v54, vcc_lo, v54, s24
	v_add_f32_e32 v48, v3, v9
	v_fmac_f32_e32 v56, v2, v61
	s_wait_alu 0xfffd
	v_add_co_ci_u32_e64 v55, null, s25, v55, vcc_lo
	s_and_b32 vcc_lo, exec_lo, s3
	s_add_nc_u64 s[26:27], s[26:27], s[22:23]
	s_wait_alu 0xfffe
	s_cbranch_vccz .LBB55_50
; %bb.41:                               ;   in Loop: Header=BB55_3 Depth=1
	v_mov_b32_e32 v57, v56
	s_branch .LBB55_3
.LBB55_42:                              ;   in Loop: Header=BB55_3 Depth=1
	v_add_co_u32 v2, vcc_lo, v23, v18
	s_wait_alu 0xfffd
	v_add_co_ci_u32_e64 v3, null, v24, v19, vcc_lo
	v_add_co_u32 v4, vcc_lo, v25, v18
	s_wait_alu 0xfffd
	v_add_co_ci_u32_e64 v5, null, v26, v19, vcc_lo
	global_load_b32 v2, v[2:3], off
	global_load_b32 v10, v[4:5], off
	v_dual_mov_b32 v3, v1 :: v_dual_mov_b32 v4, v1
	v_dual_mov_b32 v5, v1 :: v_dual_mov_b32 v6, v1
	;; [unrolled: 1-line block ×6, first 2 shown]
	v_mov_b32_e32 v15, v1
	v_mov_b32_e32 v17, v1
	s_wait_alu 0xfffe
	s_or_b32 exec_lo, exec_lo, s3
	s_and_saveexec_b32 s3, s2
	s_cbranch_execz .LBB55_32
.LBB55_43:                              ;   in Loop: Header=BB55_3 Depth=1
	v_add_co_u32 v58, vcc_lo, v52, v18
	s_wait_alu 0xfffd
	v_add_co_ci_u32_e64 v59, null, v53, v19, vcc_lo
	v_add_co_u32 v61, vcc_lo, v54, v18
	s_wait_alu 0xfffd
	v_add_co_ci_u32_e64 v62, null, v55, v19, vcc_lo
	global_load_b32 v3, v[58:59], off
	global_load_b32 v11, v[61:62], off
	s_wait_alu 0xfffe
	s_or_b32 exec_lo, exec_lo, s3
	s_and_saveexec_b32 s3, s2
	s_cbranch_execz .LBB55_33
.LBB55_44:                              ;   in Loop: Header=BB55_3 Depth=1
	v_add_co_u32 v58, vcc_lo, v47, v18
	s_wait_alu 0xfffd
	v_add_co_ci_u32_e64 v59, null, v49, v19, vcc_lo
	v_add_co_u32 v61, vcc_lo, v50, v18
	s_wait_alu 0xfffd
	v_add_co_ci_u32_e64 v62, null, v51, v19, vcc_lo
	global_load_b32 v4, v[58:59], off
	global_load_b32 v12, v[61:62], off
	s_wait_alu 0xfffe
	s_or_b32 exec_lo, exec_lo, s3
	s_and_saveexec_b32 s3, s2
	s_cbranch_execz .LBB55_34
.LBB55_45:                              ;   in Loop: Header=BB55_3 Depth=1
	v_add_co_u32 v58, vcc_lo, v43, v18
	s_wait_alu 0xfffd
	v_add_co_ci_u32_e64 v59, null, v44, v19, vcc_lo
	v_add_co_u32 v61, vcc_lo, v45, v18
	s_wait_alu 0xfffd
	v_add_co_ci_u32_e64 v62, null, v46, v19, vcc_lo
	global_load_b32 v5, v[58:59], off
	global_load_b32 v13, v[61:62], off
	s_wait_alu 0xfffe
	s_or_b32 exec_lo, exec_lo, s3
	s_and_saveexec_b32 s3, s2
	s_cbranch_execz .LBB55_35
.LBB55_46:                              ;   in Loop: Header=BB55_3 Depth=1
	v_add_co_u32 v58, vcc_lo, v39, v18
	s_wait_alu 0xfffd
	v_add_co_ci_u32_e64 v59, null, v40, v19, vcc_lo
	v_add_co_u32 v61, vcc_lo, v41, v18
	s_wait_alu 0xfffd
	v_add_co_ci_u32_e64 v62, null, v42, v19, vcc_lo
	global_load_b32 v6, v[58:59], off
	global_load_b32 v14, v[61:62], off
	s_wait_alu 0xfffe
	s_or_b32 exec_lo, exec_lo, s3
	s_and_saveexec_b32 s3, s2
	s_cbranch_execz .LBB55_36
.LBB55_47:                              ;   in Loop: Header=BB55_3 Depth=1
	v_add_co_u32 v58, vcc_lo, v35, v18
	s_wait_alu 0xfffd
	v_add_co_ci_u32_e64 v59, null, v36, v19, vcc_lo
	v_add_co_u32 v61, vcc_lo, v37, v18
	s_wait_alu 0xfffd
	v_add_co_ci_u32_e64 v62, null, v38, v19, vcc_lo
	global_load_b32 v7, v[58:59], off
	global_load_b32 v15, v[61:62], off
	s_wait_alu 0xfffe
	s_or_b32 exec_lo, exec_lo, s3
	s_and_saveexec_b32 s3, s2
	s_cbranch_execz .LBB55_37
.LBB55_48:                              ;   in Loop: Header=BB55_3 Depth=1
	v_add_co_u32 v58, vcc_lo, v31, v18
	s_wait_alu 0xfffd
	v_add_co_ci_u32_e64 v59, null, v32, v19, vcc_lo
	v_add_co_u32 v61, vcc_lo, v33, v18
	s_wait_alu 0xfffd
	v_add_co_ci_u32_e64 v62, null, v34, v19, vcc_lo
	global_load_b32 v8, v[58:59], off
	global_load_b32 v16, v[61:62], off
	s_wait_alu 0xfffe
	s_or_b32 exec_lo, exec_lo, s3
	s_and_saveexec_b32 s3, s2
	s_cbranch_execnz .LBB55_38
	s_branch .LBB55_39
.LBB55_49:
                                        ; implicit-def: $vgpr48
                                        ; implicit-def: $vgpr56
	s_branch .LBB55_51
.LBB55_50:
	s_cbranch_execnz .LBB55_82
.LBB55_51:
	v_mov_b32_e32 v48, 0
	v_mov_b32_e32 v56, 0
	s_and_not1_b32 vcc_lo, exec_lo, s31
	s_wait_alu 0xfffe
	s_cbranch_vccnz .LBB55_82
; %bb.52:
	v_bfe_u32 v49, v0, 10, 10
	v_and_b32_e32 v51, 0x3ff, v0
	s_lshl_b64 s[20:21], s[16:17], 2
	s_mov_b32 s3, 0
	s_delay_alu instid0(VALU_DEP_2)
	v_dual_mov_b32 v1, 0 :: v_dual_lshlrev_b32 v50, 3, v49
	v_lshlrev_b32_e32 v8, 5, v49
	v_add_nc_u32_e32 v4, s30, v51
	s_wait_alu 0xfffe
	s_mov_b32 s19, s3
	v_mov_b32_e32 v5, v1
	v_add_co_u32 v10, s2, v50, s16
	s_wait_alu 0xf1ff
	v_add_co_ci_u32_e64 v11, null, 0, 0, s2
	s_load_b32 s2, s[0:1], 0x44
	v_mul_lo_u32 v6, s7, v10
	v_mad_co_u64_u32 v[2:3], null, s6, v10, 0
	v_mul_lo_u32 v7, s6, v11
	v_lshlrev_b64_e32 v[18:19], 2, v[4:5]
	s_delay_alu instid0(VALU_DEP_2) | instskip(SKIP_3) | instid1(VALU_DEP_3)
	v_add3_u32 v3, v3, v7, v6
	v_add_co_u32 v6, s18, v8, s20
	s_wait_alu 0xf1ff
	v_add_co_ci_u32_e64 v7, null, 0, s21, s18
	v_lshlrev_b64_e32 v[4:5], 2, v[2:3]
	s_delay_alu instid0(VALU_DEP_3) | instskip(SKIP_1) | instid1(VALU_DEP_3)
	v_add_co_u32 v8, vcc_lo, v6, 4
	s_wait_alu 0xfffd
	v_add_co_ci_u32_e64 v9, null, 0, v7, vcc_lo
	s_wait_kmcnt 0x0
	s_lshl_b32 s18, s2, 6
	v_add_co_u32 v52, vcc_lo, s8, v4
	s_wait_alu 0xfffd
	v_add_co_ci_u32_e64 v53, null, s9, v5, vcc_lo
	v_add_co_u32 v54, vcc_lo, s10, v4
	s_wait_alu 0xfffd
	v_add_co_ci_u32_e64 v55, null, s11, v5, vcc_lo
	v_add_co_u32 v4, vcc_lo, v6, 8
	s_wait_alu 0xfffd
	v_add_co_ci_u32_e64 v5, null, 0, v7, vcc_lo
	v_add_co_u32 v13, vcc_lo, v6, 12
	s_wait_alu 0xfffd
	v_add_co_ci_u32_e64 v14, null, 0, v7, vcc_lo
	v_add_co_u32 v16, vcc_lo, v6, 16
	s_wait_alu 0xfffd
	v_add_co_ci_u32_e64 v28, null, 0, v7, vcc_lo
	v_add_co_u32 v42, vcc_lo, v6, 20
	v_mad_co_u64_u32 v[22:23], null, s6, v4, s[8:9]
	v_mul_lo_u32 v5, s6, v5
	v_mul_lo_u32 v15, s7, v4
	v_mad_co_u64_u32 v[36:37], null, s6, v4, s[10:11]
	s_wait_alu 0xfffd
	v_add_co_ci_u32_e64 v30, null, 0, v7, vcc_lo
	v_add_co_u32 v44, vcc_lo, v6, 24
	s_wait_alu 0xfffd
	v_add_co_ci_u32_e64 v32, null, 0, v7, vcc_lo
	v_add_co_u32 v6, vcc_lo, v6, 28
	v_mad_co_u64_u32 v[20:21], null, s6, v8, s[8:9]
	v_mul_lo_u32 v9, s6, v9
	v_mul_lo_u32 v12, s7, v8
	v_mad_co_u64_u32 v[34:35], null, s6, v8, s[10:11]
	s_wait_alu 0xfffd
	v_add_co_ci_u32_e64 v7, null, 0, v7, vcc_lo
	v_add_co_u32 v4, vcc_lo, v10, 7
	v_add3_u32 v23, v15, v23, v5
	v_add3_u32 v37, v15, v37, v5
	s_wait_alu 0xfffd
	v_add_co_ci_u32_e64 v5, null, 0, v11, vcc_lo
	v_mul_lo_u32 v61, s6, v7
	v_add_co_u32 v7, vcc_lo, v10, 6
	v_add3_u32 v21, v12, v21, v9
	v_add3_u32 v35, v12, v35, v9
	s_wait_alu 0xfffd
	v_add_co_ci_u32_e64 v12, null, 0, v11, vcc_lo
	v_mul_lo_u32 v8, s7, v4
	v_mul_lo_u32 v9, s6, v5
	v_mad_co_u64_u32 v[4:5], null, s6, v4, 0
	v_mad_co_u64_u32 v[24:25], null, s6, v13, s[8:9]
	v_mul_lo_u32 v17, s7, v13
	v_mul_lo_u32 v59, s6, v32
	v_mad_co_u64_u32 v[32:33], null, s6, v6, s[8:9]
	v_mul_lo_u32 v62, s7, v6
	v_mad_co_u64_u32 v[38:39], null, s6, v13, s[10:11]
	v_mad_co_u64_u32 v[46:47], null, s6, v6, s[10:11]
	v_mul_lo_u32 v13, s7, v7
	v_mul_lo_u32 v12, s6, v12
	v_mad_co_u64_u32 v[6:7], null, s6, v7, 0
	v_add3_u32 v5, v5, v9, v8
	v_add_co_u32 v8, vcc_lo, v10, 5
	v_mul_lo_u32 v48, s6, v28
	v_mad_co_u64_u32 v[28:29], null, s6, v42, s[8:9]
	v_mul_lo_u32 v57, s6, v30
	v_mul_lo_u32 v58, s7, v42
	v_mad_co_u64_u32 v[42:43], null, s6, v42, s[10:11]
	s_wait_alu 0xfffd
	v_add_co_ci_u32_e64 v9, null, 0, v11, vcc_lo
	v_add3_u32 v7, v7, v12, v13
	v_mad_co_u64_u32 v[30:31], null, s6, v44, s[8:9]
	v_mul_lo_u32 v60, s7, v44
	v_mad_co_u64_u32 v[44:45], null, s6, v44, s[10:11]
	v_lshlrev_b64_e32 v[4:5], 2, v[4:5]
	v_mul_lo_u32 v12, s7, v8
	v_mul_lo_u32 v13, s6, v9
	v_mad_co_u64_u32 v[8:9], null, s6, v8, 0
	v_lshlrev_b64_e32 v[6:7], 2, v[6:7]
	v_add3_u32 v29, v58, v29, v57
	v_add3_u32 v43, v58, v43, v57
	v_add_co_u32 v57, vcc_lo, s8, v4
	v_add3_u32 v31, v60, v31, v59
	v_add3_u32 v45, v60, v45, v59
	s_wait_alu 0xfffd
	v_add_co_ci_u32_e64 v58, null, s9, v5, vcc_lo
	v_add_co_u32 v59, vcc_lo, s10, v4
	v_add3_u32 v33, v62, v33, v61
	v_add3_u32 v47, v62, v47, v61
	s_wait_alu 0xfffd
	v_add_co_ci_u32_e64 v60, null, s11, v5, vcc_lo
	v_add_co_u32 v61, vcc_lo, s8, v6
	v_mul_lo_u32 v14, s6, v14
	v_add3_u32 v9, v9, v13, v12
	s_wait_alu 0xfffd
	v_add_co_ci_u32_e64 v62, null, s9, v7, vcc_lo
	v_add_co_u32 v12, vcc_lo, v10, 4
	v_add_co_u32 v63, s2, s10, v6
	s_wait_alu 0xfffd
	v_add_co_ci_u32_e64 v6, null, 0, v11, vcc_lo
	v_lshlrev_b64_e32 v[4:5], 2, v[8:9]
	v_add_co_u32 v8, vcc_lo, v10, 3
	s_wait_alu 0xfffd
	v_add_co_ci_u32_e64 v9, null, 0, v11, vcc_lo
	v_add3_u32 v25, v17, v25, v14
	v_add3_u32 v39, v17, v39, v14
	s_wait_alu 0xf1ff
	v_add_co_ci_u32_e64 v64, null, s11, v7, s2
	v_mul_lo_u32 v13, s7, v12
	v_mul_lo_u32 v14, s6, v6
	v_mad_co_u64_u32 v[6:7], null, s6, v12, 0
	v_mul_lo_u32 v12, s7, v8
	v_mul_lo_u32 v15, s6, v9
	v_mad_co_u64_u32 v[8:9], null, s6, v8, 0
	v_add_co_u32 v65, vcc_lo, s8, v4
	s_wait_alu 0xfffd
	v_add_co_ci_u32_e64 v66, null, s9, v5, vcc_lo
	v_add3_u32 v7, v7, v14, v13
	v_add_co_u32 v67, vcc_lo, s10, v4
	s_wait_alu 0xfffd
	v_add_co_ci_u32_e64 v68, null, s11, v5, vcc_lo
	v_add_co_u32 v10, vcc_lo, v10, 2
	v_add3_u32 v9, v9, v15, v12
	s_wait_alu 0xfffd
	v_add_co_ci_u32_e64 v11, null, 0, v11, vcc_lo
	v_lshlrev_b64_e32 v[4:5], 2, v[6:7]
	v_mul_lo_u32 v12, s7, v10
	v_lshlrev_b64_e32 v[6:7], 2, v[8:9]
	s_delay_alu instid0(VALU_DEP_4)
	v_mul_lo_u32 v11, s6, v11
	v_mad_co_u64_u32 v[8:9], null, s6, v10, 0
	v_add_co_u32 v69, vcc_lo, s8, v4
	s_wait_alu 0xfffd
	v_add_co_ci_u32_e64 v70, null, s9, v5, vcc_lo
	v_add_co_u32 v71, vcc_lo, s10, v4
	s_wait_alu 0xfffd
	v_add_co_ci_u32_e64 v72, null, s11, v5, vcc_lo
	;; [unrolled: 3-line block ×3, first 2 shown]
	v_add3_u32 v9, v9, v11, v12
	v_add_co_u32 v75, vcc_lo, s10, v6
	s_wait_alu 0xfffd
	v_add_co_ci_u32_e64 v76, null, s11, v7, vcc_lo
	v_add_co_u32 v2, vcc_lo, v2, s6
	s_wait_alu 0xfffd
	v_add_co_ci_u32_e64 v3, null, s7, v3, vcc_lo
	v_lshlrev_b64_e32 v[4:5], 2, v[8:9]
	v_mad_co_u64_u32 v[26:27], null, s6, v16, s[8:9]
	s_delay_alu instid0(VALU_DEP_3)
	v_lshlrev_b64_e32 v[2:3], 2, v[2:3]
	v_mul_lo_u32 v56, s7, v16
	v_mad_co_u64_u32 v[40:41], null, s6, v16, s[10:11]
	v_add_co_u32 v77, vcc_lo, s8, v4
	s_wait_alu 0xfffd
	v_add_co_ci_u32_e64 v78, null, s9, v5, vcc_lo
	v_add_co_u32 v79, vcc_lo, s10, v4
	s_wait_alu 0xfffd
	v_add_co_ci_u32_e64 v80, null, s11, v5, vcc_lo
	;; [unrolled: 3-line block ×3, first 2 shown]
	v_add_co_u32 v83, vcc_lo, s10, v2
	v_add3_u32 v27, v56, v27, v48
	v_add3_u32 v41, v56, v41, v48
	s_wait_alu 0xfffd
	v_add_co_ci_u32_e64 v84, null, s11, v3, vcc_lo
	v_mov_b32_e32 v56, 0
	v_mov_b32_e32 v48, 0
	s_wait_alu 0xfffe
	s_mul_u64 s[20:21], s[6:7], s[18:19]
	s_add_nc_u64 s[8:9], s[0:1], 64
	s_wait_alu 0xfffe
	s_lshl_b64 s[10:11], s[20:21], 2
	s_add_nc_u64 s[20:21], s[16:17], 63
	s_branch .LBB55_56
.LBB55_53:                              ;   in Loop: Header=BB55_56 Depth=1
	s_wait_alu 0xfffe
	s_or_b32 exec_lo, exec_lo, s22
.LBB55_54:                              ;   in Loop: Header=BB55_56 Depth=1
	s_wait_alu 0xfffe
	s_or_b32 exec_lo, exec_lo, s2
	v_add_co_u32 v2, vcc_lo, v52, v18
	s_wait_alu 0xfffd
	v_add_co_ci_u32_e64 v3, null, v53, v19, vcc_lo
	s_wait_loadcnt 0x1
	ds_bpermute_b32 v88, v1, v4
	global_load_b32 v6, v[2:3], off
	v_add_co_u32 v2, vcc_lo, v54, v18
	s_wait_alu 0xfffd
	v_add_co_ci_u32_e64 v3, null, v55, v19, vcc_lo
	global_load_b32 v7, v[2:3], off
	v_add_co_u32 v2, vcc_lo, v20, v18
	s_wait_alu 0xfffd
	v_add_co_ci_u32_e64 v3, null, v21, v19, vcc_lo
	;; [unrolled: 4-line block ×15, first 2 shown]
	global_load_b32 v3, v[2:3], off
	s_wait_loadcnt 0x10
	ds_bpermute_b32 v2, v1, v5
	s_wait_loadcnt_dscnt 0xe01
	v_sub_f32_e32 v7, v7, v88
	s_delay_alu instid0(VALU_DEP_1) | instskip(SKIP_1) | instid1(VALU_DEP_1)
	v_mul_f32_e32 v7, v6, v7
	s_wait_dscnt 0x0
	v_fmac_f32_e32 v56, v7, v2
	ds_bpermute_b32 v7, v1, v4 offset:4
	v_add_f32_e32 v2, v48, v6
	ds_bpermute_b32 v6, v1, v5 offset:4
	s_wait_loadcnt 0xd
	v_add_f32_e32 v2, v2, v8
	s_wait_loadcnt 0xb
	s_delay_alu instid0(VALU_DEP_1) | instskip(SKIP_3) | instid1(VALU_DEP_1)
	v_add_f32_e32 v2, v2, v11
	s_wait_dscnt 0x1
	v_sub_f32_e32 v7, v10, v7
	s_wait_loadcnt 0x9
	v_dual_mul_f32 v7, v8, v7 :: v_dual_add_f32 v2, v2, v13
	s_wait_dscnt 0x0
	s_delay_alu instid0(VALU_DEP_1)
	v_fmac_f32_e32 v56, v7, v6
	ds_bpermute_b32 v7, v1, v4 offset:8
	ds_bpermute_b32 v6, v1, v5 offset:8
	s_wait_loadcnt 0x7
	v_add_f32_e32 v2, v2, v15
	s_wait_dscnt 0x1
	v_sub_f32_e32 v7, v12, v7
	s_delay_alu instid0(VALU_DEP_1) | instskip(SKIP_1) | instid1(VALU_DEP_1)
	v_mul_f32_e32 v7, v11, v7
	s_wait_dscnt 0x0
	v_fmac_f32_e32 v56, v7, v6
	ds_bpermute_b32 v7, v1, v4 offset:12
	ds_bpermute_b32 v6, v1, v5 offset:12
	s_wait_loadcnt 0x5
	v_add_f32_e32 v2, v2, v17
	s_wait_loadcnt 0x3
	s_delay_alu instid0(VALU_DEP_1) | instskip(SKIP_2) | instid1(VALU_DEP_1)
	v_add_f32_e32 v2, v2, v86
	s_wait_dscnt 0x1
	v_sub_f32_e32 v7, v14, v7
	v_mul_f32_e32 v7, v13, v7
	s_wait_dscnt 0x0
	s_delay_alu instid0(VALU_DEP_1) | instskip(SKIP_4) | instid1(VALU_DEP_1)
	v_fmac_f32_e32 v56, v7, v6
	ds_bpermute_b32 v7, v1, v4 offset:16
	ds_bpermute_b32 v6, v1, v5 offset:16
	s_wait_dscnt 0x1
	v_sub_f32_e32 v7, v16, v7
	v_mul_f32_e32 v7, v15, v7
	s_wait_dscnt 0x0
	s_delay_alu instid0(VALU_DEP_1) | instskip(SKIP_4) | instid1(VALU_DEP_1)
	v_fmac_f32_e32 v56, v7, v6
	ds_bpermute_b32 v7, v1, v4 offset:20
	ds_bpermute_b32 v6, v1, v5 offset:20
	s_wait_dscnt 0x1
	v_sub_f32_e32 v7, v85, v7
	v_mul_f32_e32 v7, v17, v7
	s_wait_dscnt 0x0
	s_delay_alu instid0(VALU_DEP_1)
	v_fmac_f32_e32 v56, v7, v6
	ds_bpermute_b32 v7, v1, v4 offset:24
	ds_bpermute_b32 v4, v1, v4 offset:28
	;; [unrolled: 1-line block ×4, first 2 shown]
	s_wait_loadcnt_dscnt 0x203
	v_sub_f32_e32 v7, v87, v7
	s_wait_loadcnt_dscnt 0x2
	v_sub_f32_e32 v3, v3, v4
	s_delay_alu instid0(VALU_DEP_2) | instskip(SKIP_1) | instid1(VALU_DEP_1)
	v_mul_f32_e32 v7, v86, v7
	s_wait_dscnt 0x1
	v_dual_mul_f32 v3, v9, v3 :: v_dual_fmac_f32 v56, v7, v6
	s_wait_dscnt 0x0
	s_delay_alu instid0(VALU_DEP_1)
	v_dual_mul_f32 v3, v3, v5 :: v_dual_mov_b32 v10, v56
.LBB55_55:                              ;   in Loop: Header=BB55_56 Depth=1
	v_add_co_u32 v52, vcc_lo, v52, s10
	s_wait_alu 0xfffd
	v_add_co_ci_u32_e64 v53, null, s11, v53, vcc_lo
	v_add_co_u32 v54, vcc_lo, v54, s10
	s_wait_alu 0xfffd
	v_add_co_ci_u32_e64 v55, null, s11, v55, vcc_lo
	v_add_co_u32 v20, vcc_lo, v20, s10
	s_wait_alu 0xfffd
	v_add_co_ci_u32_e64 v21, null, s11, v21, vcc_lo
	v_add_co_u32 v22, vcc_lo, v22, s10
	s_wait_alu 0xfffd
	v_add_co_ci_u32_e64 v23, null, s11, v23, vcc_lo
	v_add_co_u32 v24, vcc_lo, v24, s10
	s_wait_alu 0xfffd
	v_add_co_ci_u32_e64 v25, null, s11, v25, vcc_lo
	v_add_co_u32 v26, vcc_lo, v26, s10
	s_wait_alu 0xfffd
	v_add_co_ci_u32_e64 v27, null, s11, v27, vcc_lo
	v_add_co_u32 v28, vcc_lo, v28, s10
	s_wait_alu 0xfffd
	v_add_co_ci_u32_e64 v29, null, s11, v29, vcc_lo
	v_add_co_u32 v30, vcc_lo, v30, s10
	s_wait_alu 0xfffd
	v_add_co_ci_u32_e64 v31, null, s11, v31, vcc_lo
	v_add_co_u32 v32, vcc_lo, v32, s10
	s_wait_alu 0xfffd
	v_add_co_ci_u32_e64 v33, null, s11, v33, vcc_lo
	v_add_co_u32 v34, vcc_lo, v34, s10
	s_wait_alu 0xfffd
	v_add_co_ci_u32_e64 v35, null, s11, v35, vcc_lo
	v_add_co_u32 v36, vcc_lo, v36, s10
	s_wait_alu 0xfffd
	v_add_co_ci_u32_e64 v37, null, s11, v37, vcc_lo
	v_add_co_u32 v38, vcc_lo, v38, s10
	s_wait_alu 0xfffd
	v_add_co_ci_u32_e64 v39, null, s11, v39, vcc_lo
	v_add_co_u32 v40, vcc_lo, v40, s10
	s_wait_alu 0xfffd
	v_add_co_ci_u32_e64 v41, null, s11, v41, vcc_lo
	v_add_co_u32 v42, vcc_lo, v42, s10
	s_wait_alu 0xfffd
	v_add_co_ci_u32_e64 v43, null, s11, v43, vcc_lo
	v_add_co_u32 v44, vcc_lo, v44, s10
	s_wait_alu 0xfffd
	v_add_co_ci_u32_e64 v45, null, s11, v45, vcc_lo
	v_add_co_u32 v46, vcc_lo, v46, s10
	s_wait_alu 0xfffd
	v_add_co_ci_u32_e64 v47, null, s11, v47, vcc_lo
	v_add_co_u32 v57, vcc_lo, v57, s10
	s_wait_alu 0xfffd
	v_add_co_ci_u32_e64 v58, null, s11, v58, vcc_lo
	v_add_co_u32 v59, vcc_lo, v59, s10
	s_wait_alu 0xfffd
	v_add_co_ci_u32_e64 v60, null, s11, v60, vcc_lo
	v_add_co_u32 v61, vcc_lo, v61, s10
	s_wait_alu 0xfffd
	v_add_co_ci_u32_e64 v62, null, s11, v62, vcc_lo
	v_add_co_u32 v63, vcc_lo, v63, s10
	s_wait_alu 0xfffd
	v_add_co_ci_u32_e64 v64, null, s11, v64, vcc_lo
	v_add_co_u32 v65, vcc_lo, v65, s10
	s_wait_alu 0xfffd
	v_add_co_ci_u32_e64 v66, null, s11, v66, vcc_lo
	v_add_co_u32 v67, vcc_lo, v67, s10
	s_wait_alu 0xfffd
	v_add_co_ci_u32_e64 v68, null, s11, v68, vcc_lo
	v_add_co_u32 v69, vcc_lo, v69, s10
	s_wait_alu 0xfffd
	v_add_co_ci_u32_e64 v70, null, s11, v70, vcc_lo
	v_add_co_u32 v71, vcc_lo, v71, s10
	s_wait_alu 0xfffd
	v_add_co_ci_u32_e64 v72, null, s11, v72, vcc_lo
	v_add_co_u32 v73, vcc_lo, v73, s10
	s_wait_alu 0xfffd
	v_add_co_ci_u32_e64 v74, null, s11, v74, vcc_lo
	v_add_co_u32 v75, vcc_lo, v75, s10
	s_wait_alu 0xfffd
	v_add_co_ci_u32_e64 v76, null, s11, v76, vcc_lo
	v_add_co_u32 v77, vcc_lo, v77, s10
	s_wait_alu 0xfffd
	v_add_co_ci_u32_e64 v78, null, s11, v78, vcc_lo
	v_add_co_u32 v79, vcc_lo, v79, s10
	s_add_nc_u64 s[16:17], s[16:17], s[18:19]
	s_wait_alu 0xfffd
	v_add_co_ci_u32_e64 v80, null, s11, v80, vcc_lo
	v_add_co_u32 v81, vcc_lo, v81, s10
	s_wait_alu 0xfffe
	v_cmp_ge_i64_e64 s2, s[16:17], s[4:5]
	s_wait_alu 0xfffd
	v_add_co_ci_u32_e64 v82, null, s11, v82, vcc_lo
	v_add_co_u32 v83, vcc_lo, v83, s10
	v_add_f32_e32 v56, v10, v3
	v_add_f32_e32 v48, v2, v9
	s_wait_alu 0xfffd
	v_add_co_ci_u32_e64 v84, null, s11, v84, vcc_lo
	s_and_b32 vcc_lo, exec_lo, s2
	s_add_nc_u64 s[20:21], s[20:21], s[18:19]
	s_wait_alu 0xfffe
	s_cbranch_vccnz .LBB55_82
.LBB55_56:                              ; =>This Inner Loop Header: Depth=1
	s_wait_alu 0xfffe
	v_cmp_ge_i64_e64 s2, s[20:21], s[4:5]
	v_add_co_u32 v85, s22, v50, s20
	s_wait_alu 0xf1ff
	v_add_co_ci_u32_e64 v86, null, 0, s21, s22
                                        ; implicit-def: $vgpr9
                                        ; implicit-def: $vgpr3
                                        ; implicit-def: $vgpr2
                                        ; implicit-def: $vgpr10
	s_and_b32 vcc_lo, exec_lo, s2
	s_mov_b32 s2, -1
	s_wait_alu 0xfffe
	s_cbranch_vccz .LBB55_78
; %bb.57:                               ;   in Loop: Header=BB55_56 Depth=1
	s_load_b32 s2, s[8:9], 0xc
	v_dual_mov_b32 v88, 0 :: v_dual_mov_b32 v87, 0
	s_wait_kmcnt 0x0
	s_and_b32 s2, s2, 0xffff
	s_wait_alu 0xfffe
	v_mad_u32_u24 v2, v49, s2, v51
	s_mov_b32 s2, exec_lo
	s_delay_alu instid0(VALU_DEP_1) | instskip(NEXT) | instid1(VALU_DEP_1)
	v_and_b32_e32 v2, 31, v2
	v_cmpx_gt_u32_e32 8, v2
	s_cbranch_execz .LBB55_61
; %bb.58:                               ;   in Loop: Header=BB55_56 Depth=1
	v_add_co_u32 v2, vcc_lo, v85, v2
	s_wait_alu 0xfffd
	v_add_co_ci_u32_e64 v3, null, 0, v86, vcc_lo
	v_dual_mov_b32 v87, 0 :: v_dual_mov_b32 v88, 0
	s_delay_alu instid0(VALU_DEP_3) | instskip(SKIP_1) | instid1(VALU_DEP_3)
	v_add_co_u32 v2, vcc_lo, 0xffffffc1, v2
	s_wait_alu 0xfffd
	v_add_co_ci_u32_e64 v3, null, -1, v3, vcc_lo
	s_mov_b32 s22, exec_lo
	v_cmpx_gt_i64_e64 s[4:5], v[2:3]
	s_cbranch_execz .LBB55_60
; %bb.59:                               ;   in Loop: Header=BB55_56 Depth=1
	v_lshlrev_b64_e32 v[2:3], 2, v[2:3]
	s_delay_alu instid0(VALU_DEP_1) | instskip(SKIP_1) | instid1(VALU_DEP_2)
	v_add_co_u32 v4, vcc_lo, s12, v2
	s_wait_alu 0xfffd
	v_add_co_ci_u32_e64 v5, null, s13, v3, vcc_lo
	v_add_co_u32 v2, vcc_lo, s14, v2
	s_wait_alu 0xfffd
	v_add_co_ci_u32_e64 v3, null, s15, v3, vcc_lo
	global_load_b32 v87, v[4:5], off
	global_load_b32 v88, v[2:3], off
.LBB55_60:                              ;   in Loop: Header=BB55_56 Depth=1
	s_wait_alu 0xfffe
	s_or_b32 exec_lo, exec_lo, s22
.LBB55_61:                              ;   in Loop: Header=BB55_56 Depth=1
	s_wait_alu 0xfffe
	s_or_b32 exec_lo, exec_lo, s2
	v_add_co_u32 v9, vcc_lo, 0xffffffc1, v85
	s_wait_alu 0xfffd
	v_add_co_ci_u32_e64 v10, null, -1, v86, vcc_lo
	v_mov_b32_e32 v8, v1
	v_dual_mov_b32 v2, v1 :: v_dual_mov_b32 v3, v1
	v_dual_mov_b32 v4, v1 :: v_dual_mov_b32 v5, v1
	v_dual_mov_b32 v6, v1 :: v_dual_mov_b32 v7, v1
	v_cmp_gt_i64_e32 vcc_lo, s[4:5], v[9:10]
	s_delay_alu instid0(VALU_DEP_3) | instskip(NEXT) | instid1(VALU_DEP_3)
	v_dual_mov_b32 v17, v8 :: v_dual_mov_b32 v14, v5
	v_dual_mov_b32 v15, v6 :: v_dual_mov_b32 v16, v7
	;; [unrolled: 1-line block ×4, first 2 shown]
	v_mov_b32_e32 v9, v8
	v_mov_b32_e32 v8, v7
	v_mov_b32_e32 v7, v6
	v_mov_b32_e32 v6, v5
	v_mov_b32_e32 v5, v4
	v_mov_b32_e32 v4, v3
	v_mov_b32_e32 v3, v2
	v_mov_b32_e32 v2, v1
	s_and_saveexec_b32 s2, vcc_lo
	s_cbranch_execz .LBB55_63
; %bb.62:                               ;   in Loop: Header=BB55_56 Depth=1
	v_add_co_u32 v2, vcc_lo, v52, v18
	s_wait_alu 0xfffd
	v_add_co_ci_u32_e64 v3, null, v53, v19, vcc_lo
	v_add_co_u32 v4, vcc_lo, v54, v18
	s_wait_alu 0xfffd
	v_add_co_ci_u32_e64 v5, null, v55, v19, vcc_lo
	global_load_b32 v2, v[2:3], off
	global_load_b32 v10, v[4:5], off
	v_dual_mov_b32 v3, v1 :: v_dual_mov_b32 v4, v1
	v_dual_mov_b32 v5, v1 :: v_dual_mov_b32 v6, v1
	;; [unrolled: 1-line block ×6, first 2 shown]
	v_mov_b32_e32 v15, v1
	v_mov_b32_e32 v17, v1
.LBB55_63:                              ;   in Loop: Header=BB55_56 Depth=1
	s_wait_alu 0xfffe
	s_or_b32 exec_lo, exec_lo, s2
	v_add_co_u32 v89, vcc_lo, 0xffffffc2, v85
	s_wait_alu 0xfffd
	v_add_co_ci_u32_e64 v90, null, -1, v86, vcc_lo
	s_mov_b32 s2, exec_lo
	v_cmpx_gt_i64_e64 s[4:5], v[89:90]
	s_cbranch_execz .LBB55_65
; %bb.64:                               ;   in Loop: Header=BB55_56 Depth=1
	v_add_co_u32 v89, vcc_lo, v81, v18
	s_wait_alu 0xfffd
	v_add_co_ci_u32_e64 v90, null, v82, v19, vcc_lo
	v_add_co_u32 v91, vcc_lo, v83, v18
	s_wait_alu 0xfffd
	v_add_co_ci_u32_e64 v92, null, v84, v19, vcc_lo
	global_load_b32 v3, v[89:90], off
	global_load_b32 v11, v[91:92], off
.LBB55_65:                              ;   in Loop: Header=BB55_56 Depth=1
	s_wait_alu 0xfffe
	s_or_b32 exec_lo, exec_lo, s2
	v_add_co_u32 v89, vcc_lo, 0xffffffc3, v85
	s_wait_alu 0xfffd
	v_add_co_ci_u32_e64 v90, null, -1, v86, vcc_lo
	s_mov_b32 s2, exec_lo
	v_cmpx_gt_i64_e64 s[4:5], v[89:90]
	s_cbranch_execz .LBB55_67
; %bb.66:                               ;   in Loop: Header=BB55_56 Depth=1
	v_add_co_u32 v89, vcc_lo, v77, v18
	s_wait_alu 0xfffd
	v_add_co_ci_u32_e64 v90, null, v78, v19, vcc_lo
	v_add_co_u32 v91, vcc_lo, v79, v18
	s_wait_alu 0xfffd
	v_add_co_ci_u32_e64 v92, null, v80, v19, vcc_lo
	global_load_b32 v4, v[89:90], off
	global_load_b32 v12, v[91:92], off
.LBB55_67:                              ;   in Loop: Header=BB55_56 Depth=1
	;; [unrolled: 18-line block ×7, first 2 shown]
	s_wait_alu 0xfffe
	s_or_b32 exec_lo, exec_lo, s2
	s_wait_loadcnt 0x1
	ds_bpermute_b32 v90, v1, v87
	s_wait_loadcnt 0x0
	ds_bpermute_b32 v89, v1, v88
	s_mov_b32 s2, 0
	s_wait_dscnt 0x1
	v_sub_f32_e32 v10, v10, v90
	ds_bpermute_b32 v90, v1, v87 offset:4
	s_wait_dscnt 0x0
	v_sub_f32_e32 v11, v11, v90
	s_delay_alu instid0(VALU_DEP_1) | instskip(SKIP_1) | instid1(VALU_DEP_2)
	v_dual_mul_f32 v11, v3, v11 :: v_dual_mul_f32 v10, v2, v10
	v_add_f32_e32 v2, v48, v2
	v_fma_f32 v10, v10, v89, v56
	ds_bpermute_b32 v89, v1, v88 offset:4
	v_add_f32_e32 v2, v3, v2
	ds_bpermute_b32 v3, v1, v88 offset:8
	v_add_f32_e32 v2, v4, v2
	s_delay_alu instid0(VALU_DEP_1) | instskip(NEXT) | instid1(VALU_DEP_1)
	v_add_f32_e32 v2, v5, v2
	v_add_f32_e32 v2, v6, v2
	s_wait_dscnt 0x1
	v_fmac_f32_e32 v10, v11, v89
	ds_bpermute_b32 v11, v1, v87 offset:8
	v_add_f32_e32 v2, v7, v2
	s_delay_alu instid0(VALU_DEP_1) | instskip(SKIP_2) | instid1(VALU_DEP_1)
	v_add_f32_e32 v2, v8, v2
	s_wait_dscnt 0x0
	v_sub_f32_e32 v11, v12, v11
	v_mul_f32_e32 v11, v4, v11
	ds_bpermute_b32 v4, v1, v87 offset:12
	v_fmac_f32_e32 v10, v11, v3
	ds_bpermute_b32 v3, v1, v88 offset:12
	s_wait_dscnt 0x1
	v_sub_f32_e32 v4, v13, v4
	s_delay_alu instid0(VALU_DEP_1) | instskip(SKIP_1) | instid1(VALU_DEP_1)
	v_mul_f32_e32 v4, v5, v4
	s_wait_dscnt 0x0
	v_fmac_f32_e32 v10, v4, v3
	ds_bpermute_b32 v4, v1, v87 offset:16
	ds_bpermute_b32 v3, v1, v88 offset:16
	s_wait_dscnt 0x1
	v_sub_f32_e32 v4, v14, v4
	s_delay_alu instid0(VALU_DEP_1) | instskip(SKIP_1) | instid1(VALU_DEP_1)
	v_mul_f32_e32 v4, v6, v4
	s_wait_dscnt 0x0
	v_fmac_f32_e32 v10, v4, v3
	ds_bpermute_b32 v4, v1, v87 offset:20
	;; [unrolled: 8-line block ×4, first 2 shown]
	ds_bpermute_b32 v3, v1, v88 offset:28
	s_wait_dscnt 0x1
	v_sub_f32_e32 v4, v17, v4
	s_delay_alu instid0(VALU_DEP_1) | instskip(SKIP_1) | instid1(VALU_DEP_1)
	v_mul_f32_e32 v4, v9, v4
	s_wait_dscnt 0x0
	v_mul_f32_e32 v3, v4, v3
.LBB55_78:                              ;   in Loop: Header=BB55_56 Depth=1
	s_wait_alu 0xfffe
	s_and_b32 vcc_lo, exec_lo, s2
	s_wait_alu 0xfffe
	s_cbranch_vccz .LBB55_55
; %bb.79:                               ;   in Loop: Header=BB55_56 Depth=1
	s_load_b32 s2, s[8:9], 0x0
	v_dual_mov_b32 v4, 0 :: v_dual_mov_b32 v5, 0
	s_wait_kmcnt 0x0
	s_cmp_lt_u32 ttmp9, s2
	s_cselect_b32 s2, 12, 18
	s_wait_alu 0xfffe
	s_add_nc_u64 s[22:23], s[8:9], s[2:3]
	s_load_u16 s2, s[22:23], 0x0
	s_wait_kmcnt 0x0
	v_mad_u32_u24 v2, v49, s2, v51
	s_mov_b32 s2, exec_lo
	s_delay_alu instid0(VALU_DEP_1) | instskip(NEXT) | instid1(VALU_DEP_1)
	v_and_b32_e32 v2, 31, v2
	v_cmpx_gt_u32_e32 8, v2
	s_cbranch_execz .LBB55_54
; %bb.80:                               ;   in Loop: Header=BB55_56 Depth=1
	v_add_co_u32 v2, vcc_lo, v85, v2
	s_wait_alu 0xfffd
	v_add_co_ci_u32_e64 v3, null, 0, v86, vcc_lo
	v_dual_mov_b32 v4, 0 :: v_dual_mov_b32 v5, 0
	s_delay_alu instid0(VALU_DEP_3) | instskip(SKIP_1) | instid1(VALU_DEP_3)
	v_add_co_u32 v2, vcc_lo, 0xffffffc1, v2
	s_wait_alu 0xfffd
	v_add_co_ci_u32_e64 v3, null, -1, v3, vcc_lo
	s_mov_b32 s22, exec_lo
	v_cmpx_gt_i64_e64 s[4:5], v[2:3]
	s_cbranch_execz .LBB55_53
; %bb.81:                               ;   in Loop: Header=BB55_56 Depth=1
	v_lshlrev_b64_e32 v[2:3], 2, v[2:3]
	s_delay_alu instid0(VALU_DEP_1) | instskip(SKIP_1) | instid1(VALU_DEP_2)
	v_add_co_u32 v4, vcc_lo, s12, v2
	s_wait_alu 0xfffd
	v_add_co_ci_u32_e64 v5, null, s13, v3, vcc_lo
	v_add_co_u32 v2, vcc_lo, s14, v2
	s_wait_alu 0xfffd
	v_add_co_ci_u32_e64 v3, null, s15, v3, vcc_lo
	global_load_b32 v4, v[4:5], off
	global_load_b32 v5, v[2:3], off
	s_branch .LBB55_53
.LBB55_82:
	v_and_b32_e32 v8, 0x3ff, v0
	v_bfe_u32 v0, v0, 10, 10
	s_mov_b32 s2, exec_lo
	s_delay_alu instid0(VALU_DEP_1) | instskip(NEXT) | instid1(VALU_DEP_1)
	v_mad_u32_u24 v1, 0x41, v0, v8
	v_lshl_add_u32 v2, v1, 2, 0
	v_sub_nc_u32_e32 v3, v1, v0
	ds_store_b32 v2, v56
	ds_store_b32 v2, v48 offset:2080
	s_wait_dscnt 0x0
	s_barrier_signal -1
	s_barrier_wait -1
	global_inv scope:SCOPE_SE
	v_cmpx_gt_u32_e32 0x800, v3
	s_cbranch_execz .LBB55_114
; %bb.83:
	s_load_b128 s[8:11], s[0:1], 0x30
	v_and_b32_e32 v0, 31, v8
	v_lshrrev_b32_e32 v2, 5, v3
                                        ; implicit-def: $vgpr1
	s_delay_alu instid0(VALU_DEP_2)
	v_cmp_gt_u32_e64 s0, 8, v0
	v_mul_u32_u24_e32 v4, 0x41, v0
                                        ; implicit-def: $vgpr0
	s_and_saveexec_b32 s1, s0
	s_cbranch_execz .LBB55_85
; %bb.84:
	s_delay_alu instid0(VALU_DEP_1) | instskip(NEXT) | instid1(VALU_DEP_1)
	v_add_nc_u32_e32 v0, v2, v4
	v_lshl_add_u32 v0, v0, 2, 0
	ds_load_b32 v1, v0
	ds_load_b32 v0, v0 offset:2080
.LBB55_85:
	s_or_b32 exec_lo, exec_lo, s1
	v_mbcnt_lo_u32_b32 v7, -1, 0
	s_mov_b32 s2, ttmp9
	s_mov_b32 s3, 0
	v_cmp_eq_u32_e64 s1, 0, v8
	s_wait_alu 0xfffe
	s_lshl_b64 s[2:3], s[2:3], 6
	v_xor_b32_e32 v5, 4, v7
	v_xor_b32_e32 v6, 2, v7
	;; [unrolled: 1-line block ×3, first 2 shown]
	s_wait_kmcnt 0x0
	s_cmp_lg_u64 s[8:9], 0
	s_cselect_b32 s5, -1, 0
	v_cmp_gt_i32_e32 vcc_lo, 32, v5
	s_cmp_lg_u64 s[10:11], 0
	s_cselect_b32 s4, -1, 0
	s_wait_alu 0xfffd
	v_cndmask_b32_e32 v5, v7, v5, vcc_lo
	v_cmp_gt_i32_e32 vcc_lo, 32, v6
	s_wait_alu 0xfffd
	v_cndmask_b32_e32 v6, v7, v6, vcc_lo
	v_cmp_gt_i32_e32 vcc_lo, 32, v11
	s_delay_alu instid0(VALU_DEP_2)
	v_lshlrev_b32_e32 v6, 2, v6
	v_lshlrev_b32_e32 v5, 2, v5
	s_wait_dscnt 0x0
	ds_bpermute_b32 v10, v5, v0
	s_wait_dscnt 0x0
	v_add_f32_e32 v0, v0, v10
	ds_bpermute_b32 v9, v5, v1
	ds_bpermute_b32 v10, v6, v0
	s_wait_alu 0xfffd
	v_cndmask_b32_e32 v7, v7, v11, vcc_lo
	s_wait_dscnt 0x0
	v_dual_add_f32 v1, v1, v9 :: v_dual_add_f32 v10, v0, v10
	ds_bpermute_b32 v9, v6, v1
	v_lshlrev_b32_e32 v7, 2, v7
	s_wait_alu 0xfffe
	v_or_b32_e32 v0, s2, v2
	ds_bpermute_b32 v12, v7, v10
	s_wait_dscnt 0x1
	v_add_f32_e32 v9, v1, v9
	ds_bpermute_b32 v11, v7, v9
	s_wait_dscnt 0x0
	v_dual_mov_b32 v1, s3 :: v_dual_add_f32 v8, v9, v11
	s_delay_alu instid0(VALU_DEP_1)
	v_cmp_gt_i64_e32 vcc_lo, s[6:7], v[0:1]
	v_add_f32_e32 v9, v10, v12
	s_and_b32 s13, s1, vcc_lo
	s_wait_alu 0xfffe
	s_and_saveexec_b32 s12, s13
	s_cbranch_execz .LBB55_90
; %bb.86:
	v_lshlrev_b64_e32 v[0:1], 2, v[0:1]
	s_and_not1_b32 vcc_lo, exec_lo, s5
	s_wait_alu 0xfffe
	s_cbranch_vccnz .LBB55_88
; %bb.87:
	s_delay_alu instid0(VALU_DEP_1)
	v_add_co_u32 v10, vcc_lo, s8, v0
	s_wait_alu 0xfffd
	v_add_co_ci_u32_e64 v11, null, s9, v1, vcc_lo
	global_store_b32 v[10:11], v8, off
.LBB55_88:
	s_and_not1_b32 vcc_lo, exec_lo, s4
	s_wait_alu 0xfffe
	s_cbranch_vccnz .LBB55_90
; %bb.89:
	v_add_co_u32 v0, vcc_lo, s10, v0
	s_wait_alu 0xfffd
	v_add_co_ci_u32_e64 v1, null, s11, v1, vcc_lo
	global_store_b32 v[0:1], v9, off
.LBB55_90:
	s_wait_alu 0xfffe
	s_or_b32 exec_lo, exec_lo, s12
	v_cmp_gt_u32_e32 vcc_lo, 0x600, v3
	s_and_b32 exec_lo, exec_lo, vcc_lo
	s_cbranch_execz .LBB55_114
; %bb.91:
	s_and_saveexec_b32 s12, s0
	s_cbranch_execz .LBB55_93
; %bb.92:
	v_add_nc_u32_e32 v0, v2, v4
	s_delay_alu instid0(VALU_DEP_1)
	v_lshl_add_u32 v0, v0, 2, 0
	ds_load_b32 v8, v0 offset:64
	ds_load_b32 v9, v0 offset:2144
.LBB55_93:
	s_wait_alu 0xfffe
	s_or_b32 exec_lo, exec_lo, s12
	s_wait_dscnt 0x1
	ds_bpermute_b32 v0, v5, v8
	s_wait_dscnt 0x1
	ds_bpermute_b32 v1, v5, v9
	s_wait_dscnt 0x0
	v_dual_add_f32 v0, v8, v0 :: v_dual_add_f32 v1, v9, v1
	ds_bpermute_b32 v8, v6, v0
	ds_bpermute_b32 v9, v6, v1
	s_wait_dscnt 0x0
	v_dual_add_f32 v8, v0, v8 :: v_dual_add_f32 v9, v1, v9
	ds_bpermute_b32 v10, v7, v8
	ds_bpermute_b32 v11, v7, v9
	v_add_nc_u32_e32 v0, 16, v2
	s_delay_alu instid0(VALU_DEP_1) | instskip(SKIP_2) | instid1(VALU_DEP_1)
	v_add_co_u32 v0, s12, s2, v0
	s_wait_alu 0xf1ff
	v_add_co_ci_u32_e64 v1, null, s3, 0, s12
	v_cmp_gt_i64_e32 vcc_lo, s[6:7], v[0:1]
	s_and_b32 s13, s1, vcc_lo
	s_wait_dscnt 0x0
	v_dual_add_f32 v0, v8, v10 :: v_dual_add_f32 v1, v9, v11
	s_wait_alu 0xfffe
	s_and_saveexec_b32 s12, s13
	s_cbranch_execz .LBB55_98
; %bb.94:
	s_and_not1_b32 vcc_lo, exec_lo, s5
	s_wait_alu 0xfffe
	s_cbranch_vccnz .LBB55_96
; %bb.95:
	v_add_co_u32 v8, s13, s2, v2
	s_wait_alu 0xf1ff
	v_add_co_ci_u32_e64 v9, null, s3, 0, s13
	s_delay_alu instid0(VALU_DEP_1) | instskip(NEXT) | instid1(VALU_DEP_1)
	v_lshlrev_b64_e32 v[8:9], 2, v[8:9]
	v_add_co_u32 v8, vcc_lo, s8, v8
	s_wait_alu 0xfffd
	s_delay_alu instid0(VALU_DEP_2)
	v_add_co_ci_u32_e64 v9, null, s9, v9, vcc_lo
	global_store_b32 v[8:9], v0, off offset:64
.LBB55_96:
	s_and_not1_b32 vcc_lo, exec_lo, s4
	s_wait_alu 0xfffe
	s_cbranch_vccnz .LBB55_98
; %bb.97:
	v_add_co_u32 v8, s13, s2, v2
	s_wait_alu 0xf1ff
	v_add_co_ci_u32_e64 v9, null, s3, 0, s13
	s_delay_alu instid0(VALU_DEP_1) | instskip(NEXT) | instid1(VALU_DEP_1)
	v_lshlrev_b64_e32 v[8:9], 2, v[8:9]
	v_add_co_u32 v8, vcc_lo, s10, v8
	s_wait_alu 0xfffd
	s_delay_alu instid0(VALU_DEP_2)
	v_add_co_ci_u32_e64 v9, null, s11, v9, vcc_lo
	global_store_b32 v[8:9], v1, off offset:64
.LBB55_98:
	s_wait_alu 0xfffe
	s_or_b32 exec_lo, exec_lo, s12
	v_cmp_gt_u32_e32 vcc_lo, 0x400, v3
	s_and_b32 exec_lo, exec_lo, vcc_lo
	s_cbranch_execz .LBB55_114
; %bb.99:
	s_and_saveexec_b32 s12, s0
	s_cbranch_execz .LBB55_101
; %bb.100:
	v_add_nc_u32_e32 v0, v2, v4
	s_delay_alu instid0(VALU_DEP_1)
	v_lshl_add_u32 v1, v0, 2, 0
	ds_load_b32 v0, v1 offset:128
	ds_load_b32 v1, v1 offset:2208
.LBB55_101:
	s_wait_alu 0xfffe
	s_or_b32 exec_lo, exec_lo, s12
	s_wait_dscnt 0x1
	ds_bpermute_b32 v8, v5, v0
	s_wait_dscnt 0x1
	ds_bpermute_b32 v9, v5, v1
	s_wait_dscnt 0x0
	v_dual_add_f32 v0, v0, v8 :: v_dual_add_f32 v1, v1, v9
	ds_bpermute_b32 v8, v6, v0
	ds_bpermute_b32 v9, v6, v1
	s_wait_dscnt 0x0
	v_dual_add_f32 v8, v0, v8 :: v_dual_add_f32 v9, v1, v9
	v_dual_mov_b32 v1, s3 :: v_dual_add_nc_u32 v0, 32, v2
	ds_bpermute_b32 v10, v7, v8
	ds_bpermute_b32 v11, v7, v9
	v_or_b32_e32 v0, s2, v0
	s_delay_alu instid0(VALU_DEP_1)
	v_cmp_gt_i64_e32 vcc_lo, s[6:7], v[0:1]
	s_and_b32 s13, s1, vcc_lo
	s_wait_dscnt 0x0
	v_dual_add_f32 v0, v8, v10 :: v_dual_add_f32 v1, v9, v11
	s_wait_alu 0xfffe
	s_and_saveexec_b32 s12, s13
	s_cbranch_execz .LBB55_106
; %bb.102:
	s_and_not1_b32 vcc_lo, exec_lo, s5
	s_wait_alu 0xfffe
	s_cbranch_vccnz .LBB55_104
; %bb.103:
	v_add_co_u32 v8, s13, s2, v2
	s_wait_alu 0xf1ff
	v_add_co_ci_u32_e64 v9, null, s3, 0, s13
	s_delay_alu instid0(VALU_DEP_1) | instskip(NEXT) | instid1(VALU_DEP_1)
	v_lshlrev_b64_e32 v[8:9], 2, v[8:9]
	v_add_co_u32 v8, vcc_lo, s8, v8
	s_wait_alu 0xfffd
	s_delay_alu instid0(VALU_DEP_2)
	v_add_co_ci_u32_e64 v9, null, s9, v9, vcc_lo
	global_store_b32 v[8:9], v0, off offset:128
.LBB55_104:
	s_and_not1_b32 vcc_lo, exec_lo, s4
	s_wait_alu 0xfffe
	s_cbranch_vccnz .LBB55_106
; %bb.105:
	v_add_co_u32 v8, s13, s2, v2
	s_wait_alu 0xf1ff
	v_add_co_ci_u32_e64 v9, null, s3, 0, s13
	s_delay_alu instid0(VALU_DEP_1) | instskip(NEXT) | instid1(VALU_DEP_1)
	v_lshlrev_b64_e32 v[8:9], 2, v[8:9]
	v_add_co_u32 v8, vcc_lo, s10, v8
	s_wait_alu 0xfffd
	s_delay_alu instid0(VALU_DEP_2)
	v_add_co_ci_u32_e64 v9, null, s11, v9, vcc_lo
	global_store_b32 v[8:9], v1, off offset:128
.LBB55_106:
	s_wait_alu 0xfffe
	s_or_b32 exec_lo, exec_lo, s12
	v_cmp_gt_u32_e32 vcc_lo, 0x200, v3
	s_and_b32 exec_lo, exec_lo, vcc_lo
	s_cbranch_execz .LBB55_114
; %bb.107:
	s_and_saveexec_b32 s12, s0
	s_cbranch_execz .LBB55_109
; %bb.108:
	v_add_nc_u32_e32 v0, v2, v4
	s_delay_alu instid0(VALU_DEP_1)
	v_lshl_add_u32 v1, v0, 2, 0
	ds_load_b32 v0, v1 offset:192
	ds_load_b32 v1, v1 offset:2272
.LBB55_109:
	s_wait_alu 0xfffe
	s_or_b32 exec_lo, exec_lo, s12
	s_wait_dscnt 0x1
	ds_bpermute_b32 v3, v5, v0
	s_wait_dscnt 0x1
	ds_bpermute_b32 v4, v5, v1
	s_wait_dscnt 0x1
	v_dual_add_f32 v0, v0, v3 :: v_dual_add_nc_u32 v5, 48, v2
	s_wait_dscnt 0x0
	v_add_f32_e32 v1, v1, v4
	ds_bpermute_b32 v3, v6, v0
	ds_bpermute_b32 v4, v6, v1
	v_mov_b32_e32 v6, s3
	v_or_b32_e32 v5, s2, v5
	s_delay_alu instid0(VALU_DEP_1)
	v_cmp_gt_i64_e32 vcc_lo, s[6:7], v[5:6]
	s_and_b32 s0, s1, vcc_lo
	s_wait_dscnt 0x0
	v_dual_add_f32 v3, v0, v3 :: v_dual_add_f32 v0, v1, v4
	ds_bpermute_b32 v4, v7, v3
	ds_bpermute_b32 v1, v7, v0
	s_and_b32 exec_lo, exec_lo, s0
	s_cbranch_execz .LBB55_114
; %bb.110:
	s_and_not1_b32 vcc_lo, exec_lo, s5
	s_wait_alu 0xfffe
	s_cbranch_vccnz .LBB55_112
; %bb.111:
	v_add_co_u32 v5, s0, s2, v2
	s_delay_alu instid0(VALU_DEP_1) | instskip(SKIP_2) | instid1(VALU_DEP_2)
	v_add_co_ci_u32_e64 v6, null, s3, 0, s0
	s_wait_dscnt 0x1
	v_add_f32_e32 v7, v3, v4
	v_lshlrev_b64_e32 v[5:6], 2, v[5:6]
	s_delay_alu instid0(VALU_DEP_1) | instskip(SKIP_1) | instid1(VALU_DEP_2)
	v_add_co_u32 v3, vcc_lo, s8, v5
	s_wait_alu 0xfffd
	v_add_co_ci_u32_e64 v4, null, s9, v6, vcc_lo
	global_store_b32 v[3:4], v7, off offset:192
.LBB55_112:
	s_and_not1_b32 vcc_lo, exec_lo, s4
	s_wait_alu 0xfffe
	s_cbranch_vccnz .LBB55_114
; %bb.113:
	v_add_co_u32 v2, s0, s2, v2
	s_wait_alu 0xf1ff
	v_add_co_ci_u32_e64 v3, null, s3, 0, s0
	s_wait_dscnt 0x0
	v_add_f32_e32 v4, v0, v1
	s_delay_alu instid0(VALU_DEP_2) | instskip(NEXT) | instid1(VALU_DEP_1)
	v_lshlrev_b64_e32 v[2:3], 2, v[2:3]
	v_add_co_u32 v0, vcc_lo, s10, v2
	s_wait_alu 0xfffd
	s_delay_alu instid0(VALU_DEP_2)
	v_add_co_ci_u32_e64 v1, null, s11, v3, vcc_lo
	global_store_b32 v[0:1], v4, off offset:192
.LBB55_114:
	s_endpgm
	.section	.rodata,"a",@progbits
	.p2align	6, 0x0
	.amdhsa_kernel _ZN2at6native12_GLOBAL__N_135GammaBetaBackwardCUDAKernelTemplateIffLj64ELj8ELj64ELb0ELb0ELb0EEEvllPKT_S5_PKT0_S8_PS3_S9_
		.amdhsa_group_segment_fixed_size 0
		.amdhsa_private_segment_fixed_size 0
		.amdhsa_kernarg_size 320
		.amdhsa_user_sgpr_count 2
		.amdhsa_user_sgpr_dispatch_ptr 0
		.amdhsa_user_sgpr_queue_ptr 0
		.amdhsa_user_sgpr_kernarg_segment_ptr 1
		.amdhsa_user_sgpr_dispatch_id 0
		.amdhsa_user_sgpr_private_segment_size 0
		.amdhsa_wavefront_size32 1
		.amdhsa_uses_dynamic_stack 0
		.amdhsa_enable_private_segment 0
		.amdhsa_system_sgpr_workgroup_id_x 1
		.amdhsa_system_sgpr_workgroup_id_y 1
		.amdhsa_system_sgpr_workgroup_id_z 0
		.amdhsa_system_sgpr_workgroup_info 0
		.amdhsa_system_vgpr_workitem_id 1
		.amdhsa_next_free_vgpr 93
		.amdhsa_next_free_sgpr 36
		.amdhsa_reserve_vcc 1
		.amdhsa_float_round_mode_32 0
		.amdhsa_float_round_mode_16_64 0
		.amdhsa_float_denorm_mode_32 3
		.amdhsa_float_denorm_mode_16_64 3
		.amdhsa_fp16_overflow 0
		.amdhsa_workgroup_processor_mode 1
		.amdhsa_memory_ordered 1
		.amdhsa_forward_progress 1
		.amdhsa_inst_pref_size 86
		.amdhsa_round_robin_scheduling 0
		.amdhsa_exception_fp_ieee_invalid_op 0
		.amdhsa_exception_fp_denorm_src 0
		.amdhsa_exception_fp_ieee_div_zero 0
		.amdhsa_exception_fp_ieee_overflow 0
		.amdhsa_exception_fp_ieee_underflow 0
		.amdhsa_exception_fp_ieee_inexact 0
		.amdhsa_exception_int_div_zero 0
	.end_amdhsa_kernel
	.section	.text._ZN2at6native12_GLOBAL__N_135GammaBetaBackwardCUDAKernelTemplateIffLj64ELj8ELj64ELb0ELb0ELb0EEEvllPKT_S5_PKT0_S8_PS3_S9_,"axG",@progbits,_ZN2at6native12_GLOBAL__N_135GammaBetaBackwardCUDAKernelTemplateIffLj64ELj8ELj64ELb0ELb0ELb0EEEvllPKT_S5_PKT0_S8_PS3_S9_,comdat
.Lfunc_end55:
	.size	_ZN2at6native12_GLOBAL__N_135GammaBetaBackwardCUDAKernelTemplateIffLj64ELj8ELj64ELb0ELb0ELb0EEEvllPKT_S5_PKT0_S8_PS3_S9_, .Lfunc_end55-_ZN2at6native12_GLOBAL__N_135GammaBetaBackwardCUDAKernelTemplateIffLj64ELj8ELj64ELb0ELb0ELb0EEEvllPKT_S5_PKT0_S8_PS3_S9_
                                        ; -- End function
	.set _ZN2at6native12_GLOBAL__N_135GammaBetaBackwardCUDAKernelTemplateIffLj64ELj8ELj64ELb0ELb0ELb0EEEvllPKT_S5_PKT0_S8_PS3_S9_.num_vgpr, 93
	.set _ZN2at6native12_GLOBAL__N_135GammaBetaBackwardCUDAKernelTemplateIffLj64ELj8ELj64ELb0ELb0ELb0EEEvllPKT_S5_PKT0_S8_PS3_S9_.num_agpr, 0
	.set _ZN2at6native12_GLOBAL__N_135GammaBetaBackwardCUDAKernelTemplateIffLj64ELj8ELj64ELb0ELb0ELb0EEEvllPKT_S5_PKT0_S8_PS3_S9_.numbered_sgpr, 36
	.set _ZN2at6native12_GLOBAL__N_135GammaBetaBackwardCUDAKernelTemplateIffLj64ELj8ELj64ELb0ELb0ELb0EEEvllPKT_S5_PKT0_S8_PS3_S9_.num_named_barrier, 0
	.set _ZN2at6native12_GLOBAL__N_135GammaBetaBackwardCUDAKernelTemplateIffLj64ELj8ELj64ELb0ELb0ELb0EEEvllPKT_S5_PKT0_S8_PS3_S9_.private_seg_size, 0
	.set _ZN2at6native12_GLOBAL__N_135GammaBetaBackwardCUDAKernelTemplateIffLj64ELj8ELj64ELb0ELb0ELb0EEEvllPKT_S5_PKT0_S8_PS3_S9_.uses_vcc, 1
	.set _ZN2at6native12_GLOBAL__N_135GammaBetaBackwardCUDAKernelTemplateIffLj64ELj8ELj64ELb0ELb0ELb0EEEvllPKT_S5_PKT0_S8_PS3_S9_.uses_flat_scratch, 0
	.set _ZN2at6native12_GLOBAL__N_135GammaBetaBackwardCUDAKernelTemplateIffLj64ELj8ELj64ELb0ELb0ELb0EEEvllPKT_S5_PKT0_S8_PS3_S9_.has_dyn_sized_stack, 0
	.set _ZN2at6native12_GLOBAL__N_135GammaBetaBackwardCUDAKernelTemplateIffLj64ELj8ELj64ELb0ELb0ELb0EEEvllPKT_S5_PKT0_S8_PS3_S9_.has_recursion, 0
	.set _ZN2at6native12_GLOBAL__N_135GammaBetaBackwardCUDAKernelTemplateIffLj64ELj8ELj64ELb0ELb0ELb0EEEvllPKT_S5_PKT0_S8_PS3_S9_.has_indirect_call, 0
	.section	.AMDGPU.csdata,"",@progbits
; Kernel info:
; codeLenInByte = 10952
; TotalNumSgprs: 38
; NumVgprs: 93
; ScratchSize: 0
; MemoryBound: 0
; FloatMode: 240
; IeeeMode: 1
; LDSByteSize: 0 bytes/workgroup (compile time only)
; SGPRBlocks: 0
; VGPRBlocks: 11
; NumSGPRsForWavesPerEU: 38
; NumVGPRsForWavesPerEU: 93
; Occupancy: 16
; WaveLimiterHint : 0
; COMPUTE_PGM_RSRC2:SCRATCH_EN: 0
; COMPUTE_PGM_RSRC2:USER_SGPR: 2
; COMPUTE_PGM_RSRC2:TRAP_HANDLER: 0
; COMPUTE_PGM_RSRC2:TGID_X_EN: 1
; COMPUTE_PGM_RSRC2:TGID_Y_EN: 1
; COMPUTE_PGM_RSRC2:TGID_Z_EN: 0
; COMPUTE_PGM_RSRC2:TIDIG_COMP_CNT: 1
	.section	.text._ZN2at6native12_GLOBAL__N_135GammaBetaBackwardCUDAKernelTemplateIffLj64ELj16ELj128ELb0ELb1ELb0EEEvllPKT_S5_PKT0_S8_PS3_S9_,"axG",@progbits,_ZN2at6native12_GLOBAL__N_135GammaBetaBackwardCUDAKernelTemplateIffLj64ELj16ELj128ELb0ELb1ELb0EEEvllPKT_S5_PKT0_S8_PS3_S9_,comdat
	.globl	_ZN2at6native12_GLOBAL__N_135GammaBetaBackwardCUDAKernelTemplateIffLj64ELj16ELj128ELb0ELb1ELb0EEEvllPKT_S5_PKT0_S8_PS3_S9_ ; -- Begin function _ZN2at6native12_GLOBAL__N_135GammaBetaBackwardCUDAKernelTemplateIffLj64ELj16ELj128ELb0ELb1ELb0EEEvllPKT_S5_PKT0_S8_PS3_S9_
	.p2align	8
	.type	_ZN2at6native12_GLOBAL__N_135GammaBetaBackwardCUDAKernelTemplateIffLj64ELj16ELj128ELb0ELb1ELb0EEEvllPKT_S5_PKT0_S8_PS3_S9_,@function
_ZN2at6native12_GLOBAL__N_135GammaBetaBackwardCUDAKernelTemplateIffLj64ELj16ELj128ELb0ELb1ELb0EEEvllPKT_S5_PKT0_S8_PS3_S9_: ; @_ZN2at6native12_GLOBAL__N_135GammaBetaBackwardCUDAKernelTemplateIffLj64ELj16ELj128ELb0ELb1ELb0EEEvllPKT_S5_PKT0_S8_PS3_S9_
; %bb.0:
	s_load_b128 s[16:19], s[0:1], 0x0
	s_lshl_b32 s2, ttmp7, 7
	s_mov_b32 s3, 0
	v_bfe_u32 v7, v0, 10, 10
	s_wait_kmcnt 0x0
	v_cmp_gt_i64_e64 s4, s[16:17], s[2:3]
	s_and_b32 vcc_lo, exec_lo, s4
	s_cbranch_vccnz .LBB56_2
; %bb.1:
	v_bfe_u32 v1, v0, 10, 10
	s_mov_b32 s4, s3
	s_branch .LBB56_3
.LBB56_2:
	s_mov_b32 s4, -1
                                        ; implicit-def: $vgpr1
.LBB56_3:
	s_load_b128 s[12:15], s[0:1], 0x30
	v_dual_mov_b32 v17, 0 :: v_dual_and_b32 v6, 0x3ff, v0
	v_mov_b32_e32 v0, 0
	s_and_not1_b32 vcc_lo, exec_lo, s4
	s_cbranch_vccnz .LBB56_11
; %bb.4:
	s_load_b32 s20, s[0:1], 0x4c
	v_dual_mov_b32 v1, 0 :: v_dual_lshlrev_b32 v0, 3, v7
	s_clause 0x1
	s_load_b32 s22, s[0:1], 0x44
	s_load_b256 s[4:11], s[0:1], 0x10
	s_mov_b32 s21, 0
	v_dual_mov_b32 v8, 8 :: v_dual_mov_b32 v9, 4
	v_add_co_u32 v2, s0, v0, s2
	s_delay_alu instid0(VALU_DEP_1) | instskip(SKIP_1) | instid1(VALU_DEP_3)
	v_add_co_ci_u32_e64 v3, null, 0, 0, s0
	v_lshl_add_u32 v0, ttmp9, 6, v6
	v_mul_lo_u32 v14, s19, v2
	v_mad_co_u64_u32 v[4:5], null, s18, v2, 0
	s_delay_alu instid0(VALU_DEP_4) | instskip(NEXT) | instid1(VALU_DEP_4)
	v_mul_lo_u32 v17, s18, v3
	v_lshlrev_b64_e32 v[15:16], 2, v[0:1]
	v_dual_mov_b32 v10, 12 :: v_dual_mov_b32 v11, 16
	v_mov_b32_e32 v0, 0
	s_wait_kmcnt 0x0
	s_and_b32 s0, s20, 0xffff
	s_lshl_b32 s20, s22, 7
	s_wait_alu 0xfffe
	v_mad_u32_u24 v13, v7, s0, v6
	v_mov_b32_e32 v12, 20
	v_add3_u32 v5, v5, v17, v14
	s_mul_u64 s[24:25], s[18:19], s[20:21]
	s_delay_alu instid0(VALU_DEP_3) | instskip(SKIP_1) | instid1(VALU_DEP_3)
	v_dual_mov_b32 v14, 28 :: v_dual_and_b32 v19, 31, v13
	v_mov_b32_e32 v13, 24
	v_lshlrev_b64_e32 v[17:18], 2, v[4:5]
	s_lshl_b64 s[22:23], s[20:21], 2
	s_lshl_b64 s[24:25], s[24:25], 2
	v_add_co_u32 v2, vcc_lo, v2, v19
	s_delay_alu instid0(VALU_DEP_1) | instskip(NEXT) | instid1(VALU_DEP_3)
	v_add_co_ci_u32_e64 v3, null, 0, v3, vcc_lo
	v_add_co_u32 v15, vcc_lo, v17, v15
	v_cmp_gt_u32_e64 s0, 8, v19
	s_delay_alu instid0(VALU_DEP_3)
	v_lshlrev_b64_e32 v[4:5], 2, v[2:3]
	s_wait_alu 0xfffd
	v_add_co_ci_u32_e64 v16, null, v18, v16, vcc_lo
	v_mov_b32_e32 v17, 0
	s_lshl_b64 s[18:19], s[18:19], 2
	s_branch .LBB56_7
.LBB56_5:                               ;   in Loop: Header=BB56_7 Depth=1
	s_or_b32 exec_lo, exec_lo, s26
.LBB56_6:                               ;   in Loop: Header=BB56_7 Depth=1
	s_wait_alu 0xfffe
	s_or_b32 exec_lo, exec_lo, s1
	v_add_co_u32 v20, vcc_lo, s4, v15
	s_wait_alu 0xfffd
	v_add_co_ci_u32_e64 v21, null, s5, v16, vcc_lo
	v_add_co_u32 v22, vcc_lo, s6, v15
	s_wait_alu 0xfffd
	v_add_co_ci_u32_e64 v23, null, s7, v16, vcc_lo
	global_load_b32 v30, v[20:21], off
	v_add_co_u32 v20, vcc_lo, v20, s18
	s_wait_alu 0xfffd
	v_add_co_ci_u32_e64 v21, null, s19, v21, vcc_lo
	v_add_co_u32 v24, vcc_lo, v22, s18
	s_wait_alu 0xfffd
	v_add_co_ci_u32_e64 v25, null, s19, v23, vcc_lo
	;; [unrolled: 3-line block ×4, first 2 shown]
	global_load_b32 v31, v[22:23], off
	global_load_b32 v32, v[20:21], off
	;; [unrolled: 1-line block ×5, first 2 shown]
	v_add_co_u32 v20, vcc_lo, v28, s18
	s_wait_alu 0xfffd
	v_add_co_ci_u32_e64 v21, null, s19, v29, vcc_lo
	v_add_co_u32 v22, vcc_lo, v26, s18
	s_wait_alu 0xfffd
	v_add_co_ci_u32_e64 v23, null, s19, v27, vcc_lo
	global_load_b32 v36, v[20:21], off
	v_add_co_u32 v24, vcc_lo, v22, s18
	s_wait_alu 0xfffd
	v_add_co_ci_u32_e64 v25, null, s19, v23, vcc_lo
	v_add_co_u32 v20, vcc_lo, v20, s18
	s_wait_alu 0xfffd
	v_add_co_ci_u32_e64 v21, null, s19, v21, vcc_lo
	;; [unrolled: 3-line block ×4, first 2 shown]
	s_clause 0x1
	global_load_b32 v37, v[22:23], off
	global_load_b32 v24, v[24:25], off
	;; [unrolled: 1-line block ×5, first 2 shown]
	v_add_co_u32 v20, vcc_lo, v28, s18
	s_wait_alu 0xfffd
	v_add_co_ci_u32_e64 v21, null, s19, v29, vcc_lo
	v_add_co_u32 v22, vcc_lo, v26, s18
	s_wait_alu 0xfffd
	v_add_co_ci_u32_e64 v23, null, s19, v27, vcc_lo
	global_load_b32 v26, v[20:21], off
	v_add_co_u32 v20, vcc_lo, v20, s18
	s_wait_alu 0xfffd
	v_add_co_ci_u32_e64 v21, null, s19, v21, vcc_lo
	global_load_b32 v27, v[22:23], off
	global_load_b32 v28, v[20:21], off
	v_add_co_u32 v20, vcc_lo, v22, s18
	s_wait_alu 0xfffd
	v_add_co_ci_u32_e64 v21, null, s19, v23, vcc_lo
	s_wait_loadcnt 0x10
	ds_bpermute_b32 v22, v9, v19
	s_wait_loadcnt 0xf
	ds_bpermute_b32 v23, v1, v18
	ds_bpermute_b32 v29, v8, v19
	global_load_b32 v20, v[20:21], off
	ds_bpermute_b32 v21, v1, v19
	ds_bpermute_b32 v40, v9, v18
	;; [unrolled: 1-line block ×5, first 2 shown]
	v_add_co_u32 v4, vcc_lo, v4, s22
	s_add_nc_u64 s[2:3], s[2:3], s[20:21]
	s_wait_alu 0xfffd
	v_add_co_ci_u32_e64 v5, null, s23, v5, vcc_lo
	v_add_co_u32 v2, vcc_lo, v2, s20
	s_wait_alu 0xfffe
	v_cmp_lt_i64_e64 s1, s[2:3], s[16:17]
	s_wait_alu 0xfffd
	v_add_co_ci_u32_e64 v3, null, 0, v3, vcc_lo
	v_add_co_u32 v15, vcc_lo, v15, s24
	s_wait_alu 0xfffd
	v_add_co_ci_u32_e64 v16, null, s25, v16, vcc_lo
	s_and_b32 vcc_lo, exec_lo, s1
	s_wait_loadcnt 0xf
	v_add_f32_e32 v17, v17, v30
	s_wait_loadcnt_dscnt 0xe04
	v_sub_f32_e32 v21, v31, v21
	ds_bpermute_b32 v31, v8, v18
	s_wait_loadcnt 0xc
	v_sub_f32_e32 v22, v33, v22
	ds_bpermute_b32 v33, v10, v18
	v_mul_f32_e32 v21, v30, v21
	ds_bpermute_b32 v30, v12, v18
	v_dual_fmac_f32 v0, v21, v23 :: v_dual_mul_f32 v21, v32, v22
	s_wait_loadcnt 0xa
	v_sub_f32_e32 v22, v35, v29
	ds_bpermute_b32 v23, v11, v18
	ds_bpermute_b32 v29, v13, v19
	v_add_f32_e32 v17, v17, v32
	s_wait_dscnt 0x8
	v_dual_fmac_f32 v0, v21, v40 :: v_dual_mul_f32 v21, v34, v22
	s_wait_loadcnt_dscnt 0x907
	v_sub_f32_e32 v22, v36, v41
	ds_bpermute_b32 v19, v14, v19
	v_add_f32_e32 v17, v17, v34
	s_wait_dscnt 0x5
	v_fmac_f32_e32 v0, v21, v31
	s_wait_loadcnt 0x8
	v_mul_f32_e32 v21, v37, v22
	s_wait_loadcnt 0x6
	v_sub_f32_e32 v22, v25, v42
	ds_bpermute_b32 v25, v13, v18
	ds_bpermute_b32 v18, v14, v18
	s_wait_dscnt 0x6
	v_dual_fmac_f32 v0, v21, v33 :: v_dual_mul_f32 v21, v24, v22
	s_wait_loadcnt 0x4
	v_sub_f32_e32 v22, v39, v43
	s_wait_dscnt 0x4
	s_delay_alu instid0(VALU_DEP_1) | instskip(SKIP_2) | instid1(VALU_DEP_2)
	v_dual_fmac_f32 v0, v21, v23 :: v_dual_mul_f32 v21, v38, v22
	s_wait_loadcnt_dscnt 0x303
	v_sub_f32_e32 v22, v26, v29
	v_fmac_f32_e32 v0, v21, v30
	s_wait_loadcnt 0x2
	s_delay_alu instid0(VALU_DEP_2) | instskip(SKIP_1) | instid1(VALU_DEP_1)
	v_mul_f32_e32 v21, v27, v22
	s_wait_loadcnt_dscnt 0x101
	v_dual_sub_f32 v19, v28, v19 :: v_dual_fmac_f32 v0, v21, v25
	s_wait_loadcnt 0x0
	s_delay_alu instid0(VALU_DEP_1) | instskip(SKIP_1) | instid1(VALU_DEP_1)
	v_mul_f32_e32 v19, v20, v19
	s_wait_dscnt 0x0
	v_dual_add_f32 v17, v17, v37 :: v_dual_fmac_f32 v0, v19, v18
	s_delay_alu instid0(VALU_DEP_1) | instskip(NEXT) | instid1(VALU_DEP_1)
	v_add_f32_e32 v17, v17, v24
	v_add_f32_e32 v17, v17, v38
	s_delay_alu instid0(VALU_DEP_1) | instskip(NEXT) | instid1(VALU_DEP_1)
	v_add_f32_e32 v17, v17, v27
	v_add_f32_e32 v17, v17, v20
	s_wait_alu 0xfffe
	s_cbranch_vccz .LBB56_10
.LBB56_7:                               ; =>This Inner Loop Header: Depth=1
	v_dual_mov_b32 v18, 0 :: v_dual_mov_b32 v19, 0
	s_and_saveexec_b32 s1, s0
	s_cbranch_execz .LBB56_6
; %bb.8:                                ;   in Loop: Header=BB56_7 Depth=1
	v_dual_mov_b32 v19, 0 :: v_dual_mov_b32 v18, 0
	s_mov_b32 s26, exec_lo
	v_cmpx_gt_i64_e64 s[16:17], v[2:3]
	s_cbranch_execz .LBB56_5
; %bb.9:                                ;   in Loop: Header=BB56_7 Depth=1
	v_add_co_u32 v18, vcc_lo, s8, v4
	s_wait_alu 0xfffd
	v_add_co_ci_u32_e64 v19, null, s9, v5, vcc_lo
	v_add_co_u32 v20, vcc_lo, s10, v4
	s_wait_alu 0xfffd
	v_add_co_ci_u32_e64 v21, null, s11, v5, vcc_lo
	global_load_b32 v19, v[18:19], off
	global_load_b32 v18, v[20:21], off
	s_branch .LBB56_5
.LBB56_10:
	v_mov_b32_e32 v1, v7
.LBB56_11:
	s_delay_alu instid0(VALU_DEP_1) | instskip(SKIP_1) | instid1(VALU_DEP_1)
	v_mad_u32_u24 v2, 0x41, v1, v6
	s_mov_b32 s0, exec_lo
	v_lshl_add_u32 v4, v2, 2, 0
	v_sub_nc_u32_e32 v3, v2, v1
	ds_store_b32 v4, v0
	ds_store_b32 v4, v17 offset:4160
	s_wait_dscnt 0x0
	s_barrier_signal -1
	s_barrier_wait -1
	global_inv scope:SCOPE_SE
	v_cmpx_gt_u32_e32 0x800, v3
	s_cbranch_execz .LBB56_27
; %bb.12:
	v_and_b32_e32 v0, 31, v6
	v_lshrrev_b32_e32 v2, 5, v3
                                        ; implicit-def: $vgpr1
	s_delay_alu instid0(VALU_DEP_2)
	v_cmp_gt_u32_e64 s0, 16, v0
	v_mul_u32_u24_e32 v4, 0x41, v0
                                        ; implicit-def: $vgpr0
	s_wait_alu 0xfffe
	s_and_saveexec_b32 s1, s0
	s_cbranch_execz .LBB56_14
; %bb.13:
	s_delay_alu instid0(VALU_DEP_1) | instskip(NEXT) | instid1(VALU_DEP_1)
	v_add_nc_u32_e32 v0, v2, v4
	v_lshl_add_u32 v0, v0, 2, 0
	ds_load_b32 v1, v0
	ds_load_b32 v0, v0 offset:4160
.LBB56_14:
	s_wait_alu 0xfffe
	s_or_b32 exec_lo, exec_lo, s1
	v_mbcnt_lo_u32_b32 v9, -1, 0
	v_cmp_eq_u32_e64 s1, 0, v6
	s_mov_b32 s2, ttmp9
	s_mov_b32 s3, 0
	s_wait_alu 0xfffe
	s_lshl_b64 s[2:3], s[2:3], 6
	v_xor_b32_e32 v5, 8, v9
	v_xor_b32_e32 v7, 4, v9
	;; [unrolled: 1-line block ×3, first 2 shown]
	s_wait_kmcnt 0x0
	s_cmp_lg_u64 s[12:13], 0
	v_cmp_gt_i32_e32 vcc_lo, 32, v5
	s_cselect_b32 s5, -1, 0
	s_cmp_lg_u64 s[14:15], 0
	s_cselect_b32 s4, -1, 0
	s_wait_alu 0xfffd
	v_cndmask_b32_e32 v5, v9, v5, vcc_lo
	v_cmp_gt_i32_e32 vcc_lo, 32, v7
	s_delay_alu instid0(VALU_DEP_2)
	v_lshlrev_b32_e32 v5, 2, v5
	s_wait_alu 0xfffd
	v_cndmask_b32_e32 v7, v9, v7, vcc_lo
	s_wait_dscnt 0x1
	ds_bpermute_b32 v8, v5, v1
	s_wait_dscnt 0x0
	v_add_f32_e32 v1, v1, v8
	v_xor_b32_e32 v8, 2, v9
	s_delay_alu instid0(VALU_DEP_1)
	v_cmp_gt_i32_e32 vcc_lo, 32, v8
	s_wait_alu 0xfffd
	v_cndmask_b32_e32 v8, v9, v8, vcc_lo
	ds_bpermute_b32 v10, v5, v0
	v_cmp_gt_i32_e32 vcc_lo, 32, v12
	v_lshlrev_b32_e32 v8, 2, v8
	v_lshlrev_b32_e32 v7, 2, v7
	s_wait_alu 0xfffd
	v_cndmask_b32_e32 v9, v9, v12, vcc_lo
	s_wait_dscnt 0x0
	s_delay_alu instid0(VALU_DEP_1)
	v_dual_add_f32 v0, v0, v10 :: v_dual_lshlrev_b32 v9, 2, v9
	ds_bpermute_b32 v10, v7, v1
	s_wait_dscnt 0x0
	v_add_f32_e32 v1, v1, v10
	ds_bpermute_b32 v10, v8, v1
	s_wait_dscnt 0x0
	v_add_f32_e32 v1, v1, v10
	;; [unrolled: 3-line block ×6, first 2 shown]
	s_and_saveexec_b32 s6, s1
	s_cbranch_execz .LBB56_19
; %bb.15:
	s_wait_alu 0xfffe
	v_mov_b32_e32 v1, s3
	v_or_b32_e32 v0, s2, v2
	s_and_not1_b32 vcc_lo, exec_lo, s5
	s_delay_alu instid0(VALU_DEP_1)
	v_lshlrev_b64_e32 v[0:1], 2, v[0:1]
	s_wait_alu 0xfffe
	s_cbranch_vccnz .LBB56_17
; %bb.16:
	s_delay_alu instid0(VALU_DEP_1) | instskip(SKIP_1) | instid1(VALU_DEP_2)
	v_add_co_u32 v11, vcc_lo, s12, v0
	s_wait_alu 0xfffd
	v_add_co_ci_u32_e64 v12, null, s13, v1, vcc_lo
	global_store_b32 v[11:12], v6, off
.LBB56_17:
	s_and_not1_b32 vcc_lo, exec_lo, s4
	s_wait_alu 0xfffe
	s_cbranch_vccnz .LBB56_19
; %bb.18:
	v_add_co_u32 v0, vcc_lo, s14, v0
	s_wait_alu 0xfffd
	v_add_co_ci_u32_e64 v1, null, s15, v1, vcc_lo
	global_store_b32 v[0:1], v10, off
.LBB56_19:
	s_wait_alu 0xfffe
	s_or_b32 exec_lo, exec_lo, s6
	v_cmp_gt_u32_e32 vcc_lo, 0x400, v3
	s_and_b32 exec_lo, exec_lo, vcc_lo
	s_cbranch_execz .LBB56_27
; %bb.20:
	s_and_saveexec_b32 s6, s0
	s_cbranch_execz .LBB56_22
; %bb.21:
	v_add_nc_u32_e32 v0, v2, v4
	s_delay_alu instid0(VALU_DEP_1)
	v_lshl_add_u32 v0, v0, 2, 0
	ds_load_b32 v6, v0 offset:128
	ds_load_b32 v10, v0 offset:4288
.LBB56_22:
	s_wait_alu 0xfffe
	s_or_b32 exec_lo, exec_lo, s6
	s_wait_dscnt 0x1
	ds_bpermute_b32 v0, v5, v6
	s_wait_dscnt 0x1
	ds_bpermute_b32 v1, v5, v10
	s_wait_dscnt 0x1
	v_add_f32_e32 v0, v6, v0
	ds_bpermute_b32 v3, v7, v0
	s_wait_dscnt 0x0
	v_dual_add_f32 v1, v10, v1 :: v_dual_add_f32 v0, v0, v3
	ds_bpermute_b32 v4, v7, v1
	ds_bpermute_b32 v3, v8, v0
	s_wait_dscnt 0x1
	v_add_f32_e32 v1, v1, v4
	ds_bpermute_b32 v4, v8, v1
	s_wait_dscnt 0x0
	v_dual_add_f32 v3, v0, v3 :: v_dual_add_f32 v0, v1, v4
	ds_bpermute_b32 v4, v9, v3
	ds_bpermute_b32 v1, v9, v0
	s_and_b32 exec_lo, exec_lo, s1
	s_cbranch_execz .LBB56_27
; %bb.23:
	s_and_not1_b32 vcc_lo, exec_lo, s5
	s_wait_alu 0xfffe
	s_cbranch_vccnz .LBB56_25
; %bb.24:
	v_add_co_u32 v5, s0, s2, v2
	s_wait_alu 0xf1ff
	v_add_co_ci_u32_e64 v6, null, s3, 0, s0
	s_wait_dscnt 0x1
	v_add_f32_e32 v7, v3, v4
	s_delay_alu instid0(VALU_DEP_2) | instskip(NEXT) | instid1(VALU_DEP_1)
	v_lshlrev_b64_e32 v[5:6], 2, v[5:6]
	v_add_co_u32 v3, vcc_lo, s12, v5
	s_wait_alu 0xfffd
	s_delay_alu instid0(VALU_DEP_2)
	v_add_co_ci_u32_e64 v4, null, s13, v6, vcc_lo
	global_store_b32 v[3:4], v7, off offset:128
.LBB56_25:
	s_and_not1_b32 vcc_lo, exec_lo, s4
	s_wait_alu 0xfffe
	s_cbranch_vccnz .LBB56_27
; %bb.26:
	v_add_co_u32 v2, s0, s2, v2
	s_wait_alu 0xf1ff
	v_add_co_ci_u32_e64 v3, null, s3, 0, s0
	s_wait_dscnt 0x0
	v_add_f32_e32 v4, v0, v1
	s_delay_alu instid0(VALU_DEP_2) | instskip(NEXT) | instid1(VALU_DEP_1)
	v_lshlrev_b64_e32 v[2:3], 2, v[2:3]
	v_add_co_u32 v0, vcc_lo, s14, v2
	s_wait_alu 0xfffd
	s_delay_alu instid0(VALU_DEP_2)
	v_add_co_ci_u32_e64 v1, null, s15, v3, vcc_lo
	global_store_b32 v[0:1], v4, off offset:128
.LBB56_27:
	s_endpgm
	.section	.rodata,"a",@progbits
	.p2align	6, 0x0
	.amdhsa_kernel _ZN2at6native12_GLOBAL__N_135GammaBetaBackwardCUDAKernelTemplateIffLj64ELj16ELj128ELb0ELb1ELb0EEEvllPKT_S5_PKT0_S8_PS3_S9_
		.amdhsa_group_segment_fixed_size 0
		.amdhsa_private_segment_fixed_size 0
		.amdhsa_kernarg_size 320
		.amdhsa_user_sgpr_count 2
		.amdhsa_user_sgpr_dispatch_ptr 0
		.amdhsa_user_sgpr_queue_ptr 0
		.amdhsa_user_sgpr_kernarg_segment_ptr 1
		.amdhsa_user_sgpr_dispatch_id 0
		.amdhsa_user_sgpr_private_segment_size 0
		.amdhsa_wavefront_size32 1
		.amdhsa_uses_dynamic_stack 0
		.amdhsa_enable_private_segment 0
		.amdhsa_system_sgpr_workgroup_id_x 1
		.amdhsa_system_sgpr_workgroup_id_y 1
		.amdhsa_system_sgpr_workgroup_id_z 0
		.amdhsa_system_sgpr_workgroup_info 0
		.amdhsa_system_vgpr_workitem_id 1
		.amdhsa_next_free_vgpr 44
		.amdhsa_next_free_sgpr 27
		.amdhsa_reserve_vcc 1
		.amdhsa_float_round_mode_32 0
		.amdhsa_float_round_mode_16_64 0
		.amdhsa_float_denorm_mode_32 3
		.amdhsa_float_denorm_mode_16_64 3
		.amdhsa_fp16_overflow 0
		.amdhsa_workgroup_processor_mode 1
		.amdhsa_memory_ordered 1
		.amdhsa_forward_progress 1
		.amdhsa_inst_pref_size 19
		.amdhsa_round_robin_scheduling 0
		.amdhsa_exception_fp_ieee_invalid_op 0
		.amdhsa_exception_fp_denorm_src 0
		.amdhsa_exception_fp_ieee_div_zero 0
		.amdhsa_exception_fp_ieee_overflow 0
		.amdhsa_exception_fp_ieee_underflow 0
		.amdhsa_exception_fp_ieee_inexact 0
		.amdhsa_exception_int_div_zero 0
	.end_amdhsa_kernel
	.section	.text._ZN2at6native12_GLOBAL__N_135GammaBetaBackwardCUDAKernelTemplateIffLj64ELj16ELj128ELb0ELb1ELb0EEEvllPKT_S5_PKT0_S8_PS3_S9_,"axG",@progbits,_ZN2at6native12_GLOBAL__N_135GammaBetaBackwardCUDAKernelTemplateIffLj64ELj16ELj128ELb0ELb1ELb0EEEvllPKT_S5_PKT0_S8_PS3_S9_,comdat
.Lfunc_end56:
	.size	_ZN2at6native12_GLOBAL__N_135GammaBetaBackwardCUDAKernelTemplateIffLj64ELj16ELj128ELb0ELb1ELb0EEEvllPKT_S5_PKT0_S8_PS3_S9_, .Lfunc_end56-_ZN2at6native12_GLOBAL__N_135GammaBetaBackwardCUDAKernelTemplateIffLj64ELj16ELj128ELb0ELb1ELb0EEEvllPKT_S5_PKT0_S8_PS3_S9_
                                        ; -- End function
	.set _ZN2at6native12_GLOBAL__N_135GammaBetaBackwardCUDAKernelTemplateIffLj64ELj16ELj128ELb0ELb1ELb0EEEvllPKT_S5_PKT0_S8_PS3_S9_.num_vgpr, 44
	.set _ZN2at6native12_GLOBAL__N_135GammaBetaBackwardCUDAKernelTemplateIffLj64ELj16ELj128ELb0ELb1ELb0EEEvllPKT_S5_PKT0_S8_PS3_S9_.num_agpr, 0
	.set _ZN2at6native12_GLOBAL__N_135GammaBetaBackwardCUDAKernelTemplateIffLj64ELj16ELj128ELb0ELb1ELb0EEEvllPKT_S5_PKT0_S8_PS3_S9_.numbered_sgpr, 27
	.set _ZN2at6native12_GLOBAL__N_135GammaBetaBackwardCUDAKernelTemplateIffLj64ELj16ELj128ELb0ELb1ELb0EEEvllPKT_S5_PKT0_S8_PS3_S9_.num_named_barrier, 0
	.set _ZN2at6native12_GLOBAL__N_135GammaBetaBackwardCUDAKernelTemplateIffLj64ELj16ELj128ELb0ELb1ELb0EEEvllPKT_S5_PKT0_S8_PS3_S9_.private_seg_size, 0
	.set _ZN2at6native12_GLOBAL__N_135GammaBetaBackwardCUDAKernelTemplateIffLj64ELj16ELj128ELb0ELb1ELb0EEEvllPKT_S5_PKT0_S8_PS3_S9_.uses_vcc, 1
	.set _ZN2at6native12_GLOBAL__N_135GammaBetaBackwardCUDAKernelTemplateIffLj64ELj16ELj128ELb0ELb1ELb0EEEvllPKT_S5_PKT0_S8_PS3_S9_.uses_flat_scratch, 0
	.set _ZN2at6native12_GLOBAL__N_135GammaBetaBackwardCUDAKernelTemplateIffLj64ELj16ELj128ELb0ELb1ELb0EEEvllPKT_S5_PKT0_S8_PS3_S9_.has_dyn_sized_stack, 0
	.set _ZN2at6native12_GLOBAL__N_135GammaBetaBackwardCUDAKernelTemplateIffLj64ELj16ELj128ELb0ELb1ELb0EEEvllPKT_S5_PKT0_S8_PS3_S9_.has_recursion, 0
	.set _ZN2at6native12_GLOBAL__N_135GammaBetaBackwardCUDAKernelTemplateIffLj64ELj16ELj128ELb0ELb1ELb0EEEvllPKT_S5_PKT0_S8_PS3_S9_.has_indirect_call, 0
	.section	.AMDGPU.csdata,"",@progbits
; Kernel info:
; codeLenInByte = 2360
; TotalNumSgprs: 29
; NumVgprs: 44
; ScratchSize: 0
; MemoryBound: 0
; FloatMode: 240
; IeeeMode: 1
; LDSByteSize: 0 bytes/workgroup (compile time only)
; SGPRBlocks: 0
; VGPRBlocks: 5
; NumSGPRsForWavesPerEU: 29
; NumVGPRsForWavesPerEU: 44
; Occupancy: 16
; WaveLimiterHint : 0
; COMPUTE_PGM_RSRC2:SCRATCH_EN: 0
; COMPUTE_PGM_RSRC2:USER_SGPR: 2
; COMPUTE_PGM_RSRC2:TRAP_HANDLER: 0
; COMPUTE_PGM_RSRC2:TGID_X_EN: 1
; COMPUTE_PGM_RSRC2:TGID_Y_EN: 1
; COMPUTE_PGM_RSRC2:TGID_Z_EN: 0
; COMPUTE_PGM_RSRC2:TIDIG_COMP_CNT: 1
	.section	.text._ZN2at6native12_GLOBAL__N_135GammaBetaBackwardCUDAKernelTemplateIffLj64ELj16ELj128ELb0ELb0ELb0EEEvllPKT_S5_PKT0_S8_PS3_S9_,"axG",@progbits,_ZN2at6native12_GLOBAL__N_135GammaBetaBackwardCUDAKernelTemplateIffLj64ELj16ELj128ELb0ELb0ELb0EEEvllPKT_S5_PKT0_S8_PS3_S9_,comdat
	.globl	_ZN2at6native12_GLOBAL__N_135GammaBetaBackwardCUDAKernelTemplateIffLj64ELj16ELj128ELb0ELb0ELb0EEEvllPKT_S5_PKT0_S8_PS3_S9_ ; -- Begin function _ZN2at6native12_GLOBAL__N_135GammaBetaBackwardCUDAKernelTemplateIffLj64ELj16ELj128ELb0ELb0ELb0EEEvllPKT_S5_PKT0_S8_PS3_S9_
	.p2align	8
	.type	_ZN2at6native12_GLOBAL__N_135GammaBetaBackwardCUDAKernelTemplateIffLj64ELj16ELj128ELb0ELb0ELb0EEEvllPKT_S5_PKT0_S8_PS3_S9_,@function
_ZN2at6native12_GLOBAL__N_135GammaBetaBackwardCUDAKernelTemplateIffLj64ELj16ELj128ELb0ELb0ELb0EEEvllPKT_S5_PKT0_S8_PS3_S9_: ; @_ZN2at6native12_GLOBAL__N_135GammaBetaBackwardCUDAKernelTemplateIffLj64ELj16ELj128ELb0ELb0ELb0EEEvllPKT_S5_PKT0_S8_PS3_S9_
; %bb.0:
	s_clause 0x1
	s_load_b256 s[4:11], s[0:1], 0x0
	s_load_b128 s[12:15], s[0:1], 0x20
	s_lshl_b32 s30, ttmp9, 6
	s_mov_b32 s17, 0
	s_or_b32 s16, s30, 63
	s_wait_kmcnt 0x0
	v_cmp_le_i64_e64 s2, s[6:7], s[16:17]
	s_lshl_b32 s16, ttmp7, 7
	s_wait_alu 0xfffe
	v_cmp_gt_i64_e64 s31, s[4:5], s[16:17]
	s_and_b32 vcc_lo, exec_lo, s2
	v_cndmask_b32_e64 v1, 0, 1, s31
	s_delay_alu instid0(VALU_DEP_1)
	v_cmp_ne_u32_e64 s2, 1, v1
	s_cbranch_vccz .LBB57_49
; %bb.1:
	v_mov_b32_e32 v48, 0
	v_mov_b32_e32 v56, 0
	s_and_b32 vcc_lo, exec_lo, s2
	s_cbranch_vccnz .LBB57_50
; %bb.2:
	v_bfe_u32 v20, v0, 10, 10
	v_dual_mov_b32 v1, 0 :: v_dual_and_b32 v22, 0x3ff, v0
	s_load_b32 s3, s[0:1], 0x44
	s_mov_b32 s19, 0
	s_delay_alu instid0(VALU_DEP_2) | instskip(NEXT) | instid1(VALU_DEP_2)
	v_dual_mov_b32 v48, 0 :: v_dual_lshlrev_b32 v21, 3, v20
	v_dual_mov_b32 v3, v1 :: v_dual_add_nc_u32 v2, s30, v22
	s_mov_b32 s23, s19
	s_delay_alu instid0(VALU_DEP_2) | instskip(NEXT) | instid1(VALU_DEP_1)
	v_add_co_u32 v10, s2, v21, s16
	v_add_co_ci_u32_e64 v11, null, 0, 0, s2
	s_delay_alu instid0(VALU_DEP_3) | instskip(NEXT) | instid1(VALU_DEP_3)
	v_cmp_gt_i64_e64 s2, s[6:7], v[2:3]
	v_mul_lo_u32 v6, s7, v10
	v_mad_co_u64_u32 v[4:5], null, s6, v10, 0
	s_delay_alu instid0(VALU_DEP_4) | instskip(SKIP_1) | instid1(VALU_DEP_1)
	v_mul_lo_u32 v7, s6, v11
	v_add_co_u32 v8, vcc_lo, v10, 7
	v_add_co_ci_u32_e64 v9, null, 0, v11, vcc_lo
	v_lshlrev_b64_e32 v[18:19], 2, v[2:3]
	s_delay_alu instid0(VALU_DEP_3)
	v_mul_lo_u32 v12, s7, v8
	s_wait_kmcnt 0x0
	s_lshl_b32 s22, s3, 7
	v_add3_u32 v5, v5, v7, v6
	v_mad_co_u64_u32 v[6:7], null, s6, v8, 0
	v_add_co_u32 v8, vcc_lo, v10, 6
	v_mul_lo_u32 v13, s6, v9
	s_wait_alu 0xfffd
	v_add_co_ci_u32_e64 v9, null, 0, v11, vcc_lo
	v_lshlrev_b64_e32 v[2:3], 2, v[4:5]
	v_mul_lo_u32 v14, s7, v8
	v_mov_b32_e32 v57, 0
	s_delay_alu instid0(VALU_DEP_4)
	v_mul_lo_u32 v15, s6, v9
	v_mad_co_u64_u32 v[8:9], null, s6, v8, 0
	v_add_co_u32 v23, vcc_lo, s8, v2
	s_wait_alu 0xfffd
	v_add_co_ci_u32_e64 v24, null, s9, v3, vcc_lo
	v_add_co_u32 v25, vcc_lo, s10, v2
	v_add3_u32 v7, v7, v13, v12
	s_wait_alu 0xfffd
	v_add_co_ci_u32_e64 v26, null, s11, v3, vcc_lo
	v_add_co_u32 v12, vcc_lo, v10, 5
	v_add3_u32 v9, v9, v15, v14
	s_wait_alu 0xfffd
	v_add_co_ci_u32_e64 v13, null, 0, v11, vcc_lo
	v_lshlrev_b64_e32 v[2:3], 2, v[6:7]
	v_mul_lo_u32 v14, s7, v12
	v_lshlrev_b64_e32 v[6:7], 2, v[8:9]
	s_delay_alu instid0(VALU_DEP_4)
	v_mul_lo_u32 v13, s6, v13
	v_mad_co_u64_u32 v[8:9], null, s6, v12, 0
	v_add_co_u32 v27, vcc_lo, s8, v2
	s_wait_alu 0xfffd
	v_add_co_ci_u32_e64 v28, null, s9, v3, vcc_lo
	v_add_co_u32 v29, vcc_lo, s10, v2
	s_wait_alu 0xfffd
	v_add_co_ci_u32_e64 v30, null, s11, v3, vcc_lo
	v_add_co_u32 v31, vcc_lo, s8, v6
	v_add3_u32 v9, v9, v13, v14
	s_wait_alu 0xfffd
	v_add_co_ci_u32_e64 v32, null, s9, v7, vcc_lo
	v_add_co_u32 v12, vcc_lo, v10, 4
	v_add_co_u32 v33, s3, s10, v6
	s_wait_alu 0xfffd
	v_add_co_ci_u32_e64 v6, null, 0, v11, vcc_lo
	v_lshlrev_b64_e32 v[2:3], 2, v[8:9]
	v_add_co_u32 v8, vcc_lo, v10, 3
	s_wait_alu 0xfffd
	v_add_co_ci_u32_e64 v9, null, 0, v11, vcc_lo
	s_wait_alu 0xf1ff
	v_add_co_ci_u32_e64 v34, null, s11, v7, s3
	v_mul_lo_u32 v13, s7, v12
	v_mul_lo_u32 v14, s6, v6
	v_mad_co_u64_u32 v[6:7], null, s6, v12, 0
	v_mul_lo_u32 v12, s7, v8
	v_mul_lo_u32 v15, s6, v9
	v_mad_co_u64_u32 v[8:9], null, s6, v8, 0
	v_add_co_u32 v35, vcc_lo, s8, v2
	s_wait_alu 0xfffd
	v_add_co_ci_u32_e64 v36, null, s9, v3, vcc_lo
	v_add3_u32 v7, v7, v14, v13
	v_add_co_u32 v37, vcc_lo, s10, v2
	s_wait_alu 0xfffd
	v_add_co_ci_u32_e64 v38, null, s11, v3, vcc_lo
	v_add_co_u32 v10, vcc_lo, v10, 2
	v_add3_u32 v9, v9, v15, v12
	s_wait_alu 0xfffd
	v_add_co_ci_u32_e64 v11, null, 0, v11, vcc_lo
	v_lshlrev_b64_e32 v[2:3], 2, v[6:7]
	v_mul_lo_u32 v12, s7, v10
	v_lshlrev_b64_e32 v[6:7], 2, v[8:9]
	s_delay_alu instid0(VALU_DEP_4)
	v_mul_lo_u32 v11, s6, v11
	v_mad_co_u64_u32 v[8:9], null, s6, v10, 0
	v_add_co_u32 v39, vcc_lo, s8, v2
	s_wait_alu 0xfffd
	v_add_co_ci_u32_e64 v40, null, s9, v3, vcc_lo
	v_add_co_u32 v41, vcc_lo, s10, v2
	s_wait_alu 0xfffd
	v_add_co_ci_u32_e64 v42, null, s11, v3, vcc_lo
	v_add_co_u32 v43, vcc_lo, s8, v6
	s_wait_alu 0xfffd
	v_add_co_ci_u32_e64 v44, null, s9, v7, vcc_lo
	v_add3_u32 v9, v9, v11, v12
	v_add_co_u32 v45, vcc_lo, s10, v6
	s_wait_alu 0xfffd
	v_add_co_ci_u32_e64 v46, null, s11, v7, vcc_lo
	v_add_co_u32 v4, vcc_lo, v4, s6
	s_wait_alu 0xfffd
	v_add_co_ci_u32_e64 v5, null, s7, v5, vcc_lo
	v_lshlrev_b64_e32 v[2:3], 2, v[8:9]
	s_mul_u64 s[24:25], s[6:7], s[22:23]
	s_add_nc_u64 s[20:21], s[0:1], 64
	s_delay_alu instid0(VALU_DEP_2)
	v_lshlrev_b64_e32 v[4:5], 2, v[4:5]
	s_lshl_b64 s[24:25], s[24:25], 2
	s_add_nc_u64 s[26:27], s[16:17], 0x7f
	v_add_co_u32 v47, vcc_lo, s8, v2
	s_wait_alu 0xfffd
	v_add_co_ci_u32_e64 v49, null, s9, v3, vcc_lo
	v_add_co_u32 v50, vcc_lo, s10, v2
	s_wait_alu 0xfffd
	v_add_co_ci_u32_e64 v51, null, s11, v3, vcc_lo
	;; [unrolled: 3-line block ×4, first 2 shown]
	s_mov_b64 s[28:29], s[16:17]
.LBB57_3:                               ; =>This Inner Loop Header: Depth=1
	v_cmp_ge_i64_e64 s3, s[26:27], s[4:5]
	v_add_co_u32 v58, s18, v21, s26
	s_wait_alu 0xf1ff
	v_add_co_ci_u32_e64 v59, null, 0, s27, s18
                                        ; implicit-def: $vgpr2_vgpr3_vgpr4_vgpr5_vgpr6_vgpr7_vgpr8_vgpr9
                                        ; implicit-def: $vgpr61
                                        ; implicit-def: $vgpr10_vgpr11_vgpr12_vgpr13_vgpr14_vgpr15_vgpr16_vgpr17
                                        ; implicit-def: $vgpr2
	s_and_b32 vcc_lo, exec_lo, s3
	s_mov_b32 s3, -1
                                        ; implicit-def: $vgpr3
                                        ; implicit-def: $vgpr56
	s_wait_alu 0xfffe
	s_cbranch_vccz .LBB57_25
; %bb.4:                                ;   in Loop: Header=BB57_3 Depth=1
	s_load_b32 s3, s[20:21], 0xc
	v_dual_mov_b32 v60, 0 :: v_dual_mov_b32 v61, 0
	s_wait_kmcnt 0x0
	s_and_b32 s3, s3, 0xffff
	s_wait_alu 0xfffe
	v_mad_u32_u24 v2, v20, s3, v22
	s_mov_b32 s3, exec_lo
	s_delay_alu instid0(VALU_DEP_1) | instskip(NEXT) | instid1(VALU_DEP_1)
	v_and_b32_e32 v2, 31, v2
	v_cmpx_gt_u32_e32 8, v2
	s_cbranch_execz .LBB57_8
; %bb.5:                                ;   in Loop: Header=BB57_3 Depth=1
	v_add_co_u32 v2, vcc_lo, v58, v2
	s_wait_alu 0xfffd
	v_add_co_ci_u32_e64 v3, null, 0, v59, vcc_lo
	v_dual_mov_b32 v60, 0 :: v_dual_mov_b32 v61, 0
	s_delay_alu instid0(VALU_DEP_3) | instskip(SKIP_1) | instid1(VALU_DEP_3)
	v_add_co_u32 v2, vcc_lo, 0xffffff81, v2
	s_wait_alu 0xfffd
	v_add_co_ci_u32_e64 v3, null, -1, v3, vcc_lo
	s_mov_b32 s18, exec_lo
	v_cmpx_gt_i64_e64 s[4:5], v[2:3]
	s_cbranch_execz .LBB57_7
; %bb.6:                                ;   in Loop: Header=BB57_3 Depth=1
	v_lshlrev_b64_e32 v[2:3], 2, v[2:3]
	s_delay_alu instid0(VALU_DEP_1) | instskip(SKIP_1) | instid1(VALU_DEP_2)
	v_add_co_u32 v4, vcc_lo, s12, v2
	s_wait_alu 0xfffd
	v_add_co_ci_u32_e64 v5, null, s13, v3, vcc_lo
	v_add_co_u32 v2, vcc_lo, s14, v2
	s_wait_alu 0xfffd
	v_add_co_ci_u32_e64 v3, null, s15, v3, vcc_lo
	global_load_b32 v60, v[4:5], off
	global_load_b32 v61, v[2:3], off
.LBB57_7:                               ;   in Loop: Header=BB57_3 Depth=1
	s_wait_alu 0xfffe
	s_or_b32 exec_lo, exec_lo, s18
.LBB57_8:                               ;   in Loop: Header=BB57_3 Depth=1
	s_wait_alu 0xfffe
	s_or_b32 exec_lo, exec_lo, s3
	v_add_co_u32 v9, vcc_lo, 0xffffff81, v58
	s_wait_alu 0xfffd
	v_add_co_ci_u32_e64 v10, null, -1, v59, vcc_lo
	v_mov_b32_e32 v8, v1
	v_dual_mov_b32 v2, v1 :: v_dual_mov_b32 v3, v1
	v_dual_mov_b32 v4, v1 :: v_dual_mov_b32 v5, v1
	;; [unrolled: 1-line block ×3, first 2 shown]
	v_cmp_gt_i64_e32 vcc_lo, s[4:5], v[9:10]
	s_delay_alu instid0(VALU_DEP_3) | instskip(NEXT) | instid1(VALU_DEP_3)
	v_dual_mov_b32 v17, v8 :: v_dual_mov_b32 v14, v5
	v_dual_mov_b32 v15, v6 :: v_dual_mov_b32 v16, v7
	;; [unrolled: 1-line block ×4, first 2 shown]
	v_mov_b32_e32 v9, v8
	v_mov_b32_e32 v8, v7
	;; [unrolled: 1-line block ×8, first 2 shown]
	s_and_b32 s18, s2, vcc_lo
	s_wait_alu 0xfffe
	s_and_saveexec_b32 s3, s18
	s_cbranch_execz .LBB57_10
; %bb.9:                                ;   in Loop: Header=BB57_3 Depth=1
	v_add_co_u32 v2, vcc_lo, v23, v18
	s_wait_alu 0xfffd
	v_add_co_ci_u32_e64 v3, null, v24, v19, vcc_lo
	v_add_co_u32 v4, vcc_lo, v25, v18
	s_wait_alu 0xfffd
	v_add_co_ci_u32_e64 v5, null, v26, v19, vcc_lo
	global_load_b32 v2, v[2:3], off
	global_load_b32 v10, v[4:5], off
	v_dual_mov_b32 v3, v1 :: v_dual_mov_b32 v4, v1
	v_dual_mov_b32 v5, v1 :: v_dual_mov_b32 v6, v1
	;; [unrolled: 1-line block ×6, first 2 shown]
	v_mov_b32_e32 v15, v1
	v_mov_b32_e32 v17, v1
.LBB57_10:                              ;   in Loop: Header=BB57_3 Depth=1
	s_wait_alu 0xfffe
	s_or_b32 exec_lo, exec_lo, s3
	v_add_co_u32 v62, vcc_lo, 0xffffff82, v58
	s_wait_alu 0xfffd
	v_add_co_ci_u32_e64 v63, null, -1, v59, vcc_lo
	s_delay_alu instid0(VALU_DEP_1)
	v_cmp_gt_i64_e32 vcc_lo, s[4:5], v[62:63]
	s_and_b32 s18, s2, vcc_lo
	s_wait_alu 0xfffe
	s_and_saveexec_b32 s3, s18
	s_cbranch_execz .LBB57_12
; %bb.11:                               ;   in Loop: Header=BB57_3 Depth=1
	v_add_co_u32 v62, vcc_lo, v52, v18
	s_wait_alu 0xfffd
	v_add_co_ci_u32_e64 v63, null, v53, v19, vcc_lo
	v_add_co_u32 v64, vcc_lo, v54, v18
	s_wait_alu 0xfffd
	v_add_co_ci_u32_e64 v65, null, v55, v19, vcc_lo
	global_load_b32 v3, v[62:63], off
	global_load_b32 v11, v[64:65], off
.LBB57_12:                              ;   in Loop: Header=BB57_3 Depth=1
	s_wait_alu 0xfffe
	s_or_b32 exec_lo, exec_lo, s3
	v_add_co_u32 v62, vcc_lo, 0xffffff83, v58
	s_wait_alu 0xfffd
	v_add_co_ci_u32_e64 v63, null, -1, v59, vcc_lo
	s_delay_alu instid0(VALU_DEP_1)
	v_cmp_gt_i64_e32 vcc_lo, s[4:5], v[62:63]
	s_and_b32 s18, s2, vcc_lo
	s_wait_alu 0xfffe
	s_and_saveexec_b32 s3, s18
	s_cbranch_execz .LBB57_14
; %bb.13:                               ;   in Loop: Header=BB57_3 Depth=1
	v_add_co_u32 v62, vcc_lo, v47, v18
	s_wait_alu 0xfffd
	v_add_co_ci_u32_e64 v63, null, v49, v19, vcc_lo
	v_add_co_u32 v64, vcc_lo, v50, v18
	s_wait_alu 0xfffd
	v_add_co_ci_u32_e64 v65, null, v51, v19, vcc_lo
	global_load_b32 v4, v[62:63], off
	global_load_b32 v12, v[64:65], off
.LBB57_14:                              ;   in Loop: Header=BB57_3 Depth=1
	;; [unrolled: 21-line block ×7, first 2 shown]
	s_wait_alu 0xfffe
	s_or_b32 exec_lo, exec_lo, s3
	s_wait_loadcnt 0x1
	ds_bpermute_b32 v56, v1, v60
	ds_bpermute_b32 v62, v1, v60 offset:4
	ds_bpermute_b32 v63, v1, v60 offset:8
	s_wait_loadcnt 0x0
	ds_bpermute_b32 v64, v1, v61
	ds_bpermute_b32 v65, v1, v60 offset:12
	ds_bpermute_b32 v66, v1, v61 offset:4
	;; [unrolled: 1-line block ×6, first 2 shown]
	s_mov_b32 s3, 0
	s_wait_dscnt 0x9
	v_dual_add_f32 v69, v48, v2 :: v_dual_sub_f32 v10, v10, v56
	s_wait_dscnt 0x7
	v_dual_sub_f32 v11, v11, v62 :: v_dual_sub_f32 v12, v12, v63
	ds_bpermute_b32 v62, v1, v60 offset:24
	ds_bpermute_b32 v63, v1, v61 offset:20
	v_dual_mul_f32 v2, v2, v10 :: v_dual_mul_f32 v11, v3, v11
	ds_bpermute_b32 v10, v1, v61 offset:16
	v_dual_mul_f32 v12, v4, v12 :: v_dual_add_f32 v3, v3, v69
	s_wait_dscnt 0x9
	v_fma_f32 v56, v2, v64, v57
	s_wait_dscnt 0x8
	v_sub_f32_e32 v2, v13, v65
	ds_bpermute_b32 v64, v1, v61 offset:24
	ds_bpermute_b32 v61, v1, v61 offset:28
	s_wait_dscnt 0x9
	v_dual_add_f32 v3, v4, v3 :: v_dual_fmac_f32 v56, v11, v66
	s_wait_dscnt 0x8
	v_sub_f32_e32 v11, v14, v67
	v_mul_f32_e32 v13, v5, v2
	ds_bpermute_b32 v2, v1, v60 offset:28
	s_wait_dscnt 0x6
	v_sub_f32_e32 v4, v15, v71
	v_dual_fmac_f32 v56, v12, v68 :: v_dual_mul_f32 v11, v6, v11
	v_add_f32_e32 v3, v5, v3
	s_wait_dscnt 0x5
	s_delay_alu instid0(VALU_DEP_3) | instskip(NEXT) | instid1(VALU_DEP_2)
	v_dual_sub_f32 v5, v16, v62 :: v_dual_mul_f32 v4, v7, v4
	v_dual_fmac_f32 v56, v13, v70 :: v_dual_add_f32 v3, v6, v3
	s_wait_dscnt 0x3
	s_delay_alu instid0(VALU_DEP_1) | instskip(NEXT) | instid1(VALU_DEP_1)
	v_dual_mul_f32 v5, v8, v5 :: v_dual_fmac_f32 v56, v11, v10
	v_fmac_f32_e32 v56, v4, v63
	s_wait_dscnt 0x2
	s_delay_alu instid0(VALU_DEP_1) | instskip(NEXT) | instid1(VALU_DEP_1)
	v_dual_add_f32 v3, v7, v3 :: v_dual_fmac_f32 v56, v5, v64
	v_add_f32_e32 v3, v8, v3
.LBB57_25:                              ;   in Loop: Header=BB57_3 Depth=1
	s_wait_alu 0xfffe
	s_and_b32 vcc_lo, exec_lo, s3
	s_wait_alu 0xfffe
	s_cbranch_vccz .LBB57_40
; %bb.26:                               ;   in Loop: Header=BB57_3 Depth=1
	s_load_b32 s3, s[20:21], 0x0
	v_mov_b32_e32 v60, 0
	v_mov_b32_e32 v56, 0
	s_wait_kmcnt 0x0
	s_cmp_lt_u32 ttmp9, s3
	s_cselect_b32 s18, 12, 18
	s_wait_alu 0xfffe
	s_add_nc_u64 s[34:35], s[20:21], s[18:19]
	s_load_u16 s3, s[34:35], 0x0
	s_wait_dscnt 0x0
	s_wait_kmcnt 0x0
	v_mad_u32_u24 v2, v20, s3, v22
	s_mov_b32 s3, exec_lo
	s_delay_alu instid0(VALU_DEP_1) | instskip(NEXT) | instid1(VALU_DEP_1)
	v_and_b32_e32 v2, 31, v2
	v_cmpx_gt_u32_e32 8, v2
	s_cbranch_execz .LBB57_30
; %bb.27:                               ;   in Loop: Header=BB57_3 Depth=1
	v_add_co_u32 v2, vcc_lo, v58, v2
	s_wait_alu 0xfffd
	v_add_co_ci_u32_e64 v3, null, 0, v59, vcc_lo
	v_mov_b32_e32 v56, 0
	s_delay_alu instid0(VALU_DEP_3) | instskip(SKIP_1) | instid1(VALU_DEP_3)
	v_add_co_u32 v2, vcc_lo, 0xffffff81, v2
	s_wait_alu 0xfffd
	v_add_co_ci_u32_e64 v3, null, -1, v3, vcc_lo
	v_mov_b32_e32 v60, 0
	s_mov_b32 s18, exec_lo
	s_delay_alu instid0(VALU_DEP_2)
	v_cmpx_gt_i64_e64 s[4:5], v[2:3]
	s_cbranch_execz .LBB57_29
; %bb.28:                               ;   in Loop: Header=BB57_3 Depth=1
	v_lshlrev_b64_e32 v[2:3], 2, v[2:3]
	s_delay_alu instid0(VALU_DEP_1) | instskip(SKIP_1) | instid1(VALU_DEP_2)
	v_add_co_u32 v4, vcc_lo, s12, v2
	s_wait_alu 0xfffd
	v_add_co_ci_u32_e64 v5, null, s13, v3, vcc_lo
	v_add_co_u32 v2, vcc_lo, s14, v2
	s_wait_alu 0xfffd
	v_add_co_ci_u32_e64 v3, null, s15, v3, vcc_lo
	global_load_b32 v56, v[4:5], off
	global_load_b32 v60, v[2:3], off
.LBB57_29:                              ;   in Loop: Header=BB57_3 Depth=1
	s_wait_alu 0xfffe
	s_or_b32 exec_lo, exec_lo, s18
.LBB57_30:                              ;   in Loop: Header=BB57_3 Depth=1
	s_wait_alu 0xfffe
	s_or_b32 exec_lo, exec_lo, s3
	v_mov_b32_e32 v8, v1
	v_dual_mov_b32 v2, v1 :: v_dual_mov_b32 v3, v1
	v_dual_mov_b32 v4, v1 :: v_dual_mov_b32 v5, v1
	;; [unrolled: 1-line block ×3, first 2 shown]
	s_delay_alu instid0(VALU_DEP_4) | instskip(NEXT) | instid1(VALU_DEP_3)
	v_mov_b32_e32 v17, v8
	v_dual_mov_b32 v13, v4 :: v_dual_mov_b32 v12, v3
	s_delay_alu instid0(VALU_DEP_3) | instskip(NEXT) | instid1(VALU_DEP_4)
	v_dual_mov_b32 v15, v6 :: v_dual_mov_b32 v14, v5
	v_dual_mov_b32 v16, v7 :: v_dual_mov_b32 v11, v2
	;; [unrolled: 1-line block ×3, first 2 shown]
	v_mov_b32_e32 v8, v7
	v_mov_b32_e32 v7, v6
	;; [unrolled: 1-line block ×7, first 2 shown]
	s_and_saveexec_b32 s3, s2
	s_cbranch_execnz .LBB57_42
; %bb.31:                               ;   in Loop: Header=BB57_3 Depth=1
	s_wait_alu 0xfffe
	s_or_b32 exec_lo, exec_lo, s3
	s_and_saveexec_b32 s3, s2
	s_cbranch_execnz .LBB57_43
.LBB57_32:                              ;   in Loop: Header=BB57_3 Depth=1
	s_wait_alu 0xfffe
	s_or_b32 exec_lo, exec_lo, s3
	s_and_saveexec_b32 s3, s2
	s_cbranch_execnz .LBB57_44
.LBB57_33:                              ;   in Loop: Header=BB57_3 Depth=1
	s_wait_alu 0xfffe
	s_or_b32 exec_lo, exec_lo, s3
	s_and_saveexec_b32 s3, s2
	s_cbranch_execnz .LBB57_45
.LBB57_34:                              ;   in Loop: Header=BB57_3 Depth=1
	s_wait_alu 0xfffe
	s_or_b32 exec_lo, exec_lo, s3
	s_and_saveexec_b32 s3, s2
	s_cbranch_execnz .LBB57_46
.LBB57_35:                              ;   in Loop: Header=BB57_3 Depth=1
	s_wait_alu 0xfffe
	s_or_b32 exec_lo, exec_lo, s3
	s_and_saveexec_b32 s3, s2
	s_cbranch_execnz .LBB57_47
.LBB57_36:                              ;   in Loop: Header=BB57_3 Depth=1
	s_wait_alu 0xfffe
	s_or_b32 exec_lo, exec_lo, s3
	s_and_saveexec_b32 s3, s2
	s_cbranch_execnz .LBB57_48
.LBB57_37:                              ;   in Loop: Header=BB57_3 Depth=1
	s_wait_alu 0xfffe
	s_or_b32 exec_lo, exec_lo, s3
	s_and_saveexec_b32 s3, s2
	s_cbranch_execz .LBB57_39
.LBB57_38:                              ;   in Loop: Header=BB57_3 Depth=1
	v_add_co_u32 v58, vcc_lo, v27, v18
	s_wait_alu 0xfffd
	v_add_co_ci_u32_e64 v59, null, v28, v19, vcc_lo
	v_add_co_u32 v61, vcc_lo, v29, v18
	s_wait_alu 0xfffd
	v_add_co_ci_u32_e64 v62, null, v30, v19, vcc_lo
	global_load_b32 v9, v[58:59], off
	global_load_b32 v17, v[61:62], off
.LBB57_39:                              ;   in Loop: Header=BB57_3 Depth=1
	s_wait_alu 0xfffe
	s_or_b32 exec_lo, exec_lo, s3
	s_wait_loadcnt 0x1
	ds_bpermute_b32 v58, v1, v56
	ds_bpermute_b32 v59, v1, v56 offset:4
	ds_bpermute_b32 v61, v1, v56 offset:8
	s_wait_loadcnt 0x0
	ds_bpermute_b32 v62, v1, v60
	ds_bpermute_b32 v63, v1, v56 offset:12
	ds_bpermute_b32 v64, v1, v60 offset:4
	;; [unrolled: 1-line block ×5, first 2 shown]
	s_wait_dscnt 0x7
	v_dual_sub_f32 v10, v10, v58 :: v_dual_sub_f32 v11, v11, v59
	ds_bpermute_b32 v58, v1, v60 offset:12
	ds_bpermute_b32 v59, v1, v60 offset:20
	s_wait_dscnt 0x6
	v_dual_sub_f32 v13, v13, v63 :: v_dual_mul_f32 v10, v2, v10
	v_dual_mul_f32 v11, v3, v11 :: v_dual_add_f32 v2, v48, v2
	ds_bpermute_b32 v48, v1, v60 offset:16
	v_dual_sub_f32 v12, v12, v61 :: v_dual_fmac_f32 v57, v10, v62
	ds_bpermute_b32 v10, v1, v56 offset:24
	s_wait_dscnt 0x6
	v_dual_add_f32 v2, v3, v2 :: v_dual_sub_f32 v3, v14, v65
	v_mul_f32_e32 v12, v4, v12
	v_fmac_f32_e32 v57, v11, v64
	s_delay_alu instid0(VALU_DEP_3)
	v_dual_mul_f32 v11, v5, v13 :: v_dual_add_f32 v4, v4, v2
	ds_bpermute_b32 v61, v1, v60 offset:28
	ds_bpermute_b32 v2, v1, v56 offset:28
	s_wait_dscnt 0x7
	v_fmac_f32_e32 v57, v12, v66
	ds_bpermute_b32 v12, v1, v60 offset:24
	s_wait_dscnt 0x7
	v_dual_add_f32 v4, v5, v4 :: v_dual_sub_f32 v13, v15, v67
	s_wait_dscnt 0x6
	s_delay_alu instid0(VALU_DEP_1) | instskip(SKIP_1) | instid1(VALU_DEP_3)
	v_dual_fmac_f32 v57, v11, v58 :: v_dual_add_f32 v4, v6, v4
	v_mul_f32_e32 v3, v6, v3
	v_mul_f32_e32 v5, v7, v13
	s_delay_alu instid0(VALU_DEP_3) | instskip(SKIP_1) | instid1(VALU_DEP_3)
	v_add_f32_e32 v4, v7, v4
	s_wait_dscnt 0x4
	v_fmac_f32_e32 v57, v3, v48
	s_wait_dscnt 0x3
	v_sub_f32_e32 v3, v16, v10
	s_delay_alu instid0(VALU_DEP_2) | instskip(NEXT) | instid1(VALU_DEP_2)
	v_fmac_f32_e32 v57, v5, v59
	v_mul_f32_e32 v3, v8, v3
	s_wait_dscnt 0x0
	s_delay_alu instid0(VALU_DEP_1) | instskip(NEXT) | instid1(VALU_DEP_1)
	v_fmac_f32_e32 v57, v3, v12
	v_dual_add_f32 v3, v8, v4 :: v_dual_mov_b32 v56, v57
.LBB57_40:                              ;   in Loop: Header=BB57_3 Depth=1
	v_add_co_u32 v23, vcc_lo, v23, s24
	s_wait_alu 0xfffd
	v_add_co_ci_u32_e64 v24, null, s25, v24, vcc_lo
	v_add_co_u32 v25, vcc_lo, v25, s24
	s_wait_alu 0xfffd
	v_add_co_ci_u32_e64 v26, null, s25, v26, vcc_lo
	v_add_co_u32 v27, vcc_lo, v27, s24
	s_wait_alu 0xfffd
	v_add_co_ci_u32_e64 v28, null, s25, v28, vcc_lo
	v_add_co_u32 v29, vcc_lo, v29, s24
	s_wait_alu 0xfffd
	v_add_co_ci_u32_e64 v30, null, s25, v30, vcc_lo
	v_add_co_u32 v31, vcc_lo, v31, s24
	s_wait_alu 0xfffd
	v_add_co_ci_u32_e64 v32, null, s25, v32, vcc_lo
	v_add_co_u32 v33, vcc_lo, v33, s24
	s_wait_alu 0xfffd
	v_add_co_ci_u32_e64 v34, null, s25, v34, vcc_lo
	v_add_co_u32 v35, vcc_lo, v35, s24
	s_wait_alu 0xfffd
	v_add_co_ci_u32_e64 v36, null, s25, v36, vcc_lo
	v_add_co_u32 v37, vcc_lo, v37, s24
	s_wait_alu 0xfffd
	v_add_co_ci_u32_e64 v38, null, s25, v38, vcc_lo
	v_add_co_u32 v39, vcc_lo, v39, s24
	s_wait_alu 0xfffd
	v_add_co_ci_u32_e64 v40, null, s25, v40, vcc_lo
	v_add_co_u32 v41, vcc_lo, v41, s24
	s_wait_alu 0xfffd
	v_add_co_ci_u32_e64 v42, null, s25, v42, vcc_lo
	v_add_co_u32 v43, vcc_lo, v43, s24
	s_wait_dscnt 0x0
	v_sub_f32_e32 v2, v17, v2
	s_wait_alu 0xfffd
	v_add_co_ci_u32_e64 v44, null, s25, v44, vcc_lo
	v_add_co_u32 v45, vcc_lo, v45, s24
	s_wait_alu 0xfffd
	v_add_co_ci_u32_e64 v46, null, s25, v46, vcc_lo
	v_add_co_u32 v47, vcc_lo, v47, s24
	;; [unrolled: 3-line block ×3, first 2 shown]
	s_add_nc_u64 s[28:29], s[28:29], s[22:23]
	v_mul_f32_e32 v2, v9, v2
	s_wait_alu 0xfffd
	v_add_co_ci_u32_e64 v51, null, s25, v51, vcc_lo
	v_add_co_u32 v52, vcc_lo, v52, s24
	s_wait_alu 0xfffe
	v_cmp_lt_i64_e64 s3, s[28:29], s[4:5]
	s_wait_alu 0xfffd
	v_add_co_ci_u32_e64 v53, null, s25, v53, vcc_lo
	v_add_co_u32 v54, vcc_lo, v54, s24
	v_add_f32_e32 v48, v3, v9
	v_fmac_f32_e32 v56, v2, v61
	s_wait_alu 0xfffd
	v_add_co_ci_u32_e64 v55, null, s25, v55, vcc_lo
	s_and_b32 vcc_lo, exec_lo, s3
	s_add_nc_u64 s[26:27], s[26:27], s[22:23]
	s_wait_alu 0xfffe
	s_cbranch_vccz .LBB57_50
; %bb.41:                               ;   in Loop: Header=BB57_3 Depth=1
	v_mov_b32_e32 v57, v56
	s_branch .LBB57_3
.LBB57_42:                              ;   in Loop: Header=BB57_3 Depth=1
	v_add_co_u32 v2, vcc_lo, v23, v18
	s_wait_alu 0xfffd
	v_add_co_ci_u32_e64 v3, null, v24, v19, vcc_lo
	v_add_co_u32 v4, vcc_lo, v25, v18
	s_wait_alu 0xfffd
	v_add_co_ci_u32_e64 v5, null, v26, v19, vcc_lo
	global_load_b32 v2, v[2:3], off
	global_load_b32 v10, v[4:5], off
	v_dual_mov_b32 v3, v1 :: v_dual_mov_b32 v4, v1
	v_dual_mov_b32 v5, v1 :: v_dual_mov_b32 v6, v1
	;; [unrolled: 1-line block ×6, first 2 shown]
	v_mov_b32_e32 v15, v1
	v_mov_b32_e32 v17, v1
	s_wait_alu 0xfffe
	s_or_b32 exec_lo, exec_lo, s3
	s_and_saveexec_b32 s3, s2
	s_cbranch_execz .LBB57_32
.LBB57_43:                              ;   in Loop: Header=BB57_3 Depth=1
	v_add_co_u32 v58, vcc_lo, v52, v18
	s_wait_alu 0xfffd
	v_add_co_ci_u32_e64 v59, null, v53, v19, vcc_lo
	v_add_co_u32 v61, vcc_lo, v54, v18
	s_wait_alu 0xfffd
	v_add_co_ci_u32_e64 v62, null, v55, v19, vcc_lo
	global_load_b32 v3, v[58:59], off
	global_load_b32 v11, v[61:62], off
	s_wait_alu 0xfffe
	s_or_b32 exec_lo, exec_lo, s3
	s_and_saveexec_b32 s3, s2
	s_cbranch_execz .LBB57_33
.LBB57_44:                              ;   in Loop: Header=BB57_3 Depth=1
	v_add_co_u32 v58, vcc_lo, v47, v18
	s_wait_alu 0xfffd
	v_add_co_ci_u32_e64 v59, null, v49, v19, vcc_lo
	v_add_co_u32 v61, vcc_lo, v50, v18
	s_wait_alu 0xfffd
	v_add_co_ci_u32_e64 v62, null, v51, v19, vcc_lo
	global_load_b32 v4, v[58:59], off
	global_load_b32 v12, v[61:62], off
	s_wait_alu 0xfffe
	s_or_b32 exec_lo, exec_lo, s3
	s_and_saveexec_b32 s3, s2
	s_cbranch_execz .LBB57_34
.LBB57_45:                              ;   in Loop: Header=BB57_3 Depth=1
	v_add_co_u32 v58, vcc_lo, v43, v18
	s_wait_alu 0xfffd
	v_add_co_ci_u32_e64 v59, null, v44, v19, vcc_lo
	v_add_co_u32 v61, vcc_lo, v45, v18
	s_wait_alu 0xfffd
	v_add_co_ci_u32_e64 v62, null, v46, v19, vcc_lo
	global_load_b32 v5, v[58:59], off
	global_load_b32 v13, v[61:62], off
	s_wait_alu 0xfffe
	s_or_b32 exec_lo, exec_lo, s3
	s_and_saveexec_b32 s3, s2
	s_cbranch_execz .LBB57_35
.LBB57_46:                              ;   in Loop: Header=BB57_3 Depth=1
	v_add_co_u32 v58, vcc_lo, v39, v18
	s_wait_alu 0xfffd
	v_add_co_ci_u32_e64 v59, null, v40, v19, vcc_lo
	v_add_co_u32 v61, vcc_lo, v41, v18
	s_wait_alu 0xfffd
	v_add_co_ci_u32_e64 v62, null, v42, v19, vcc_lo
	global_load_b32 v6, v[58:59], off
	global_load_b32 v14, v[61:62], off
	s_wait_alu 0xfffe
	s_or_b32 exec_lo, exec_lo, s3
	s_and_saveexec_b32 s3, s2
	s_cbranch_execz .LBB57_36
.LBB57_47:                              ;   in Loop: Header=BB57_3 Depth=1
	v_add_co_u32 v58, vcc_lo, v35, v18
	s_wait_alu 0xfffd
	v_add_co_ci_u32_e64 v59, null, v36, v19, vcc_lo
	v_add_co_u32 v61, vcc_lo, v37, v18
	s_wait_alu 0xfffd
	v_add_co_ci_u32_e64 v62, null, v38, v19, vcc_lo
	global_load_b32 v7, v[58:59], off
	global_load_b32 v15, v[61:62], off
	s_wait_alu 0xfffe
	s_or_b32 exec_lo, exec_lo, s3
	s_and_saveexec_b32 s3, s2
	s_cbranch_execz .LBB57_37
.LBB57_48:                              ;   in Loop: Header=BB57_3 Depth=1
	v_add_co_u32 v58, vcc_lo, v31, v18
	s_wait_alu 0xfffd
	v_add_co_ci_u32_e64 v59, null, v32, v19, vcc_lo
	v_add_co_u32 v61, vcc_lo, v33, v18
	s_wait_alu 0xfffd
	v_add_co_ci_u32_e64 v62, null, v34, v19, vcc_lo
	global_load_b32 v8, v[58:59], off
	global_load_b32 v16, v[61:62], off
	s_wait_alu 0xfffe
	s_or_b32 exec_lo, exec_lo, s3
	s_and_saveexec_b32 s3, s2
	s_cbranch_execnz .LBB57_38
	s_branch .LBB57_39
.LBB57_49:
                                        ; implicit-def: $vgpr48
                                        ; implicit-def: $vgpr56
	s_branch .LBB57_51
.LBB57_50:
	s_cbranch_execnz .LBB57_82
.LBB57_51:
	v_mov_b32_e32 v48, 0
	v_mov_b32_e32 v56, 0
	s_and_not1_b32 vcc_lo, exec_lo, s31
	s_wait_alu 0xfffe
	s_cbranch_vccnz .LBB57_82
; %bb.52:
	v_bfe_u32 v49, v0, 10, 10
	v_and_b32_e32 v51, 0x3ff, v0
	s_lshl_b64 s[20:21], s[16:17], 2
	s_mov_b32 s3, 0
	s_delay_alu instid0(VALU_DEP_2)
	v_dual_mov_b32 v1, 0 :: v_dual_lshlrev_b32 v50, 3, v49
	v_lshlrev_b32_e32 v8, 5, v49
	v_add_nc_u32_e32 v4, s30, v51
	s_wait_alu 0xfffe
	s_mov_b32 s19, s3
	v_mov_b32_e32 v5, v1
	v_add_co_u32 v10, s2, v50, s16
	s_wait_alu 0xf1ff
	v_add_co_ci_u32_e64 v11, null, 0, 0, s2
	s_load_b32 s2, s[0:1], 0x44
	v_mul_lo_u32 v6, s7, v10
	v_mad_co_u64_u32 v[2:3], null, s6, v10, 0
	v_mul_lo_u32 v7, s6, v11
	v_lshlrev_b64_e32 v[18:19], 2, v[4:5]
	s_delay_alu instid0(VALU_DEP_2) | instskip(SKIP_3) | instid1(VALU_DEP_3)
	v_add3_u32 v3, v3, v7, v6
	v_add_co_u32 v6, s18, v8, s20
	s_wait_alu 0xf1ff
	v_add_co_ci_u32_e64 v7, null, 0, s21, s18
	v_lshlrev_b64_e32 v[4:5], 2, v[2:3]
	s_delay_alu instid0(VALU_DEP_3) | instskip(SKIP_1) | instid1(VALU_DEP_3)
	v_add_co_u32 v8, vcc_lo, v6, 4
	s_wait_alu 0xfffd
	v_add_co_ci_u32_e64 v9, null, 0, v7, vcc_lo
	s_wait_kmcnt 0x0
	s_lshl_b32 s18, s2, 7
	v_add_co_u32 v52, vcc_lo, s8, v4
	s_wait_alu 0xfffd
	v_add_co_ci_u32_e64 v53, null, s9, v5, vcc_lo
	v_add_co_u32 v54, vcc_lo, s10, v4
	s_wait_alu 0xfffd
	v_add_co_ci_u32_e64 v55, null, s11, v5, vcc_lo
	;; [unrolled: 3-line block ×5, first 2 shown]
	v_add_co_u32 v42, vcc_lo, v6, 20
	v_mad_co_u64_u32 v[22:23], null, s6, v4, s[8:9]
	v_mul_lo_u32 v5, s6, v5
	v_mul_lo_u32 v15, s7, v4
	v_mad_co_u64_u32 v[36:37], null, s6, v4, s[10:11]
	s_wait_alu 0xfffd
	v_add_co_ci_u32_e64 v30, null, 0, v7, vcc_lo
	v_add_co_u32 v44, vcc_lo, v6, 24
	s_wait_alu 0xfffd
	v_add_co_ci_u32_e64 v32, null, 0, v7, vcc_lo
	v_add_co_u32 v6, vcc_lo, v6, 28
	v_mad_co_u64_u32 v[20:21], null, s6, v8, s[8:9]
	v_mul_lo_u32 v9, s6, v9
	v_mul_lo_u32 v12, s7, v8
	v_mad_co_u64_u32 v[34:35], null, s6, v8, s[10:11]
	s_wait_alu 0xfffd
	v_add_co_ci_u32_e64 v7, null, 0, v7, vcc_lo
	v_add_co_u32 v4, vcc_lo, v10, 7
	v_add3_u32 v23, v15, v23, v5
	v_add3_u32 v37, v15, v37, v5
	s_wait_alu 0xfffd
	v_add_co_ci_u32_e64 v5, null, 0, v11, vcc_lo
	v_mul_lo_u32 v61, s6, v7
	v_add_co_u32 v7, vcc_lo, v10, 6
	v_add3_u32 v21, v12, v21, v9
	v_add3_u32 v35, v12, v35, v9
	s_wait_alu 0xfffd
	v_add_co_ci_u32_e64 v12, null, 0, v11, vcc_lo
	v_mul_lo_u32 v8, s7, v4
	v_mul_lo_u32 v9, s6, v5
	v_mad_co_u64_u32 v[4:5], null, s6, v4, 0
	v_mad_co_u64_u32 v[24:25], null, s6, v13, s[8:9]
	v_mul_lo_u32 v17, s7, v13
	v_mul_lo_u32 v59, s6, v32
	v_mad_co_u64_u32 v[32:33], null, s6, v6, s[8:9]
	v_mul_lo_u32 v62, s7, v6
	v_mad_co_u64_u32 v[38:39], null, s6, v13, s[10:11]
	v_mad_co_u64_u32 v[46:47], null, s6, v6, s[10:11]
	v_mul_lo_u32 v13, s7, v7
	v_mul_lo_u32 v12, s6, v12
	v_mad_co_u64_u32 v[6:7], null, s6, v7, 0
	v_add3_u32 v5, v5, v9, v8
	v_add_co_u32 v8, vcc_lo, v10, 5
	v_mul_lo_u32 v48, s6, v28
	v_mad_co_u64_u32 v[28:29], null, s6, v42, s[8:9]
	v_mul_lo_u32 v57, s6, v30
	v_mul_lo_u32 v58, s7, v42
	v_mad_co_u64_u32 v[42:43], null, s6, v42, s[10:11]
	s_wait_alu 0xfffd
	v_add_co_ci_u32_e64 v9, null, 0, v11, vcc_lo
	v_add3_u32 v7, v7, v12, v13
	v_mad_co_u64_u32 v[30:31], null, s6, v44, s[8:9]
	v_mul_lo_u32 v60, s7, v44
	v_mad_co_u64_u32 v[44:45], null, s6, v44, s[10:11]
	v_lshlrev_b64_e32 v[4:5], 2, v[4:5]
	v_mul_lo_u32 v12, s7, v8
	v_mul_lo_u32 v13, s6, v9
	v_mad_co_u64_u32 v[8:9], null, s6, v8, 0
	v_lshlrev_b64_e32 v[6:7], 2, v[6:7]
	v_add3_u32 v29, v58, v29, v57
	v_add3_u32 v43, v58, v43, v57
	v_add_co_u32 v57, vcc_lo, s8, v4
	v_add3_u32 v31, v60, v31, v59
	v_add3_u32 v45, v60, v45, v59
	s_wait_alu 0xfffd
	v_add_co_ci_u32_e64 v58, null, s9, v5, vcc_lo
	v_add_co_u32 v59, vcc_lo, s10, v4
	v_add3_u32 v33, v62, v33, v61
	v_add3_u32 v47, v62, v47, v61
	s_wait_alu 0xfffd
	v_add_co_ci_u32_e64 v60, null, s11, v5, vcc_lo
	v_add_co_u32 v61, vcc_lo, s8, v6
	v_mul_lo_u32 v14, s6, v14
	v_add3_u32 v9, v9, v13, v12
	s_wait_alu 0xfffd
	v_add_co_ci_u32_e64 v62, null, s9, v7, vcc_lo
	v_add_co_u32 v12, vcc_lo, v10, 4
	v_add_co_u32 v63, s2, s10, v6
	s_wait_alu 0xfffd
	v_add_co_ci_u32_e64 v6, null, 0, v11, vcc_lo
	v_lshlrev_b64_e32 v[4:5], 2, v[8:9]
	v_add_co_u32 v8, vcc_lo, v10, 3
	s_wait_alu 0xfffd
	v_add_co_ci_u32_e64 v9, null, 0, v11, vcc_lo
	v_add3_u32 v25, v17, v25, v14
	v_add3_u32 v39, v17, v39, v14
	s_wait_alu 0xf1ff
	v_add_co_ci_u32_e64 v64, null, s11, v7, s2
	v_mul_lo_u32 v13, s7, v12
	v_mul_lo_u32 v14, s6, v6
	v_mad_co_u64_u32 v[6:7], null, s6, v12, 0
	v_mul_lo_u32 v12, s7, v8
	v_mul_lo_u32 v15, s6, v9
	v_mad_co_u64_u32 v[8:9], null, s6, v8, 0
	v_add_co_u32 v65, vcc_lo, s8, v4
	s_wait_alu 0xfffd
	v_add_co_ci_u32_e64 v66, null, s9, v5, vcc_lo
	v_add3_u32 v7, v7, v14, v13
	v_add_co_u32 v67, vcc_lo, s10, v4
	s_wait_alu 0xfffd
	v_add_co_ci_u32_e64 v68, null, s11, v5, vcc_lo
	v_add_co_u32 v10, vcc_lo, v10, 2
	v_add3_u32 v9, v9, v15, v12
	s_wait_alu 0xfffd
	v_add_co_ci_u32_e64 v11, null, 0, v11, vcc_lo
	v_lshlrev_b64_e32 v[4:5], 2, v[6:7]
	v_mul_lo_u32 v12, s7, v10
	v_lshlrev_b64_e32 v[6:7], 2, v[8:9]
	s_delay_alu instid0(VALU_DEP_4)
	v_mul_lo_u32 v11, s6, v11
	v_mad_co_u64_u32 v[8:9], null, s6, v10, 0
	v_add_co_u32 v69, vcc_lo, s8, v4
	s_wait_alu 0xfffd
	v_add_co_ci_u32_e64 v70, null, s9, v5, vcc_lo
	v_add_co_u32 v71, vcc_lo, s10, v4
	s_wait_alu 0xfffd
	v_add_co_ci_u32_e64 v72, null, s11, v5, vcc_lo
	v_add_co_u32 v73, vcc_lo, s8, v6
	s_wait_alu 0xfffd
	v_add_co_ci_u32_e64 v74, null, s9, v7, vcc_lo
	v_add3_u32 v9, v9, v11, v12
	v_add_co_u32 v75, vcc_lo, s10, v6
	s_wait_alu 0xfffd
	v_add_co_ci_u32_e64 v76, null, s11, v7, vcc_lo
	v_add_co_u32 v2, vcc_lo, v2, s6
	s_wait_alu 0xfffd
	v_add_co_ci_u32_e64 v3, null, s7, v3, vcc_lo
	v_lshlrev_b64_e32 v[4:5], 2, v[8:9]
	v_mad_co_u64_u32 v[26:27], null, s6, v16, s[8:9]
	s_delay_alu instid0(VALU_DEP_3)
	v_lshlrev_b64_e32 v[2:3], 2, v[2:3]
	v_mul_lo_u32 v56, s7, v16
	v_mad_co_u64_u32 v[40:41], null, s6, v16, s[10:11]
	v_add_co_u32 v77, vcc_lo, s8, v4
	s_wait_alu 0xfffd
	v_add_co_ci_u32_e64 v78, null, s9, v5, vcc_lo
	v_add_co_u32 v79, vcc_lo, s10, v4
	s_wait_alu 0xfffd
	v_add_co_ci_u32_e64 v80, null, s11, v5, vcc_lo
	;; [unrolled: 3-line block ×3, first 2 shown]
	v_add_co_u32 v83, vcc_lo, s10, v2
	v_add3_u32 v27, v56, v27, v48
	v_add3_u32 v41, v56, v41, v48
	s_wait_alu 0xfffd
	v_add_co_ci_u32_e64 v84, null, s11, v3, vcc_lo
	v_mov_b32_e32 v56, 0
	v_mov_b32_e32 v48, 0
	s_wait_alu 0xfffe
	s_mul_u64 s[20:21], s[6:7], s[18:19]
	s_add_nc_u64 s[8:9], s[0:1], 64
	s_wait_alu 0xfffe
	s_lshl_b64 s[10:11], s[20:21], 2
	s_add_nc_u64 s[20:21], s[16:17], 0x7f
	s_branch .LBB57_56
.LBB57_53:                              ;   in Loop: Header=BB57_56 Depth=1
	s_wait_alu 0xfffe
	s_or_b32 exec_lo, exec_lo, s22
.LBB57_54:                              ;   in Loop: Header=BB57_56 Depth=1
	s_wait_alu 0xfffe
	s_or_b32 exec_lo, exec_lo, s2
	v_add_co_u32 v2, vcc_lo, v52, v18
	s_wait_alu 0xfffd
	v_add_co_ci_u32_e64 v3, null, v53, v19, vcc_lo
	s_wait_loadcnt 0x1
	ds_bpermute_b32 v88, v1, v4
	global_load_b32 v6, v[2:3], off
	v_add_co_u32 v2, vcc_lo, v54, v18
	s_wait_alu 0xfffd
	v_add_co_ci_u32_e64 v3, null, v55, v19, vcc_lo
	global_load_b32 v7, v[2:3], off
	v_add_co_u32 v2, vcc_lo, v20, v18
	s_wait_alu 0xfffd
	v_add_co_ci_u32_e64 v3, null, v21, v19, vcc_lo
	;; [unrolled: 4-line block ×15, first 2 shown]
	global_load_b32 v3, v[2:3], off
	s_wait_loadcnt 0x10
	ds_bpermute_b32 v2, v1, v5
	s_wait_loadcnt_dscnt 0xe01
	v_sub_f32_e32 v7, v7, v88
	s_delay_alu instid0(VALU_DEP_1) | instskip(SKIP_1) | instid1(VALU_DEP_1)
	v_mul_f32_e32 v7, v6, v7
	s_wait_dscnt 0x0
	v_fmac_f32_e32 v56, v7, v2
	ds_bpermute_b32 v7, v1, v4 offset:4
	v_add_f32_e32 v2, v48, v6
	ds_bpermute_b32 v6, v1, v5 offset:4
	s_wait_loadcnt 0xd
	v_add_f32_e32 v2, v2, v8
	s_wait_loadcnt 0xb
	s_delay_alu instid0(VALU_DEP_1) | instskip(SKIP_3) | instid1(VALU_DEP_1)
	v_add_f32_e32 v2, v2, v11
	s_wait_dscnt 0x1
	v_sub_f32_e32 v7, v10, v7
	s_wait_loadcnt 0x9
	v_dual_mul_f32 v7, v8, v7 :: v_dual_add_f32 v2, v2, v13
	s_wait_dscnt 0x0
	s_delay_alu instid0(VALU_DEP_1)
	v_fmac_f32_e32 v56, v7, v6
	ds_bpermute_b32 v7, v1, v4 offset:8
	ds_bpermute_b32 v6, v1, v5 offset:8
	s_wait_loadcnt 0x7
	v_add_f32_e32 v2, v2, v15
	s_wait_dscnt 0x1
	v_sub_f32_e32 v7, v12, v7
	s_delay_alu instid0(VALU_DEP_1) | instskip(SKIP_1) | instid1(VALU_DEP_1)
	v_mul_f32_e32 v7, v11, v7
	s_wait_dscnt 0x0
	v_fmac_f32_e32 v56, v7, v6
	ds_bpermute_b32 v7, v1, v4 offset:12
	ds_bpermute_b32 v6, v1, v5 offset:12
	s_wait_loadcnt 0x5
	v_add_f32_e32 v2, v2, v17
	s_wait_loadcnt 0x3
	s_delay_alu instid0(VALU_DEP_1) | instskip(SKIP_2) | instid1(VALU_DEP_1)
	v_add_f32_e32 v2, v2, v86
	s_wait_dscnt 0x1
	v_sub_f32_e32 v7, v14, v7
	v_mul_f32_e32 v7, v13, v7
	s_wait_dscnt 0x0
	s_delay_alu instid0(VALU_DEP_1) | instskip(SKIP_4) | instid1(VALU_DEP_1)
	v_fmac_f32_e32 v56, v7, v6
	ds_bpermute_b32 v7, v1, v4 offset:16
	ds_bpermute_b32 v6, v1, v5 offset:16
	s_wait_dscnt 0x1
	v_sub_f32_e32 v7, v16, v7
	v_mul_f32_e32 v7, v15, v7
	s_wait_dscnt 0x0
	s_delay_alu instid0(VALU_DEP_1) | instskip(SKIP_4) | instid1(VALU_DEP_1)
	v_fmac_f32_e32 v56, v7, v6
	ds_bpermute_b32 v7, v1, v4 offset:20
	ds_bpermute_b32 v6, v1, v5 offset:20
	s_wait_dscnt 0x1
	v_sub_f32_e32 v7, v85, v7
	v_mul_f32_e32 v7, v17, v7
	s_wait_dscnt 0x0
	s_delay_alu instid0(VALU_DEP_1)
	v_fmac_f32_e32 v56, v7, v6
	ds_bpermute_b32 v7, v1, v4 offset:24
	ds_bpermute_b32 v4, v1, v4 offset:28
	;; [unrolled: 1-line block ×4, first 2 shown]
	s_wait_loadcnt_dscnt 0x203
	v_sub_f32_e32 v7, v87, v7
	s_wait_loadcnt_dscnt 0x2
	v_sub_f32_e32 v3, v3, v4
	s_delay_alu instid0(VALU_DEP_2) | instskip(SKIP_1) | instid1(VALU_DEP_1)
	v_mul_f32_e32 v7, v86, v7
	s_wait_dscnt 0x1
	v_dual_mul_f32 v3, v9, v3 :: v_dual_fmac_f32 v56, v7, v6
	s_wait_dscnt 0x0
	s_delay_alu instid0(VALU_DEP_1)
	v_dual_mul_f32 v3, v3, v5 :: v_dual_mov_b32 v10, v56
.LBB57_55:                              ;   in Loop: Header=BB57_56 Depth=1
	v_add_co_u32 v52, vcc_lo, v52, s10
	s_wait_alu 0xfffd
	v_add_co_ci_u32_e64 v53, null, s11, v53, vcc_lo
	v_add_co_u32 v54, vcc_lo, v54, s10
	s_wait_alu 0xfffd
	v_add_co_ci_u32_e64 v55, null, s11, v55, vcc_lo
	;; [unrolled: 3-line block ×27, first 2 shown]
	v_add_co_u32 v79, vcc_lo, v79, s10
	s_add_nc_u64 s[16:17], s[16:17], s[18:19]
	s_wait_alu 0xfffd
	v_add_co_ci_u32_e64 v80, null, s11, v80, vcc_lo
	v_add_co_u32 v81, vcc_lo, v81, s10
	s_wait_alu 0xfffe
	v_cmp_ge_i64_e64 s2, s[16:17], s[4:5]
	s_wait_alu 0xfffd
	v_add_co_ci_u32_e64 v82, null, s11, v82, vcc_lo
	v_add_co_u32 v83, vcc_lo, v83, s10
	v_add_f32_e32 v56, v10, v3
	v_add_f32_e32 v48, v2, v9
	s_wait_alu 0xfffd
	v_add_co_ci_u32_e64 v84, null, s11, v84, vcc_lo
	s_and_b32 vcc_lo, exec_lo, s2
	s_add_nc_u64 s[20:21], s[20:21], s[18:19]
	s_wait_alu 0xfffe
	s_cbranch_vccnz .LBB57_82
.LBB57_56:                              ; =>This Inner Loop Header: Depth=1
	s_wait_alu 0xfffe
	v_cmp_ge_i64_e64 s2, s[20:21], s[4:5]
	v_add_co_u32 v85, s22, v50, s20
	s_wait_alu 0xf1ff
	v_add_co_ci_u32_e64 v86, null, 0, s21, s22
                                        ; implicit-def: $vgpr9
                                        ; implicit-def: $vgpr3
                                        ; implicit-def: $vgpr2
                                        ; implicit-def: $vgpr10
	s_and_b32 vcc_lo, exec_lo, s2
	s_mov_b32 s2, -1
	s_wait_alu 0xfffe
	s_cbranch_vccz .LBB57_78
; %bb.57:                               ;   in Loop: Header=BB57_56 Depth=1
	s_load_b32 s2, s[8:9], 0xc
	v_dual_mov_b32 v88, 0 :: v_dual_mov_b32 v87, 0
	s_wait_kmcnt 0x0
	s_and_b32 s2, s2, 0xffff
	s_wait_alu 0xfffe
	v_mad_u32_u24 v2, v49, s2, v51
	s_mov_b32 s2, exec_lo
	s_delay_alu instid0(VALU_DEP_1) | instskip(NEXT) | instid1(VALU_DEP_1)
	v_and_b32_e32 v2, 31, v2
	v_cmpx_gt_u32_e32 8, v2
	s_cbranch_execz .LBB57_61
; %bb.58:                               ;   in Loop: Header=BB57_56 Depth=1
	v_add_co_u32 v2, vcc_lo, v85, v2
	s_wait_alu 0xfffd
	v_add_co_ci_u32_e64 v3, null, 0, v86, vcc_lo
	v_dual_mov_b32 v87, 0 :: v_dual_mov_b32 v88, 0
	s_delay_alu instid0(VALU_DEP_3) | instskip(SKIP_1) | instid1(VALU_DEP_3)
	v_add_co_u32 v2, vcc_lo, 0xffffff81, v2
	s_wait_alu 0xfffd
	v_add_co_ci_u32_e64 v3, null, -1, v3, vcc_lo
	s_mov_b32 s22, exec_lo
	v_cmpx_gt_i64_e64 s[4:5], v[2:3]
	s_cbranch_execz .LBB57_60
; %bb.59:                               ;   in Loop: Header=BB57_56 Depth=1
	v_lshlrev_b64_e32 v[2:3], 2, v[2:3]
	s_delay_alu instid0(VALU_DEP_1) | instskip(SKIP_1) | instid1(VALU_DEP_2)
	v_add_co_u32 v4, vcc_lo, s12, v2
	s_wait_alu 0xfffd
	v_add_co_ci_u32_e64 v5, null, s13, v3, vcc_lo
	v_add_co_u32 v2, vcc_lo, s14, v2
	s_wait_alu 0xfffd
	v_add_co_ci_u32_e64 v3, null, s15, v3, vcc_lo
	global_load_b32 v87, v[4:5], off
	global_load_b32 v88, v[2:3], off
.LBB57_60:                              ;   in Loop: Header=BB57_56 Depth=1
	s_wait_alu 0xfffe
	s_or_b32 exec_lo, exec_lo, s22
.LBB57_61:                              ;   in Loop: Header=BB57_56 Depth=1
	s_wait_alu 0xfffe
	s_or_b32 exec_lo, exec_lo, s2
	v_add_co_u32 v9, vcc_lo, 0xffffff81, v85
	s_wait_alu 0xfffd
	v_add_co_ci_u32_e64 v10, null, -1, v86, vcc_lo
	v_mov_b32_e32 v8, v1
	v_dual_mov_b32 v2, v1 :: v_dual_mov_b32 v3, v1
	v_dual_mov_b32 v4, v1 :: v_dual_mov_b32 v5, v1
	;; [unrolled: 1-line block ×3, first 2 shown]
	v_cmp_gt_i64_e32 vcc_lo, s[4:5], v[9:10]
	s_delay_alu instid0(VALU_DEP_3) | instskip(NEXT) | instid1(VALU_DEP_3)
	v_dual_mov_b32 v17, v8 :: v_dual_mov_b32 v14, v5
	v_dual_mov_b32 v15, v6 :: v_dual_mov_b32 v16, v7
	;; [unrolled: 1-line block ×4, first 2 shown]
	v_mov_b32_e32 v9, v8
	v_mov_b32_e32 v8, v7
	v_mov_b32_e32 v7, v6
	v_mov_b32_e32 v6, v5
	v_mov_b32_e32 v5, v4
	v_mov_b32_e32 v4, v3
	v_mov_b32_e32 v3, v2
	v_mov_b32_e32 v2, v1
	s_and_saveexec_b32 s2, vcc_lo
	s_cbranch_execz .LBB57_63
; %bb.62:                               ;   in Loop: Header=BB57_56 Depth=1
	v_add_co_u32 v2, vcc_lo, v52, v18
	s_wait_alu 0xfffd
	v_add_co_ci_u32_e64 v3, null, v53, v19, vcc_lo
	v_add_co_u32 v4, vcc_lo, v54, v18
	s_wait_alu 0xfffd
	v_add_co_ci_u32_e64 v5, null, v55, v19, vcc_lo
	global_load_b32 v2, v[2:3], off
	global_load_b32 v10, v[4:5], off
	v_dual_mov_b32 v3, v1 :: v_dual_mov_b32 v4, v1
	v_dual_mov_b32 v5, v1 :: v_dual_mov_b32 v6, v1
	;; [unrolled: 1-line block ×6, first 2 shown]
	v_mov_b32_e32 v15, v1
	v_mov_b32_e32 v17, v1
.LBB57_63:                              ;   in Loop: Header=BB57_56 Depth=1
	s_wait_alu 0xfffe
	s_or_b32 exec_lo, exec_lo, s2
	v_add_co_u32 v89, vcc_lo, 0xffffff82, v85
	s_wait_alu 0xfffd
	v_add_co_ci_u32_e64 v90, null, -1, v86, vcc_lo
	s_mov_b32 s2, exec_lo
	v_cmpx_gt_i64_e64 s[4:5], v[89:90]
	s_cbranch_execz .LBB57_65
; %bb.64:                               ;   in Loop: Header=BB57_56 Depth=1
	v_add_co_u32 v89, vcc_lo, v81, v18
	s_wait_alu 0xfffd
	v_add_co_ci_u32_e64 v90, null, v82, v19, vcc_lo
	v_add_co_u32 v91, vcc_lo, v83, v18
	s_wait_alu 0xfffd
	v_add_co_ci_u32_e64 v92, null, v84, v19, vcc_lo
	global_load_b32 v3, v[89:90], off
	global_load_b32 v11, v[91:92], off
.LBB57_65:                              ;   in Loop: Header=BB57_56 Depth=1
	s_wait_alu 0xfffe
	s_or_b32 exec_lo, exec_lo, s2
	v_add_co_u32 v89, vcc_lo, 0xffffff83, v85
	s_wait_alu 0xfffd
	v_add_co_ci_u32_e64 v90, null, -1, v86, vcc_lo
	s_mov_b32 s2, exec_lo
	v_cmpx_gt_i64_e64 s[4:5], v[89:90]
	s_cbranch_execz .LBB57_67
; %bb.66:                               ;   in Loop: Header=BB57_56 Depth=1
	v_add_co_u32 v89, vcc_lo, v77, v18
	s_wait_alu 0xfffd
	v_add_co_ci_u32_e64 v90, null, v78, v19, vcc_lo
	v_add_co_u32 v91, vcc_lo, v79, v18
	s_wait_alu 0xfffd
	v_add_co_ci_u32_e64 v92, null, v80, v19, vcc_lo
	global_load_b32 v4, v[89:90], off
	global_load_b32 v12, v[91:92], off
.LBB57_67:                              ;   in Loop: Header=BB57_56 Depth=1
	;; [unrolled: 18-line block ×7, first 2 shown]
	s_wait_alu 0xfffe
	s_or_b32 exec_lo, exec_lo, s2
	s_wait_loadcnt 0x1
	ds_bpermute_b32 v90, v1, v87
	s_wait_loadcnt 0x0
	ds_bpermute_b32 v89, v1, v88
	s_mov_b32 s2, 0
	s_wait_dscnt 0x1
	v_sub_f32_e32 v10, v10, v90
	ds_bpermute_b32 v90, v1, v87 offset:4
	s_wait_dscnt 0x0
	v_sub_f32_e32 v11, v11, v90
	s_delay_alu instid0(VALU_DEP_1) | instskip(SKIP_1) | instid1(VALU_DEP_2)
	v_dual_mul_f32 v11, v3, v11 :: v_dual_mul_f32 v10, v2, v10
	v_add_f32_e32 v2, v48, v2
	v_fma_f32 v10, v10, v89, v56
	ds_bpermute_b32 v89, v1, v88 offset:4
	v_add_f32_e32 v2, v3, v2
	ds_bpermute_b32 v3, v1, v88 offset:8
	v_add_f32_e32 v2, v4, v2
	s_delay_alu instid0(VALU_DEP_1) | instskip(NEXT) | instid1(VALU_DEP_1)
	v_add_f32_e32 v2, v5, v2
	v_add_f32_e32 v2, v6, v2
	s_wait_dscnt 0x1
	v_fmac_f32_e32 v10, v11, v89
	ds_bpermute_b32 v11, v1, v87 offset:8
	v_add_f32_e32 v2, v7, v2
	s_delay_alu instid0(VALU_DEP_1) | instskip(SKIP_2) | instid1(VALU_DEP_1)
	v_add_f32_e32 v2, v8, v2
	s_wait_dscnt 0x0
	v_sub_f32_e32 v11, v12, v11
	v_mul_f32_e32 v11, v4, v11
	ds_bpermute_b32 v4, v1, v87 offset:12
	v_fmac_f32_e32 v10, v11, v3
	ds_bpermute_b32 v3, v1, v88 offset:12
	s_wait_dscnt 0x1
	v_sub_f32_e32 v4, v13, v4
	s_delay_alu instid0(VALU_DEP_1) | instskip(SKIP_1) | instid1(VALU_DEP_1)
	v_mul_f32_e32 v4, v5, v4
	s_wait_dscnt 0x0
	v_fmac_f32_e32 v10, v4, v3
	ds_bpermute_b32 v4, v1, v87 offset:16
	ds_bpermute_b32 v3, v1, v88 offset:16
	s_wait_dscnt 0x1
	v_sub_f32_e32 v4, v14, v4
	s_delay_alu instid0(VALU_DEP_1) | instskip(SKIP_1) | instid1(VALU_DEP_1)
	v_mul_f32_e32 v4, v6, v4
	s_wait_dscnt 0x0
	v_fmac_f32_e32 v10, v4, v3
	ds_bpermute_b32 v4, v1, v87 offset:20
	;; [unrolled: 8-line block ×4, first 2 shown]
	ds_bpermute_b32 v3, v1, v88 offset:28
	s_wait_dscnt 0x1
	v_sub_f32_e32 v4, v17, v4
	s_delay_alu instid0(VALU_DEP_1) | instskip(SKIP_1) | instid1(VALU_DEP_1)
	v_mul_f32_e32 v4, v9, v4
	s_wait_dscnt 0x0
	v_mul_f32_e32 v3, v4, v3
.LBB57_78:                              ;   in Loop: Header=BB57_56 Depth=1
	s_wait_alu 0xfffe
	s_and_b32 vcc_lo, exec_lo, s2
	s_wait_alu 0xfffe
	s_cbranch_vccz .LBB57_55
; %bb.79:                               ;   in Loop: Header=BB57_56 Depth=1
	s_load_b32 s2, s[8:9], 0x0
	v_dual_mov_b32 v4, 0 :: v_dual_mov_b32 v5, 0
	s_wait_kmcnt 0x0
	s_cmp_lt_u32 ttmp9, s2
	s_cselect_b32 s2, 12, 18
	s_wait_alu 0xfffe
	s_add_nc_u64 s[22:23], s[8:9], s[2:3]
	s_load_u16 s2, s[22:23], 0x0
	s_wait_kmcnt 0x0
	v_mad_u32_u24 v2, v49, s2, v51
	s_mov_b32 s2, exec_lo
	s_delay_alu instid0(VALU_DEP_1) | instskip(NEXT) | instid1(VALU_DEP_1)
	v_and_b32_e32 v2, 31, v2
	v_cmpx_gt_u32_e32 8, v2
	s_cbranch_execz .LBB57_54
; %bb.80:                               ;   in Loop: Header=BB57_56 Depth=1
	v_add_co_u32 v2, vcc_lo, v85, v2
	s_wait_alu 0xfffd
	v_add_co_ci_u32_e64 v3, null, 0, v86, vcc_lo
	v_dual_mov_b32 v4, 0 :: v_dual_mov_b32 v5, 0
	s_delay_alu instid0(VALU_DEP_3) | instskip(SKIP_1) | instid1(VALU_DEP_3)
	v_add_co_u32 v2, vcc_lo, 0xffffff81, v2
	s_wait_alu 0xfffd
	v_add_co_ci_u32_e64 v3, null, -1, v3, vcc_lo
	s_mov_b32 s22, exec_lo
	v_cmpx_gt_i64_e64 s[4:5], v[2:3]
	s_cbranch_execz .LBB57_53
; %bb.81:                               ;   in Loop: Header=BB57_56 Depth=1
	v_lshlrev_b64_e32 v[2:3], 2, v[2:3]
	s_delay_alu instid0(VALU_DEP_1) | instskip(SKIP_1) | instid1(VALU_DEP_2)
	v_add_co_u32 v4, vcc_lo, s12, v2
	s_wait_alu 0xfffd
	v_add_co_ci_u32_e64 v5, null, s13, v3, vcc_lo
	v_add_co_u32 v2, vcc_lo, s14, v2
	s_wait_alu 0xfffd
	v_add_co_ci_u32_e64 v3, null, s15, v3, vcc_lo
	global_load_b32 v4, v[4:5], off
	global_load_b32 v5, v[2:3], off
	s_branch .LBB57_53
.LBB57_82:
	v_and_b32_e32 v8, 0x3ff, v0
	v_bfe_u32 v0, v0, 10, 10
	s_mov_b32 s2, exec_lo
	s_delay_alu instid0(VALU_DEP_1) | instskip(NEXT) | instid1(VALU_DEP_1)
	v_mad_u32_u24 v1, 0x41, v0, v8
	v_lshl_add_u32 v2, v1, 2, 0
	v_sub_nc_u32_e32 v3, v1, v0
	ds_store_b32 v2, v56
	ds_store_b32 v2, v48 offset:4160
	s_wait_dscnt 0x0
	s_barrier_signal -1
	s_barrier_wait -1
	global_inv scope:SCOPE_SE
	v_cmpx_gt_u32_e32 0x800, v3
	s_cbranch_execz .LBB57_98
; %bb.83:
	s_load_b128 s[8:11], s[0:1], 0x30
	v_and_b32_e32 v0, 31, v8
	v_lshrrev_b32_e32 v2, 5, v3
                                        ; implicit-def: $vgpr1
	s_delay_alu instid0(VALU_DEP_2)
	v_cmp_gt_u32_e64 s0, 16, v0
	v_mul_u32_u24_e32 v4, 0x41, v0
                                        ; implicit-def: $vgpr0
	s_and_saveexec_b32 s1, s0
	s_cbranch_execz .LBB57_85
; %bb.84:
	s_delay_alu instid0(VALU_DEP_1) | instskip(NEXT) | instid1(VALU_DEP_1)
	v_add_nc_u32_e32 v0, v2, v4
	v_lshl_add_u32 v0, v0, 2, 0
	ds_load_b32 v1, v0
	ds_load_b32 v0, v0 offset:4160
.LBB57_85:
	s_or_b32 exec_lo, exec_lo, s1
	v_mbcnt_lo_u32_b32 v9, -1, 0
	s_mov_b32 s2, ttmp9
	s_mov_b32 s3, 0
	v_cmp_eq_u32_e64 s1, 0, v8
	s_wait_alu 0xfffe
	s_lshl_b64 s[2:3], s[2:3], 6
	v_xor_b32_e32 v5, 8, v9
	v_xor_b32_e32 v6, 4, v9
	;; [unrolled: 1-line block ×3, first 2 shown]
	s_wait_kmcnt 0x0
	s_cmp_lg_u64 s[8:9], 0
	s_cselect_b32 s5, -1, 0
	v_cmp_gt_i32_e32 vcc_lo, 32, v5
	s_cmp_lg_u64 s[10:11], 0
	s_cselect_b32 s4, -1, 0
	s_wait_alu 0xfffd
	v_cndmask_b32_e32 v5, v9, v5, vcc_lo
	v_cmp_gt_i32_e32 vcc_lo, 32, v6
	s_wait_alu 0xfffd
	v_cndmask_b32_e32 v6, v9, v6, vcc_lo
	s_delay_alu instid0(VALU_DEP_1)
	v_lshlrev_b32_e32 v6, 2, v6
	v_lshlrev_b32_e32 v5, 2, v5
	s_wait_dscnt 0x0
	ds_bpermute_b32 v10, v5, v0
	s_wait_dscnt 0x0
	v_add_f32_e32 v0, v0, v10
	ds_bpermute_b32 v7, v5, v1
	ds_bpermute_b32 v11, v6, v0
	s_wait_dscnt 0x1
	v_add_f32_e32 v1, v1, v7
	v_xor_b32_e32 v7, 2, v9
	s_wait_dscnt 0x0
	v_add_f32_e32 v0, v0, v11
	ds_bpermute_b32 v10, v6, v1
	v_cmp_gt_i32_e32 vcc_lo, 32, v7
	s_wait_alu 0xfffd
	v_cndmask_b32_e32 v7, v9, v7, vcc_lo
	v_cmp_gt_i32_e32 vcc_lo, 32, v12
	s_delay_alu instid0(VALU_DEP_2)
	v_lshlrev_b32_e32 v7, 2, v7
	s_wait_alu 0xfffd
	v_cndmask_b32_e32 v9, v9, v12, vcc_lo
	ds_bpermute_b32 v11, v7, v0
	s_wait_dscnt 0x1
	v_add_f32_e32 v1, v1, v10
	ds_bpermute_b32 v10, v7, v1
	v_lshlrev_b32_e32 v9, 2, v9
	s_wait_dscnt 0x1
	v_add_f32_e32 v11, v0, v11
	s_wait_alu 0xfffe
	v_or_b32_e32 v0, s2, v2
	s_wait_dscnt 0x0
	v_add_f32_e32 v10, v1, v10
	ds_bpermute_b32 v13, v9, v11
	v_mov_b32_e32 v1, s3
	ds_bpermute_b32 v12, v9, v10
	v_cmp_gt_i64_e32 vcc_lo, s[6:7], v[0:1]
	s_and_b32 s13, s1, vcc_lo
	s_wait_dscnt 0x0
	v_add_f32_e32 v8, v10, v12
	v_add_f32_e32 v10, v11, v13
	s_wait_alu 0xfffe
	s_and_saveexec_b32 s12, s13
	s_cbranch_execz .LBB57_90
; %bb.86:
	v_lshlrev_b64_e32 v[0:1], 2, v[0:1]
	s_and_not1_b32 vcc_lo, exec_lo, s5
	s_wait_alu 0xfffe
	s_cbranch_vccnz .LBB57_88
; %bb.87:
	s_delay_alu instid0(VALU_DEP_1)
	v_add_co_u32 v11, vcc_lo, s8, v0
	s_wait_alu 0xfffd
	v_add_co_ci_u32_e64 v12, null, s9, v1, vcc_lo
	global_store_b32 v[11:12], v8, off
.LBB57_88:
	s_and_not1_b32 vcc_lo, exec_lo, s4
	s_wait_alu 0xfffe
	s_cbranch_vccnz .LBB57_90
; %bb.89:
	v_add_co_u32 v0, vcc_lo, s10, v0
	s_wait_alu 0xfffd
	v_add_co_ci_u32_e64 v1, null, s11, v1, vcc_lo
	global_store_b32 v[0:1], v10, off
.LBB57_90:
	s_wait_alu 0xfffe
	s_or_b32 exec_lo, exec_lo, s12
	v_cmp_gt_u32_e32 vcc_lo, 0x400, v3
	s_and_b32 exec_lo, exec_lo, vcc_lo
	s_cbranch_execz .LBB57_98
; %bb.91:
	s_and_saveexec_b32 s12, s0
	s_cbranch_execz .LBB57_93
; %bb.92:
	v_add_nc_u32_e32 v0, v2, v4
	s_delay_alu instid0(VALU_DEP_1)
	v_lshl_add_u32 v0, v0, 2, 0
	ds_load_b32 v8, v0 offset:128
	ds_load_b32 v10, v0 offset:4288
.LBB57_93:
	s_wait_alu 0xfffe
	s_or_b32 exec_lo, exec_lo, s12
	s_wait_dscnt 0x1
	ds_bpermute_b32 v0, v5, v8
	s_wait_dscnt 0x1
	ds_bpermute_b32 v1, v5, v10
	s_wait_dscnt 0x1
	v_dual_add_f32 v0, v8, v0 :: v_dual_add_nc_u32 v5, 32, v2
	s_wait_dscnt 0x0
	v_add_f32_e32 v1, v10, v1
	ds_bpermute_b32 v3, v6, v0
	ds_bpermute_b32 v4, v6, v1
	v_mov_b32_e32 v6, s3
	v_or_b32_e32 v5, s2, v5
	s_delay_alu instid0(VALU_DEP_1)
	v_cmp_gt_i64_e32 vcc_lo, s[6:7], v[5:6]
	s_and_b32 s0, s1, vcc_lo
	s_wait_dscnt 0x0
	v_dual_add_f32 v0, v0, v3 :: v_dual_add_f32 v1, v1, v4
	ds_bpermute_b32 v3, v7, v0
	ds_bpermute_b32 v4, v7, v1
	s_wait_dscnt 0x0
	v_dual_add_f32 v3, v0, v3 :: v_dual_add_f32 v0, v1, v4
	ds_bpermute_b32 v4, v9, v3
	ds_bpermute_b32 v1, v9, v0
	s_and_b32 exec_lo, exec_lo, s0
	s_cbranch_execz .LBB57_98
; %bb.94:
	s_and_not1_b32 vcc_lo, exec_lo, s5
	s_wait_alu 0xfffe
	s_cbranch_vccnz .LBB57_96
; %bb.95:
	v_add_co_u32 v5, s0, s2, v2
	s_delay_alu instid0(VALU_DEP_1) | instskip(SKIP_2) | instid1(VALU_DEP_2)
	v_add_co_ci_u32_e64 v6, null, s3, 0, s0
	s_wait_dscnt 0x1
	v_add_f32_e32 v7, v3, v4
	v_lshlrev_b64_e32 v[5:6], 2, v[5:6]
	s_delay_alu instid0(VALU_DEP_1) | instskip(SKIP_1) | instid1(VALU_DEP_2)
	v_add_co_u32 v3, vcc_lo, s8, v5
	s_wait_alu 0xfffd
	v_add_co_ci_u32_e64 v4, null, s9, v6, vcc_lo
	global_store_b32 v[3:4], v7, off offset:128
.LBB57_96:
	s_and_not1_b32 vcc_lo, exec_lo, s4
	s_wait_alu 0xfffe
	s_cbranch_vccnz .LBB57_98
; %bb.97:
	v_add_co_u32 v2, s0, s2, v2
	s_wait_alu 0xf1ff
	v_add_co_ci_u32_e64 v3, null, s3, 0, s0
	s_wait_dscnt 0x0
	v_add_f32_e32 v4, v0, v1
	s_delay_alu instid0(VALU_DEP_2) | instskip(NEXT) | instid1(VALU_DEP_1)
	v_lshlrev_b64_e32 v[2:3], 2, v[2:3]
	v_add_co_u32 v0, vcc_lo, s10, v2
	s_wait_alu 0xfffd
	s_delay_alu instid0(VALU_DEP_2)
	v_add_co_ci_u32_e64 v1, null, s11, v3, vcc_lo
	global_store_b32 v[0:1], v4, off offset:128
.LBB57_98:
	s_endpgm
	.section	.rodata,"a",@progbits
	.p2align	6, 0x0
	.amdhsa_kernel _ZN2at6native12_GLOBAL__N_135GammaBetaBackwardCUDAKernelTemplateIffLj64ELj16ELj128ELb0ELb0ELb0EEEvllPKT_S5_PKT0_S8_PS3_S9_
		.amdhsa_group_segment_fixed_size 0
		.amdhsa_private_segment_fixed_size 0
		.amdhsa_kernarg_size 320
		.amdhsa_user_sgpr_count 2
		.amdhsa_user_sgpr_dispatch_ptr 0
		.amdhsa_user_sgpr_queue_ptr 0
		.amdhsa_user_sgpr_kernarg_segment_ptr 1
		.amdhsa_user_sgpr_dispatch_id 0
		.amdhsa_user_sgpr_private_segment_size 0
		.amdhsa_wavefront_size32 1
		.amdhsa_uses_dynamic_stack 0
		.amdhsa_enable_private_segment 0
		.amdhsa_system_sgpr_workgroup_id_x 1
		.amdhsa_system_sgpr_workgroup_id_y 1
		.amdhsa_system_sgpr_workgroup_id_z 0
		.amdhsa_system_sgpr_workgroup_info 0
		.amdhsa_system_vgpr_workitem_id 1
		.amdhsa_next_free_vgpr 93
		.amdhsa_next_free_sgpr 36
		.amdhsa_reserve_vcc 1
		.amdhsa_float_round_mode_32 0
		.amdhsa_float_round_mode_16_64 0
		.amdhsa_float_denorm_mode_32 3
		.amdhsa_float_denorm_mode_16_64 3
		.amdhsa_fp16_overflow 0
		.amdhsa_workgroup_processor_mode 1
		.amdhsa_memory_ordered 1
		.amdhsa_forward_progress 1
		.amdhsa_inst_pref_size 81
		.amdhsa_round_robin_scheduling 0
		.amdhsa_exception_fp_ieee_invalid_op 0
		.amdhsa_exception_fp_denorm_src 0
		.amdhsa_exception_fp_ieee_div_zero 0
		.amdhsa_exception_fp_ieee_overflow 0
		.amdhsa_exception_fp_ieee_underflow 0
		.amdhsa_exception_fp_ieee_inexact 0
		.amdhsa_exception_int_div_zero 0
	.end_amdhsa_kernel
	.section	.text._ZN2at6native12_GLOBAL__N_135GammaBetaBackwardCUDAKernelTemplateIffLj64ELj16ELj128ELb0ELb0ELb0EEEvllPKT_S5_PKT0_S8_PS3_S9_,"axG",@progbits,_ZN2at6native12_GLOBAL__N_135GammaBetaBackwardCUDAKernelTemplateIffLj64ELj16ELj128ELb0ELb0ELb0EEEvllPKT_S5_PKT0_S8_PS3_S9_,comdat
.Lfunc_end57:
	.size	_ZN2at6native12_GLOBAL__N_135GammaBetaBackwardCUDAKernelTemplateIffLj64ELj16ELj128ELb0ELb0ELb0EEEvllPKT_S5_PKT0_S8_PS3_S9_, .Lfunc_end57-_ZN2at6native12_GLOBAL__N_135GammaBetaBackwardCUDAKernelTemplateIffLj64ELj16ELj128ELb0ELb0ELb0EEEvllPKT_S5_PKT0_S8_PS3_S9_
                                        ; -- End function
	.set _ZN2at6native12_GLOBAL__N_135GammaBetaBackwardCUDAKernelTemplateIffLj64ELj16ELj128ELb0ELb0ELb0EEEvllPKT_S5_PKT0_S8_PS3_S9_.num_vgpr, 93
	.set _ZN2at6native12_GLOBAL__N_135GammaBetaBackwardCUDAKernelTemplateIffLj64ELj16ELj128ELb0ELb0ELb0EEEvllPKT_S5_PKT0_S8_PS3_S9_.num_agpr, 0
	.set _ZN2at6native12_GLOBAL__N_135GammaBetaBackwardCUDAKernelTemplateIffLj64ELj16ELj128ELb0ELb0ELb0EEEvllPKT_S5_PKT0_S8_PS3_S9_.numbered_sgpr, 36
	.set _ZN2at6native12_GLOBAL__N_135GammaBetaBackwardCUDAKernelTemplateIffLj64ELj16ELj128ELb0ELb0ELb0EEEvllPKT_S5_PKT0_S8_PS3_S9_.num_named_barrier, 0
	.set _ZN2at6native12_GLOBAL__N_135GammaBetaBackwardCUDAKernelTemplateIffLj64ELj16ELj128ELb0ELb0ELb0EEEvllPKT_S5_PKT0_S8_PS3_S9_.private_seg_size, 0
	.set _ZN2at6native12_GLOBAL__N_135GammaBetaBackwardCUDAKernelTemplateIffLj64ELj16ELj128ELb0ELb0ELb0EEEvllPKT_S5_PKT0_S8_PS3_S9_.uses_vcc, 1
	.set _ZN2at6native12_GLOBAL__N_135GammaBetaBackwardCUDAKernelTemplateIffLj64ELj16ELj128ELb0ELb0ELb0EEEvllPKT_S5_PKT0_S8_PS3_S9_.uses_flat_scratch, 0
	.set _ZN2at6native12_GLOBAL__N_135GammaBetaBackwardCUDAKernelTemplateIffLj64ELj16ELj128ELb0ELb0ELb0EEEvllPKT_S5_PKT0_S8_PS3_S9_.has_dyn_sized_stack, 0
	.set _ZN2at6native12_GLOBAL__N_135GammaBetaBackwardCUDAKernelTemplateIffLj64ELj16ELj128ELb0ELb0ELb0EEEvllPKT_S5_PKT0_S8_PS3_S9_.has_recursion, 0
	.set _ZN2at6native12_GLOBAL__N_135GammaBetaBackwardCUDAKernelTemplateIffLj64ELj16ELj128ELb0ELb0ELb0EEEvllPKT_S5_PKT0_S8_PS3_S9_.has_indirect_call, 0
	.section	.AMDGPU.csdata,"",@progbits
; Kernel info:
; codeLenInByte = 10328
; TotalNumSgprs: 38
; NumVgprs: 93
; ScratchSize: 0
; MemoryBound: 0
; FloatMode: 240
; IeeeMode: 1
; LDSByteSize: 0 bytes/workgroup (compile time only)
; SGPRBlocks: 0
; VGPRBlocks: 11
; NumSGPRsForWavesPerEU: 38
; NumVGPRsForWavesPerEU: 93
; Occupancy: 16
; WaveLimiterHint : 0
; COMPUTE_PGM_RSRC2:SCRATCH_EN: 0
; COMPUTE_PGM_RSRC2:USER_SGPR: 2
; COMPUTE_PGM_RSRC2:TRAP_HANDLER: 0
; COMPUTE_PGM_RSRC2:TGID_X_EN: 1
; COMPUTE_PGM_RSRC2:TGID_Y_EN: 1
; COMPUTE_PGM_RSRC2:TGID_Z_EN: 0
; COMPUTE_PGM_RSRC2:TIDIG_COMP_CNT: 1
	.section	.text._ZN2at6native12_GLOBAL__N_135GammaBetaBackwardCUDAKernelTemplateIffLj64ELj16ELj256ELb0ELb1ELb0EEEvllPKT_S5_PKT0_S8_PS3_S9_,"axG",@progbits,_ZN2at6native12_GLOBAL__N_135GammaBetaBackwardCUDAKernelTemplateIffLj64ELj16ELj256ELb0ELb1ELb0EEEvllPKT_S5_PKT0_S8_PS3_S9_,comdat
	.globl	_ZN2at6native12_GLOBAL__N_135GammaBetaBackwardCUDAKernelTemplateIffLj64ELj16ELj256ELb0ELb1ELb0EEEvllPKT_S5_PKT0_S8_PS3_S9_ ; -- Begin function _ZN2at6native12_GLOBAL__N_135GammaBetaBackwardCUDAKernelTemplateIffLj64ELj16ELj256ELb0ELb1ELb0EEEvllPKT_S5_PKT0_S8_PS3_S9_
	.p2align	8
	.type	_ZN2at6native12_GLOBAL__N_135GammaBetaBackwardCUDAKernelTemplateIffLj64ELj16ELj256ELb0ELb1ELb0EEEvllPKT_S5_PKT0_S8_PS3_S9_,@function
_ZN2at6native12_GLOBAL__N_135GammaBetaBackwardCUDAKernelTemplateIffLj64ELj16ELj256ELb0ELb1ELb0EEEvllPKT_S5_PKT0_S8_PS3_S9_: ; @_ZN2at6native12_GLOBAL__N_135GammaBetaBackwardCUDAKernelTemplateIffLj64ELj16ELj256ELb0ELb1ELb0EEEvllPKT_S5_PKT0_S8_PS3_S9_
; %bb.0:
	s_load_b128 s[16:19], s[0:1], 0x0
	s_lshl_b32 s2, ttmp7, 8
	s_mov_b32 s3, 0
	v_bfe_u32 v7, v0, 10, 10
	s_wait_kmcnt 0x0
	v_cmp_gt_i64_e64 s4, s[16:17], s[2:3]
	s_and_b32 vcc_lo, exec_lo, s4
	s_cbranch_vccnz .LBB58_2
; %bb.1:
	v_bfe_u32 v1, v0, 10, 10
	s_mov_b32 s4, s3
	s_branch .LBB58_3
.LBB58_2:
	s_mov_b32 s4, -1
                                        ; implicit-def: $vgpr1
.LBB58_3:
	s_load_b128 s[12:15], s[0:1], 0x30
	v_dual_mov_b32 v27, 0 :: v_dual_and_b32 v6, 0x3ff, v0
	v_mov_b32_e32 v0, 0
	s_and_not1_b32 vcc_lo, exec_lo, s4
	s_cbranch_vccnz .LBB58_11
; %bb.4:
	s_clause 0x2
	s_load_b32 s20, s[0:1], 0x4c
	s_load_b32 s22, s[0:1], 0x44
	s_load_b256 s[4:11], s[0:1], 0x10
	v_dual_mov_b32 v1, 0 :: v_dual_lshlrev_b32 v2, 4, v7
	v_lshl_add_u32 v0, ttmp9, 6, v6
	s_mov_b32 s21, 0
	v_dual_mov_b32 v8, 16 :: v_dual_mov_b32 v9, 4
	s_delay_alu instid0(VALU_DEP_3) | instskip(SKIP_3) | instid1(VALU_DEP_3)
	v_add_co_u32 v2, s0, v2, s2
	s_wait_alu 0xf1ff
	v_add_co_ci_u32_e64 v3, null, 0, 0, s0
	v_lshlrev_b64_e32 v[25:26], 2, v[0:1]
	v_mul_lo_u32 v21, s19, v2
	v_mad_co_u64_u32 v[4:5], null, s18, v2, 0
	s_delay_alu instid0(VALU_DEP_4)
	v_mul_lo_u32 v22, s18, v3
	v_dual_mov_b32 v10, 8 :: v_dual_mov_b32 v11, 12
	s_wait_kmcnt 0x0
	s_and_b32 s0, s20, 0xffff
	s_lshl_b32 s20, s22, 8
	s_wait_alu 0xfffe
	v_mad_u32_u24 v18, v7, s0, v6
	v_dual_mov_b32 v12, 20 :: v_dual_mov_b32 v13, 24
	v_add3_u32 v5, v5, v22, v21
	v_dual_mov_b32 v14, 28 :: v_dual_mov_b32 v15, 32
	s_delay_alu instid0(VALU_DEP_4) | instskip(SKIP_2) | instid1(VALU_DEP_3)
	v_dual_mov_b32 v18, 44 :: v_dual_and_b32 v23, 31, v18
	v_dual_mov_b32 v16, 36 :: v_dual_mov_b32 v17, 40
	v_dual_mov_b32 v19, 48 :: v_dual_mov_b32 v20, 52
	v_cmp_gt_u32_e64 s0, 16, v23
	v_add_co_u32 v2, vcc_lo, v2, v23
	v_lshlrev_b64_e32 v[23:24], 2, v[4:5]
	v_add_co_ci_u32_e64 v3, null, 0, v3, vcc_lo
	v_dual_mov_b32 v21, 56 :: v_dual_mov_b32 v22, 60
	v_dual_mov_b32 v0, 0 :: v_dual_mov_b32 v27, 0
	s_delay_alu instid0(VALU_DEP_4) | instskip(NEXT) | instid1(VALU_DEP_4)
	v_add_co_u32 v23, vcc_lo, v23, v25
	v_lshlrev_b64_e32 v[4:5], 2, v[2:3]
	s_wait_alu 0xfffd
	v_add_co_ci_u32_e64 v24, null, v24, v26, vcc_lo
	s_mul_u64 s[24:25], s[18:19], s[20:21]
	s_lshl_b64 s[22:23], s[20:21], 2
	s_lshl_b64 s[24:25], s[24:25], 2
	;; [unrolled: 1-line block ×3, first 2 shown]
	s_branch .LBB58_7
.LBB58_5:                               ;   in Loop: Header=BB58_7 Depth=1
	s_or_b32 exec_lo, exec_lo, s26
.LBB58_6:                               ;   in Loop: Header=BB58_7 Depth=1
	s_wait_alu 0xfffe
	s_or_b32 exec_lo, exec_lo, s1
	v_add_co_u32 v28, vcc_lo, s4, v23
	s_wait_alu 0xfffd
	v_add_co_ci_u32_e64 v29, null, s5, v24, vcc_lo
	v_add_co_u32 v30, vcc_lo, s6, v23
	s_wait_alu 0xfffd
	v_add_co_ci_u32_e64 v31, null, s7, v24, vcc_lo
	global_load_b32 v38, v[28:29], off
	global_load_b32 v39, v[30:31], off
	v_add_co_u32 v28, vcc_lo, v28, s18
	s_wait_alu 0xfffd
	v_add_co_ci_u32_e64 v29, null, s19, v29, vcc_lo
	v_add_co_u32 v30, vcc_lo, v30, s18
	s_wait_alu 0xfffd
	v_add_co_ci_u32_e64 v31, null, s19, v31, vcc_lo
	v_add_co_u32 v32, vcc_lo, v28, s18
	s_wait_alu 0xfffd
	v_add_co_ci_u32_e64 v33, null, s19, v29, vcc_lo
	v_add_co_u32 v34, vcc_lo, v30, s18
	s_wait_alu 0xfffd
	v_add_co_ci_u32_e64 v35, null, s19, v31, vcc_lo
	v_add_co_u32 v36, vcc_lo, v32, s18
	s_wait_alu 0xfffd
	v_add_co_ci_u32_e64 v37, null, s19, v33, vcc_lo
	global_load_b32 v40, v[28:29], off
	global_load_b32 v41, v[30:31], off
	global_load_b32 v42, v[32:33], off
	global_load_b32 v43, v[34:35], off
	global_load_b32 v44, v[36:37], off
	v_add_co_u32 v28, vcc_lo, v34, s18
	s_wait_alu 0xfffd
	v_add_co_ci_u32_e64 v29, null, s19, v35, vcc_lo
	v_add_co_u32 v30, vcc_lo, v36, s18
	s_wait_alu 0xfffd
	v_add_co_ci_u32_e64 v31, null, s19, v37, vcc_lo
	v_add_co_u32 v32, vcc_lo, v28, s18
	s_wait_alu 0xfffd
	v_add_co_ci_u32_e64 v33, null, s19, v29, vcc_lo
	v_add_co_u32 v34, vcc_lo, v30, s18
	s_wait_alu 0xfffd
	v_add_co_ci_u32_e64 v35, null, s19, v31, vcc_lo
	v_add_co_u32 v36, vcc_lo, v32, s18
	s_wait_alu 0xfffd
	v_add_co_ci_u32_e64 v37, null, s19, v33, vcc_lo
	global_load_b32 v45, v[28:29], off
	global_load_b32 v46, v[30:31], off
	global_load_b32 v47, v[32:33], off
	;; [unrolled: 20-line block ×4, first 2 shown]
	global_load_b32 v58, v[34:35], off
	global_load_b32 v59, v[36:37], off
	v_add_co_u32 v28, vcc_lo, v36, s18
	s_wait_alu 0xfffd
	v_add_co_ci_u32_e64 v29, null, s19, v37, vcc_lo
	v_add_co_u32 v30, vcc_lo, v34, s18
	s_wait_alu 0xfffd
	v_add_co_ci_u32_e64 v31, null, s19, v35, vcc_lo
	global_load_b32 v60, v[28:29], off
	v_add_co_u32 v32, vcc_lo, v30, s18
	s_wait_alu 0xfffd
	v_add_co_ci_u32_e64 v33, null, s19, v31, vcc_lo
	v_add_co_u32 v28, vcc_lo, v28, s18
	s_wait_alu 0xfffd
	v_add_co_ci_u32_e64 v29, null, s19, v29, vcc_lo
	;; [unrolled: 3-line block ×4, first 2 shown]
	global_load_b32 v61, v[30:31], off
	global_load_b32 v32, v[32:33], off
	;; [unrolled: 1-line block ×5, first 2 shown]
	v_add_co_u32 v28, vcc_lo, v36, s18
	s_wait_alu 0xfffd
	v_add_co_ci_u32_e64 v29, null, s19, v37, vcc_lo
	v_add_co_u32 v30, vcc_lo, v34, s18
	s_wait_alu 0xfffd
	v_add_co_ci_u32_e64 v31, null, s19, v35, vcc_lo
	global_load_b32 v34, v[28:29], off
	v_add_co_u32 v28, vcc_lo, v28, s18
	s_wait_alu 0xfffd
	v_add_co_ci_u32_e64 v29, null, s19, v29, vcc_lo
	global_load_b32 v35, v[30:31], off
	global_load_b32 v36, v[28:29], off
	v_add_co_u32 v28, vcc_lo, v30, s18
	s_wait_alu 0xfffd
	v_add_co_ci_u32_e64 v29, null, s19, v31, vcc_lo
	s_wait_loadcnt 0x20
	ds_bpermute_b32 v30, v9, v26
	s_wait_loadcnt 0x1f
	ds_bpermute_b32 v31, v1, v25
	ds_bpermute_b32 v37, v10, v26
	global_load_b32 v28, v[28:29], off
	ds_bpermute_b32 v29, v1, v26
	ds_bpermute_b32 v64, v9, v25
	;; [unrolled: 1-line block ×5, first 2 shown]
	v_add_co_u32 v4, vcc_lo, v4, s22
	s_add_nc_u64 s[2:3], s[2:3], s[20:21]
	s_wait_alu 0xfffd
	v_add_co_ci_u32_e64 v5, null, s23, v5, vcc_lo
	v_add_co_u32 v2, vcc_lo, v2, s20
	s_wait_alu 0xfffe
	v_cmp_lt_i64_e64 s1, s[2:3], s[16:17]
	s_wait_alu 0xfffd
	v_add_co_ci_u32_e64 v3, null, 0, v3, vcc_lo
	v_add_co_u32 v23, vcc_lo, v23, s24
	s_wait_alu 0xfffd
	v_add_co_ci_u32_e64 v24, null, s25, v24, vcc_lo
	s_and_b32 vcc_lo, exec_lo, s1
	s_wait_loadcnt_dscnt 0x1e04
	v_sub_f32_e32 v29, v39, v29
	ds_bpermute_b32 v39, v10, v25
	s_wait_loadcnt 0x1c
	v_dual_sub_f32 v30, v41, v30 :: v_dual_mul_f32 v29, v38, v29
	ds_bpermute_b32 v41, v11, v25
	v_add_f32_e32 v27, v27, v38
	ds_bpermute_b32 v38, v12, v25
	v_dual_fmac_f32 v0, v29, v31 :: v_dual_mul_f32 v29, v40, v30
	s_wait_loadcnt 0x1a
	v_sub_f32_e32 v30, v43, v37
	ds_bpermute_b32 v31, v8, v25
	ds_bpermute_b32 v37, v13, v26
	v_add_f32_e32 v27, v27, v40
	s_wait_dscnt 0x8
	v_dual_fmac_f32 v0, v29, v64 :: v_dual_mul_f32 v29, v42, v30
	ds_bpermute_b32 v40, v14, v26
	ds_bpermute_b32 v43, v16, v26
	s_wait_dscnt 0x6
	v_fmac_f32_e32 v0, v29, v39
	ds_bpermute_b32 v39, v13, v25
	s_wait_loadcnt 0x18
	v_dual_sub_f32 v30, v45, v65 :: v_dual_add_f32 v27, v27, v42
	ds_bpermute_b32 v42, v15, v26
	v_mul_f32_e32 v29, v44, v30
	s_wait_loadcnt 0x16
	v_sub_f32_e32 v30, v47, v66
	s_wait_dscnt 0x7
	s_delay_alu instid0(VALU_DEP_2) | instskip(SKIP_1) | instid1(VALU_DEP_2)
	v_dual_add_f32 v27, v27, v44 :: v_dual_fmac_f32 v0, v29, v41
	s_wait_loadcnt 0x14
	v_dual_mul_f32 v29, v46, v30 :: v_dual_sub_f32 v30, v49, v67
	ds_bpermute_b32 v41, v14, v25
	s_wait_dscnt 0x6
	v_dual_add_f32 v27, v27, v46 :: v_dual_fmac_f32 v0, v29, v31
	v_mul_f32_e32 v29, v48, v30
	ds_bpermute_b32 v31, v15, v25
	v_dual_add_f32 v27, v27, v48 :: v_dual_fmac_f32 v0, v29, v38
	s_wait_loadcnt_dscnt 0x1206
	v_sub_f32_e32 v30, v51, v37
	ds_bpermute_b32 v37, v17, v26
	ds_bpermute_b32 v38, v16, v25
	s_wait_loadcnt_dscnt 0x1007
	v_dual_mul_f32 v29, v50, v30 :: v_dual_sub_f32 v30, v53, v40
	ds_bpermute_b32 v40, v18, v26
	s_wait_dscnt 0x6
	v_dual_add_f32 v27, v27, v50 :: v_dual_fmac_f32 v0, v29, v39
	v_mul_f32_e32 v29, v52, v30
	ds_bpermute_b32 v39, v17, v25
	s_wait_dscnt 0x5
	v_dual_add_f32 v27, v27, v52 :: v_dual_fmac_f32 v0, v29, v41
	ds_bpermute_b32 v41, v18, v25
	s_wait_loadcnt 0xe
	v_sub_f32_e32 v30, v55, v42
	ds_bpermute_b32 v42, v19, v26
	s_wait_loadcnt 0xc
	v_dual_mul_f32 v29, v54, v30 :: v_dual_sub_f32 v30, v57, v43
	ds_bpermute_b32 v43, v20, v26
	s_wait_dscnt 0x7
	v_dual_add_f32 v27, v27, v54 :: v_dual_fmac_f32 v0, v29, v31
	s_wait_loadcnt_dscnt 0xa06
	v_dual_mul_f32 v29, v56, v30 :: v_dual_sub_f32 v30, v59, v37
	ds_bpermute_b32 v31, v19, v25
	ds_bpermute_b32 v37, v21, v26
	ds_bpermute_b32 v26, v22, v26
	s_wait_dscnt 0x8
	v_dual_add_f32 v27, v27, v56 :: v_dual_fmac_f32 v0, v29, v38
	s_wait_loadcnt_dscnt 0x907
	v_dual_mul_f32 v29, v58, v30 :: v_dual_sub_f32 v30, v60, v40
	ds_bpermute_b32 v38, v20, v25
	s_wait_dscnt 0x7
	v_dual_add_f32 v27, v27, v58 :: v_dual_fmac_f32 v0, v29, v39
	s_wait_loadcnt 0x8
	v_mul_f32_e32 v29, v61, v30
	s_wait_loadcnt_dscnt 0x605
	s_delay_alu instid0(VALU_DEP_2)
	v_dual_add_f32 v27, v27, v61 :: v_dual_sub_f32 v30, v33, v42
	ds_bpermute_b32 v33, v21, v25
	ds_bpermute_b32 v25, v22, v25
	v_dual_fmac_f32 v0, v29, v41 :: v_dual_mul_f32 v29, v32, v30
	s_wait_loadcnt_dscnt 0x406
	v_sub_f32_e32 v30, v63, v43
	s_wait_dscnt 0x5
	s_delay_alu instid0(VALU_DEP_2) | instskip(NEXT) | instid1(VALU_DEP_2)
	v_dual_add_f32 v27, v27, v32 :: v_dual_fmac_f32 v0, v29, v31
	v_mul_f32_e32 v29, v62, v30
	s_wait_loadcnt_dscnt 0x304
	v_sub_f32_e32 v30, v34, v37
	s_wait_dscnt 0x2
	s_delay_alu instid0(VALU_DEP_2) | instskip(SKIP_3) | instid1(VALU_DEP_1)
	v_fmac_f32_e32 v0, v29, v38
	s_wait_loadcnt 0x1
	v_sub_f32_e32 v26, v36, v26
	s_wait_loadcnt 0x0
	v_mul_f32_e32 v26, v28, v26
	v_mul_f32_e32 v29, v35, v30
	s_wait_dscnt 0x1
	s_delay_alu instid0(VALU_DEP_1) | instskip(SKIP_1) | instid1(VALU_DEP_1)
	v_dual_add_f32 v27, v27, v62 :: v_dual_fmac_f32 v0, v29, v33
	s_wait_dscnt 0x0
	v_dual_add_f32 v27, v27, v35 :: v_dual_fmac_f32 v0, v26, v25
	s_delay_alu instid0(VALU_DEP_1)
	v_add_f32_e32 v27, v27, v28
	s_wait_alu 0xfffe
	s_cbranch_vccz .LBB58_10
.LBB58_7:                               ; =>This Inner Loop Header: Depth=1
	v_dual_mov_b32 v25, 0 :: v_dual_mov_b32 v26, 0
	s_and_saveexec_b32 s1, s0
	s_cbranch_execz .LBB58_6
; %bb.8:                                ;   in Loop: Header=BB58_7 Depth=1
	v_dual_mov_b32 v26, 0 :: v_dual_mov_b32 v25, 0
	s_mov_b32 s26, exec_lo
	v_cmpx_gt_i64_e64 s[16:17], v[2:3]
	s_cbranch_execz .LBB58_5
; %bb.9:                                ;   in Loop: Header=BB58_7 Depth=1
	v_add_co_u32 v25, vcc_lo, s8, v4
	s_wait_alu 0xfffd
	v_add_co_ci_u32_e64 v26, null, s9, v5, vcc_lo
	v_add_co_u32 v28, vcc_lo, s10, v4
	s_wait_alu 0xfffd
	v_add_co_ci_u32_e64 v29, null, s11, v5, vcc_lo
	global_load_b32 v26, v[25:26], off
	global_load_b32 v25, v[28:29], off
	s_branch .LBB58_5
.LBB58_10:
	v_mov_b32_e32 v1, v7
.LBB58_11:
	s_delay_alu instid0(VALU_DEP_1) | instskip(SKIP_1) | instid1(VALU_DEP_1)
	v_mad_u32_u24 v2, 0x41, v1, v6
	s_mov_b32 s0, exec_lo
	v_lshl_add_u32 v4, v2, 2, 0
	v_sub_nc_u32_e32 v3, v2, v1
	ds_store_b32 v4, v0
	ds_store_b32 v4, v27 offset:4160
	s_wait_dscnt 0x0
	s_barrier_signal -1
	s_barrier_wait -1
	global_inv scope:SCOPE_SE
	v_cmpx_gt_u32_e32 0x800, v3
	s_cbranch_execz .LBB58_27
; %bb.12:
	v_and_b32_e32 v0, 31, v6
	v_lshrrev_b32_e32 v2, 5, v3
                                        ; implicit-def: $vgpr1
	s_delay_alu instid0(VALU_DEP_2)
	v_cmp_gt_u32_e64 s0, 16, v0
	v_mul_u32_u24_e32 v4, 0x41, v0
                                        ; implicit-def: $vgpr0
	s_wait_alu 0xfffe
	s_and_saveexec_b32 s1, s0
	s_cbranch_execz .LBB58_14
; %bb.13:
	s_delay_alu instid0(VALU_DEP_1) | instskip(NEXT) | instid1(VALU_DEP_1)
	v_add_nc_u32_e32 v0, v2, v4
	v_lshl_add_u32 v0, v0, 2, 0
	ds_load_b32 v1, v0
	ds_load_b32 v0, v0 offset:4160
.LBB58_14:
	s_wait_alu 0xfffe
	s_or_b32 exec_lo, exec_lo, s1
	v_mbcnt_lo_u32_b32 v9, -1, 0
	v_cmp_eq_u32_e64 s1, 0, v6
	s_mov_b32 s2, ttmp9
	s_mov_b32 s3, 0
	s_wait_alu 0xfffe
	s_lshl_b64 s[2:3], s[2:3], 6
	v_xor_b32_e32 v5, 8, v9
	v_xor_b32_e32 v7, 4, v9
	;; [unrolled: 1-line block ×3, first 2 shown]
	s_wait_kmcnt 0x0
	s_cmp_lg_u64 s[12:13], 0
	v_cmp_gt_i32_e32 vcc_lo, 32, v5
	s_cselect_b32 s5, -1, 0
	s_cmp_lg_u64 s[14:15], 0
	s_cselect_b32 s4, -1, 0
	s_wait_alu 0xfffd
	v_cndmask_b32_e32 v5, v9, v5, vcc_lo
	v_cmp_gt_i32_e32 vcc_lo, 32, v7
	s_delay_alu instid0(VALU_DEP_2)
	v_lshlrev_b32_e32 v5, 2, v5
	s_wait_alu 0xfffd
	v_cndmask_b32_e32 v7, v9, v7, vcc_lo
	s_wait_dscnt 0x1
	ds_bpermute_b32 v8, v5, v1
	s_wait_dscnt 0x0
	v_add_f32_e32 v1, v1, v8
	v_xor_b32_e32 v8, 2, v9
	s_delay_alu instid0(VALU_DEP_1)
	v_cmp_gt_i32_e32 vcc_lo, 32, v8
	s_wait_alu 0xfffd
	v_cndmask_b32_e32 v8, v9, v8, vcc_lo
	ds_bpermute_b32 v10, v5, v0
	v_cmp_gt_i32_e32 vcc_lo, 32, v12
	v_lshlrev_b32_e32 v8, 2, v8
	v_lshlrev_b32_e32 v7, 2, v7
	s_wait_alu 0xfffd
	v_cndmask_b32_e32 v9, v9, v12, vcc_lo
	s_wait_dscnt 0x0
	s_delay_alu instid0(VALU_DEP_1)
	v_dual_add_f32 v0, v0, v10 :: v_dual_lshlrev_b32 v9, 2, v9
	ds_bpermute_b32 v10, v7, v1
	s_wait_dscnt 0x0
	v_add_f32_e32 v1, v1, v10
	ds_bpermute_b32 v10, v8, v1
	s_wait_dscnt 0x0
	v_add_f32_e32 v1, v1, v10
	;; [unrolled: 3-line block ×6, first 2 shown]
	s_and_saveexec_b32 s6, s1
	s_cbranch_execz .LBB58_19
; %bb.15:
	s_wait_alu 0xfffe
	v_mov_b32_e32 v1, s3
	v_or_b32_e32 v0, s2, v2
	s_and_not1_b32 vcc_lo, exec_lo, s5
	s_delay_alu instid0(VALU_DEP_1)
	v_lshlrev_b64_e32 v[0:1], 2, v[0:1]
	s_wait_alu 0xfffe
	s_cbranch_vccnz .LBB58_17
; %bb.16:
	s_delay_alu instid0(VALU_DEP_1) | instskip(SKIP_1) | instid1(VALU_DEP_2)
	v_add_co_u32 v11, vcc_lo, s12, v0
	s_wait_alu 0xfffd
	v_add_co_ci_u32_e64 v12, null, s13, v1, vcc_lo
	global_store_b32 v[11:12], v6, off
.LBB58_17:
	s_and_not1_b32 vcc_lo, exec_lo, s4
	s_wait_alu 0xfffe
	s_cbranch_vccnz .LBB58_19
; %bb.18:
	v_add_co_u32 v0, vcc_lo, s14, v0
	s_wait_alu 0xfffd
	v_add_co_ci_u32_e64 v1, null, s15, v1, vcc_lo
	global_store_b32 v[0:1], v10, off
.LBB58_19:
	s_wait_alu 0xfffe
	s_or_b32 exec_lo, exec_lo, s6
	v_cmp_gt_u32_e32 vcc_lo, 0x400, v3
	s_and_b32 exec_lo, exec_lo, vcc_lo
	s_cbranch_execz .LBB58_27
; %bb.20:
	s_and_saveexec_b32 s6, s0
	s_cbranch_execz .LBB58_22
; %bb.21:
	v_add_nc_u32_e32 v0, v2, v4
	s_delay_alu instid0(VALU_DEP_1)
	v_lshl_add_u32 v0, v0, 2, 0
	ds_load_b32 v6, v0 offset:128
	ds_load_b32 v10, v0 offset:4288
.LBB58_22:
	s_wait_alu 0xfffe
	s_or_b32 exec_lo, exec_lo, s6
	s_wait_dscnt 0x1
	ds_bpermute_b32 v0, v5, v6
	s_wait_dscnt 0x1
	ds_bpermute_b32 v1, v5, v10
	s_wait_dscnt 0x1
	v_add_f32_e32 v0, v6, v0
	ds_bpermute_b32 v3, v7, v0
	s_wait_dscnt 0x0
	v_dual_add_f32 v1, v10, v1 :: v_dual_add_f32 v0, v0, v3
	ds_bpermute_b32 v4, v7, v1
	ds_bpermute_b32 v3, v8, v0
	s_wait_dscnt 0x1
	v_add_f32_e32 v1, v1, v4
	ds_bpermute_b32 v4, v8, v1
	s_wait_dscnt 0x0
	v_dual_add_f32 v3, v0, v3 :: v_dual_add_f32 v0, v1, v4
	ds_bpermute_b32 v4, v9, v3
	ds_bpermute_b32 v1, v9, v0
	s_and_b32 exec_lo, exec_lo, s1
	s_cbranch_execz .LBB58_27
; %bb.23:
	s_and_not1_b32 vcc_lo, exec_lo, s5
	s_wait_alu 0xfffe
	s_cbranch_vccnz .LBB58_25
; %bb.24:
	v_add_co_u32 v5, s0, s2, v2
	s_wait_alu 0xf1ff
	v_add_co_ci_u32_e64 v6, null, s3, 0, s0
	s_wait_dscnt 0x1
	v_add_f32_e32 v7, v3, v4
	s_delay_alu instid0(VALU_DEP_2) | instskip(NEXT) | instid1(VALU_DEP_1)
	v_lshlrev_b64_e32 v[5:6], 2, v[5:6]
	v_add_co_u32 v3, vcc_lo, s12, v5
	s_wait_alu 0xfffd
	s_delay_alu instid0(VALU_DEP_2)
	v_add_co_ci_u32_e64 v4, null, s13, v6, vcc_lo
	global_store_b32 v[3:4], v7, off offset:128
.LBB58_25:
	s_and_not1_b32 vcc_lo, exec_lo, s4
	s_wait_alu 0xfffe
	s_cbranch_vccnz .LBB58_27
; %bb.26:
	v_add_co_u32 v2, s0, s2, v2
	s_wait_alu 0xf1ff
	v_add_co_ci_u32_e64 v3, null, s3, 0, s0
	s_wait_dscnt 0x0
	v_add_f32_e32 v4, v0, v1
	s_delay_alu instid0(VALU_DEP_2) | instskip(NEXT) | instid1(VALU_DEP_1)
	v_lshlrev_b64_e32 v[2:3], 2, v[2:3]
	v_add_co_u32 v0, vcc_lo, s14, v2
	s_wait_alu 0xfffd
	s_delay_alu instid0(VALU_DEP_2)
	v_add_co_ci_u32_e64 v1, null, s15, v3, vcc_lo
	global_store_b32 v[0:1], v4, off offset:128
.LBB58_27:
	s_endpgm
	.section	.rodata,"a",@progbits
	.p2align	6, 0x0
	.amdhsa_kernel _ZN2at6native12_GLOBAL__N_135GammaBetaBackwardCUDAKernelTemplateIffLj64ELj16ELj256ELb0ELb1ELb0EEEvllPKT_S5_PKT0_S8_PS3_S9_
		.amdhsa_group_segment_fixed_size 0
		.amdhsa_private_segment_fixed_size 0
		.amdhsa_kernarg_size 320
		.amdhsa_user_sgpr_count 2
		.amdhsa_user_sgpr_dispatch_ptr 0
		.amdhsa_user_sgpr_queue_ptr 0
		.amdhsa_user_sgpr_kernarg_segment_ptr 1
		.amdhsa_user_sgpr_dispatch_id 0
		.amdhsa_user_sgpr_private_segment_size 0
		.amdhsa_wavefront_size32 1
		.amdhsa_uses_dynamic_stack 0
		.amdhsa_enable_private_segment 0
		.amdhsa_system_sgpr_workgroup_id_x 1
		.amdhsa_system_sgpr_workgroup_id_y 1
		.amdhsa_system_sgpr_workgroup_id_z 0
		.amdhsa_system_sgpr_workgroup_info 0
		.amdhsa_system_vgpr_workitem_id 1
		.amdhsa_next_free_vgpr 68
		.amdhsa_next_free_sgpr 27
		.amdhsa_reserve_vcc 1
		.amdhsa_float_round_mode_32 0
		.amdhsa_float_round_mode_16_64 0
		.amdhsa_float_denorm_mode_32 3
		.amdhsa_float_denorm_mode_16_64 3
		.amdhsa_fp16_overflow 0
		.amdhsa_workgroup_processor_mode 1
		.amdhsa_memory_ordered 1
		.amdhsa_forward_progress 1
		.amdhsa_inst_pref_size 26
		.amdhsa_round_robin_scheduling 0
		.amdhsa_exception_fp_ieee_invalid_op 0
		.amdhsa_exception_fp_denorm_src 0
		.amdhsa_exception_fp_ieee_div_zero 0
		.amdhsa_exception_fp_ieee_overflow 0
		.amdhsa_exception_fp_ieee_underflow 0
		.amdhsa_exception_fp_ieee_inexact 0
		.amdhsa_exception_int_div_zero 0
	.end_amdhsa_kernel
	.section	.text._ZN2at6native12_GLOBAL__N_135GammaBetaBackwardCUDAKernelTemplateIffLj64ELj16ELj256ELb0ELb1ELb0EEEvllPKT_S5_PKT0_S8_PS3_S9_,"axG",@progbits,_ZN2at6native12_GLOBAL__N_135GammaBetaBackwardCUDAKernelTemplateIffLj64ELj16ELj256ELb0ELb1ELb0EEEvllPKT_S5_PKT0_S8_PS3_S9_,comdat
.Lfunc_end58:
	.size	_ZN2at6native12_GLOBAL__N_135GammaBetaBackwardCUDAKernelTemplateIffLj64ELj16ELj256ELb0ELb1ELb0EEEvllPKT_S5_PKT0_S8_PS3_S9_, .Lfunc_end58-_ZN2at6native12_GLOBAL__N_135GammaBetaBackwardCUDAKernelTemplateIffLj64ELj16ELj256ELb0ELb1ELb0EEEvllPKT_S5_PKT0_S8_PS3_S9_
                                        ; -- End function
	.set _ZN2at6native12_GLOBAL__N_135GammaBetaBackwardCUDAKernelTemplateIffLj64ELj16ELj256ELb0ELb1ELb0EEEvllPKT_S5_PKT0_S8_PS3_S9_.num_vgpr, 68
	.set _ZN2at6native12_GLOBAL__N_135GammaBetaBackwardCUDAKernelTemplateIffLj64ELj16ELj256ELb0ELb1ELb0EEEvllPKT_S5_PKT0_S8_PS3_S9_.num_agpr, 0
	.set _ZN2at6native12_GLOBAL__N_135GammaBetaBackwardCUDAKernelTemplateIffLj64ELj16ELj256ELb0ELb1ELb0EEEvllPKT_S5_PKT0_S8_PS3_S9_.numbered_sgpr, 27
	.set _ZN2at6native12_GLOBAL__N_135GammaBetaBackwardCUDAKernelTemplateIffLj64ELj16ELj256ELb0ELb1ELb0EEEvllPKT_S5_PKT0_S8_PS3_S9_.num_named_barrier, 0
	.set _ZN2at6native12_GLOBAL__N_135GammaBetaBackwardCUDAKernelTemplateIffLj64ELj16ELj256ELb0ELb1ELb0EEEvllPKT_S5_PKT0_S8_PS3_S9_.private_seg_size, 0
	.set _ZN2at6native12_GLOBAL__N_135GammaBetaBackwardCUDAKernelTemplateIffLj64ELj16ELj256ELb0ELb1ELb0EEEvllPKT_S5_PKT0_S8_PS3_S9_.uses_vcc, 1
	.set _ZN2at6native12_GLOBAL__N_135GammaBetaBackwardCUDAKernelTemplateIffLj64ELj16ELj256ELb0ELb1ELb0EEEvllPKT_S5_PKT0_S8_PS3_S9_.uses_flat_scratch, 0
	.set _ZN2at6native12_GLOBAL__N_135GammaBetaBackwardCUDAKernelTemplateIffLj64ELj16ELj256ELb0ELb1ELb0EEEvllPKT_S5_PKT0_S8_PS3_S9_.has_dyn_sized_stack, 0
	.set _ZN2at6native12_GLOBAL__N_135GammaBetaBackwardCUDAKernelTemplateIffLj64ELj16ELj256ELb0ELb1ELb0EEEvllPKT_S5_PKT0_S8_PS3_S9_.has_recursion, 0
	.set _ZN2at6native12_GLOBAL__N_135GammaBetaBackwardCUDAKernelTemplateIffLj64ELj16ELj256ELb0ELb1ELb0EEEvllPKT_S5_PKT0_S8_PS3_S9_.has_indirect_call, 0
	.section	.AMDGPU.csdata,"",@progbits
; Kernel info:
; codeLenInByte = 3216
; TotalNumSgprs: 29
; NumVgprs: 68
; ScratchSize: 0
; MemoryBound: 0
; FloatMode: 240
; IeeeMode: 1
; LDSByteSize: 0 bytes/workgroup (compile time only)
; SGPRBlocks: 0
; VGPRBlocks: 8
; NumSGPRsForWavesPerEU: 29
; NumVGPRsForWavesPerEU: 68
; Occupancy: 16
; WaveLimiterHint : 0
; COMPUTE_PGM_RSRC2:SCRATCH_EN: 0
; COMPUTE_PGM_RSRC2:USER_SGPR: 2
; COMPUTE_PGM_RSRC2:TRAP_HANDLER: 0
; COMPUTE_PGM_RSRC2:TGID_X_EN: 1
; COMPUTE_PGM_RSRC2:TGID_Y_EN: 1
; COMPUTE_PGM_RSRC2:TGID_Z_EN: 0
; COMPUTE_PGM_RSRC2:TIDIG_COMP_CNT: 1
	.section	.text._ZN2at6native12_GLOBAL__N_135GammaBetaBackwardCUDAKernelTemplateIffLj64ELj16ELj256ELb0ELb0ELb0EEEvllPKT_S5_PKT0_S8_PS3_S9_,"axG",@progbits,_ZN2at6native12_GLOBAL__N_135GammaBetaBackwardCUDAKernelTemplateIffLj64ELj16ELj256ELb0ELb0ELb0EEEvllPKT_S5_PKT0_S8_PS3_S9_,comdat
	.globl	_ZN2at6native12_GLOBAL__N_135GammaBetaBackwardCUDAKernelTemplateIffLj64ELj16ELj256ELb0ELb0ELb0EEEvllPKT_S5_PKT0_S8_PS3_S9_ ; -- Begin function _ZN2at6native12_GLOBAL__N_135GammaBetaBackwardCUDAKernelTemplateIffLj64ELj16ELj256ELb0ELb0ELb0EEEvllPKT_S5_PKT0_S8_PS3_S9_
	.p2align	8
	.type	_ZN2at6native12_GLOBAL__N_135GammaBetaBackwardCUDAKernelTemplateIffLj64ELj16ELj256ELb0ELb0ELb0EEEvllPKT_S5_PKT0_S8_PS3_S9_,@function
_ZN2at6native12_GLOBAL__N_135GammaBetaBackwardCUDAKernelTemplateIffLj64ELj16ELj256ELb0ELb0ELb0EEEvllPKT_S5_PKT0_S8_PS3_S9_: ; @_ZN2at6native12_GLOBAL__N_135GammaBetaBackwardCUDAKernelTemplateIffLj64ELj16ELj256ELb0ELb0ELb0EEEvllPKT_S5_PKT0_S8_PS3_S9_
; %bb.0:
	s_clause 0x1
	s_load_b256 s[4:11], s[0:1], 0x0
	s_load_b128 s[12:15], s[0:1], 0x20
	s_lshl_b32 s30, ttmp9, 6
	s_mov_b32 s17, 0
	s_or_b32 s16, s30, 63
	s_wait_kmcnt 0x0
	v_cmp_le_i64_e64 s2, s[6:7], s[16:17]
	s_lshl_b32 s16, ttmp7, 8
	s_wait_alu 0xfffe
	v_cmp_gt_i64_e64 s31, s[4:5], s[16:17]
	s_and_b32 vcc_lo, exec_lo, s2
	v_cndmask_b32_e64 v1, 0, 1, s31
	s_delay_alu instid0(VALU_DEP_1)
	v_cmp_ne_u32_e64 s2, 1, v1
	s_cbranch_vccz .LBB59_81
; %bb.1:
	v_dual_mov_b32 v96, 0 :: v_dual_mov_b32 v99, 0
	s_and_b32 vcc_lo, exec_lo, s2
	s_cbranch_vccnz .LBB59_82
; %bb.2:
	v_bfe_u32 v36, v0, 10, 10
	v_dual_mov_b32 v1, 0 :: v_dual_and_b32 v38, 0x3ff, v0
	s_load_b32 s3, s[0:1], 0x44
	s_mov_b32 s19, 0
	s_delay_alu instid0(VALU_DEP_2) | instskip(NEXT) | instid1(VALU_DEP_2)
	v_dual_mov_b32 v96, 0 :: v_dual_lshlrev_b32 v37, 4, v36
	v_dual_mov_b32 v5, v1 :: v_dual_add_nc_u32 v4, s30, v38
	s_mov_b32 s23, s19
	s_delay_alu instid0(VALU_DEP_2) | instskip(NEXT) | instid1(VALU_DEP_1)
	v_add_co_u32 v10, s2, v37, s16
	v_add_co_ci_u32_e64 v11, null, 0, 0, s2
	s_delay_alu instid0(VALU_DEP_3) | instskip(NEXT) | instid1(VALU_DEP_3)
	v_cmp_gt_i64_e64 s2, s[6:7], v[4:5]
	v_add_co_u32 v6, vcc_lo, v10, 15
	v_mul_lo_u32 v8, s7, v10
	s_delay_alu instid0(VALU_DEP_4) | instskip(SKIP_3) | instid1(VALU_DEP_3)
	v_mul_lo_u32 v9, s6, v11
	v_add_co_ci_u32_e64 v7, null, 0, v11, vcc_lo
	v_mad_co_u64_u32 v[2:3], null, s6, v10, 0
	v_mul_lo_u32 v12, s7, v6
	v_mul_lo_u32 v13, s6, v7
	v_mad_co_u64_u32 v[6:7], null, s6, v6, 0
	v_lshlrev_b64_e32 v[34:35], 2, v[4:5]
	s_wait_kmcnt 0x0
	s_lshl_b32 s22, s3, 8
	v_add3_u32 v3, v3, v9, v8
	v_add_co_u32 v8, vcc_lo, v10, 14
	s_wait_alu 0xfffd
	v_add_co_ci_u32_e64 v9, null, 0, v11, vcc_lo
	v_add3_u32 v7, v7, v13, v12
	v_lshlrev_b64_e32 v[4:5], 2, v[2:3]
	v_mul_lo_u32 v12, s7, v8
	s_delay_alu instid0(VALU_DEP_4)
	v_mul_lo_u32 v13, s6, v9
	v_mad_co_u64_u32 v[8:9], null, s6, v8, 0
	v_lshlrev_b64_e32 v[6:7], 2, v[6:7]
	v_add_co_u32 v39, vcc_lo, s8, v4
	s_wait_alu 0xfffd
	v_add_co_ci_u32_e64 v40, null, s9, v5, vcc_lo
	v_add_co_u32 v41, vcc_lo, s10, v4
	v_add3_u32 v9, v9, v13, v12
	s_wait_alu 0xfffd
	v_add_co_ci_u32_e64 v42, null, s11, v5, vcc_lo
	v_add_co_u32 v43, vcc_lo, s8, v6
	s_wait_alu 0xfffd
	v_add_co_ci_u32_e64 v44, null, s9, v7, vcc_lo
	v_add_co_u32 v12, vcc_lo, v10, 13
	v_add_co_u32 v45, s3, s10, v6
	v_lshlrev_b64_e32 v[4:5], 2, v[8:9]
	s_wait_alu 0xfffd
	v_add_co_ci_u32_e64 v6, null, 0, v11, vcc_lo
	v_add_co_u32 v8, vcc_lo, v10, 12
	s_wait_alu 0xfffd
	v_add_co_ci_u32_e64 v9, null, 0, v11, vcc_lo
	s_wait_alu 0xf1ff
	v_add_co_ci_u32_e64 v46, null, s11, v7, s3
	v_mul_lo_u32 v13, s7, v12
	v_mul_lo_u32 v14, s6, v6
	v_mad_co_u64_u32 v[6:7], null, s6, v12, 0
	v_mul_lo_u32 v12, s7, v8
	v_mul_lo_u32 v15, s6, v9
	v_mad_co_u64_u32 v[8:9], null, s6, v8, 0
	v_add_co_u32 v47, vcc_lo, s8, v4
	s_wait_alu 0xfffd
	v_add_co_ci_u32_e64 v48, null, s9, v5, vcc_lo
	v_add_co_u32 v49, vcc_lo, s10, v4
	s_wait_alu 0xfffd
	v_add_co_ci_u32_e64 v50, null, s11, v5, vcc_lo
	v_add3_u32 v9, v9, v15, v12
	v_add_co_u32 v12, vcc_lo, v10, 11
	v_add3_u32 v7, v7, v14, v13
	s_wait_alu 0xfffd
	v_add_co_ci_u32_e64 v13, null, 0, v11, vcc_lo
	s_delay_alu instid0(VALU_DEP_3)
	v_mul_lo_u32 v14, s7, v12
	v_mov_b32_e32 v105, 0
	v_lshlrev_b64_e32 v[4:5], 2, v[6:7]
	v_lshlrev_b64_e32 v[6:7], 2, v[8:9]
	v_mul_lo_u32 v13, s6, v13
	v_mad_co_u64_u32 v[8:9], null, s6, v12, 0
	s_mul_u64 s[24:25], s[6:7], s[22:23]
	v_add_co_u32 v51, vcc_lo, s8, v4
	s_wait_alu 0xfffd
	v_add_co_ci_u32_e64 v52, null, s9, v5, vcc_lo
	v_add_co_u32 v53, vcc_lo, s10, v4
	v_add3_u32 v9, v9, v13, v14
	s_wait_alu 0xfffd
	v_add_co_ci_u32_e64 v54, null, s11, v5, vcc_lo
	v_add_co_u32 v55, vcc_lo, s8, v6
	s_wait_alu 0xfffd
	v_add_co_ci_u32_e64 v56, null, s9, v7, vcc_lo
	v_add_co_u32 v12, vcc_lo, v10, 10
	v_add_co_u32 v57, s3, s10, v6
	v_lshlrev_b64_e32 v[4:5], 2, v[8:9]
	s_wait_alu 0xfffd
	v_add_co_ci_u32_e64 v6, null, 0, v11, vcc_lo
	v_add_co_u32 v8, vcc_lo, v10, 9
	s_wait_alu 0xfffd
	v_add_co_ci_u32_e64 v9, null, 0, v11, vcc_lo
	s_wait_alu 0xf1ff
	v_add_co_ci_u32_e64 v58, null, s11, v7, s3
	v_mul_lo_u32 v13, s7, v12
	v_mul_lo_u32 v14, s6, v6
	v_mad_co_u64_u32 v[6:7], null, s6, v12, 0
	v_mul_lo_u32 v12, s7, v8
	v_mul_lo_u32 v15, s6, v9
	v_mad_co_u64_u32 v[8:9], null, s6, v8, 0
	v_add_co_u32 v59, vcc_lo, s8, v4
	s_wait_alu 0xfffd
	v_add_co_ci_u32_e64 v60, null, s9, v5, vcc_lo
	v_add_co_u32 v61, vcc_lo, s10, v4
	s_wait_alu 0xfffd
	v_add_co_ci_u32_e64 v62, null, s11, v5, vcc_lo
	v_add3_u32 v9, v9, v15, v12
	v_add_co_u32 v12, vcc_lo, v10, 8
	v_add3_u32 v7, v7, v14, v13
	s_wait_alu 0xfffd
	v_add_co_ci_u32_e64 v13, null, 0, v11, vcc_lo
	s_delay_alu instid0(VALU_DEP_3)
	v_mul_lo_u32 v14, s7, v12
	s_add_nc_u64 s[20:21], s[0:1], 64
	v_lshlrev_b64_e32 v[4:5], 2, v[6:7]
	v_lshlrev_b64_e32 v[6:7], 2, v[8:9]
	v_mul_lo_u32 v13, s6, v13
	v_mad_co_u64_u32 v[8:9], null, s6, v12, 0
	s_lshl_b64 s[24:25], s[24:25], 2
	v_add_co_u32 v63, vcc_lo, s8, v4
	s_wait_alu 0xfffd
	v_add_co_ci_u32_e64 v64, null, s9, v5, vcc_lo
	v_add_co_u32 v65, vcc_lo, s10, v4
	v_add3_u32 v9, v9, v13, v14
	s_wait_alu 0xfffd
	v_add_co_ci_u32_e64 v66, null, s11, v5, vcc_lo
	v_add_co_u32 v67, vcc_lo, s8, v6
	s_wait_alu 0xfffd
	v_add_co_ci_u32_e64 v68, null, s9, v7, vcc_lo
	v_add_co_u32 v12, vcc_lo, v10, 7
	v_add_co_u32 v69, s3, s10, v6
	v_lshlrev_b64_e32 v[4:5], 2, v[8:9]
	s_wait_alu 0xfffd
	v_add_co_ci_u32_e64 v6, null, 0, v11, vcc_lo
	v_add_co_u32 v8, vcc_lo, v10, 6
	s_wait_alu 0xfffd
	v_add_co_ci_u32_e64 v9, null, 0, v11, vcc_lo
	s_wait_alu 0xf1ff
	v_add_co_ci_u32_e64 v70, null, s11, v7, s3
	v_mul_lo_u32 v13, s7, v12
	v_mul_lo_u32 v14, s6, v6
	v_mad_co_u64_u32 v[6:7], null, s6, v12, 0
	v_mul_lo_u32 v12, s7, v8
	v_mul_lo_u32 v15, s6, v9
	v_mad_co_u64_u32 v[8:9], null, s6, v8, 0
	v_add_co_u32 v71, vcc_lo, s8, v4
	s_wait_alu 0xfffd
	v_add_co_ci_u32_e64 v72, null, s9, v5, vcc_lo
	v_add_co_u32 v73, vcc_lo, s10, v4
	v_add3_u32 v7, v7, v14, v13
	s_wait_alu 0xfffd
	v_add_co_ci_u32_e64 v74, null, s11, v5, vcc_lo
	v_add3_u32 v9, v9, v15, v12
	v_add_co_u32 v12, vcc_lo, v10, 5
	s_wait_alu 0xfffd
	v_add_co_ci_u32_e64 v13, null, 0, v11, vcc_lo
	v_lshlrev_b64_e32 v[4:5], 2, v[6:7]
	v_lshlrev_b64_e32 v[6:7], 2, v[8:9]
	v_mul_lo_u32 v14, s7, v12
	s_delay_alu instid0(VALU_DEP_4)
	v_mul_lo_u32 v13, s6, v13
	v_mad_co_u64_u32 v[8:9], null, s6, v12, 0
	v_add_co_u32 v75, vcc_lo, s8, v4
	s_wait_alu 0xfffd
	v_add_co_ci_u32_e64 v76, null, s9, v5, vcc_lo
	v_add_co_u32 v77, vcc_lo, s10, v4
	s_wait_alu 0xfffd
	v_add_co_ci_u32_e64 v78, null, s11, v5, vcc_lo
	v_add_co_u32 v79, vcc_lo, s8, v6
	v_add3_u32 v9, v9, v13, v14
	s_wait_alu 0xfffd
	v_add_co_ci_u32_e64 v80, null, s9, v7, vcc_lo
	v_add_co_u32 v12, vcc_lo, v10, 4
	v_add_co_u32 v81, s3, s10, v6
	s_wait_alu 0xfffd
	v_add_co_ci_u32_e64 v6, null, 0, v11, vcc_lo
	v_lshlrev_b64_e32 v[4:5], 2, v[8:9]
	v_add_co_u32 v8, vcc_lo, v10, 3
	s_wait_alu 0xfffd
	v_add_co_ci_u32_e64 v9, null, 0, v11, vcc_lo
	s_wait_alu 0xf1ff
	v_add_co_ci_u32_e64 v82, null, s11, v7, s3
	v_mul_lo_u32 v13, s7, v12
	v_mul_lo_u32 v14, s6, v6
	v_mad_co_u64_u32 v[6:7], null, s6, v12, 0
	v_mul_lo_u32 v12, s7, v8
	v_mul_lo_u32 v15, s6, v9
	v_mad_co_u64_u32 v[8:9], null, s6, v8, 0
	v_add_co_u32 v83, vcc_lo, s8, v4
	s_wait_alu 0xfffd
	v_add_co_ci_u32_e64 v84, null, s9, v5, vcc_lo
	v_add3_u32 v7, v7, v14, v13
	v_add_co_u32 v85, vcc_lo, s10, v4
	s_wait_alu 0xfffd
	v_add_co_ci_u32_e64 v86, null, s11, v5, vcc_lo
	v_add_co_u32 v10, vcc_lo, v10, 2
	v_add3_u32 v9, v9, v15, v12
	s_wait_alu 0xfffd
	v_add_co_ci_u32_e64 v11, null, 0, v11, vcc_lo
	v_lshlrev_b64_e32 v[4:5], 2, v[6:7]
	v_mul_lo_u32 v12, s7, v10
	v_lshlrev_b64_e32 v[6:7], 2, v[8:9]
	s_delay_alu instid0(VALU_DEP_4)
	v_mul_lo_u32 v11, s6, v11
	v_mad_co_u64_u32 v[8:9], null, s6, v10, 0
	v_add_co_u32 v87, vcc_lo, s8, v4
	s_wait_alu 0xfffd
	v_add_co_ci_u32_e64 v88, null, s9, v5, vcc_lo
	v_add_co_u32 v89, vcc_lo, s10, v4
	s_wait_alu 0xfffd
	v_add_co_ci_u32_e64 v90, null, s11, v5, vcc_lo
	;; [unrolled: 3-line block ×3, first 2 shown]
	v_add3_u32 v9, v9, v11, v12
	v_add_co_u32 v93, vcc_lo, s10, v6
	s_wait_alu 0xfffd
	v_add_co_ci_u32_e64 v94, null, s11, v7, vcc_lo
	v_add_co_u32 v2, vcc_lo, v2, s6
	s_wait_alu 0xfffd
	v_add_co_ci_u32_e64 v3, null, s7, v3, vcc_lo
	v_lshlrev_b64_e32 v[4:5], 2, v[8:9]
	s_add_nc_u64 s[26:27], s[16:17], 0xff
	s_mov_b64 s[28:29], s[16:17]
	s_delay_alu instid0(VALU_DEP_2) | instskip(NEXT) | instid1(VALU_DEP_2)
	v_lshlrev_b64_e32 v[2:3], 2, v[2:3]
	v_add_co_u32 v95, vcc_lo, s8, v4
	s_wait_alu 0xfffd
	v_add_co_ci_u32_e64 v97, null, s9, v5, vcc_lo
	v_add_co_u32 v98, vcc_lo, s10, v4
	s_wait_alu 0xfffd
	v_add_co_ci_u32_e64 v100, null, s11, v5, vcc_lo
	;; [unrolled: 3-line block ×4, first 2 shown]
.LBB59_3:                               ; =>This Inner Loop Header: Depth=1
	v_cmp_ge_i64_e64 s3, s[26:27], s[4:5]
	v_add_co_u32 v106, s18, v37, s26
	s_wait_alu 0xf1ff
	v_add_co_ci_u32_e64 v107, null, 0, s27, s18
                                        ; implicit-def: $vgpr2_vgpr3_vgpr4_vgpr5_vgpr6_vgpr7_vgpr8_vgpr9_vgpr10_vgpr11_vgpr12_vgpr13_vgpr14_vgpr15_vgpr16_vgpr17
                                        ; implicit-def: $vgpr109
                                        ; implicit-def: $vgpr18_vgpr19_vgpr20_vgpr21_vgpr22_vgpr23_vgpr24_vgpr25_vgpr26_vgpr27_vgpr28_vgpr29_vgpr30_vgpr31_vgpr32_vgpr33
                                        ; implicit-def: $vgpr2
	s_and_b32 vcc_lo, exec_lo, s3
	s_mov_b32 s3, -1
                                        ; implicit-def: $vgpr3
                                        ; implicit-def: $vgpr99
	s_wait_alu 0xfffe
	s_cbranch_vccz .LBB59_41
; %bb.4:                                ;   in Loop: Header=BB59_3 Depth=1
	s_load_b32 s3, s[20:21], 0xc
	v_dual_mov_b32 v108, 0 :: v_dual_mov_b32 v109, 0
	s_wait_kmcnt 0x0
	s_and_b32 s3, s3, 0xffff
	s_wait_alu 0xfffe
	v_mad_u32_u24 v2, v36, s3, v38
	s_mov_b32 s3, exec_lo
	s_delay_alu instid0(VALU_DEP_1) | instskip(NEXT) | instid1(VALU_DEP_1)
	v_and_b32_e32 v2, 31, v2
	v_cmpx_gt_u32_e32 16, v2
	s_cbranch_execz .LBB59_8
; %bb.5:                                ;   in Loop: Header=BB59_3 Depth=1
	v_add_co_u32 v2, vcc_lo, v106, v2
	s_wait_alu 0xfffd
	v_add_co_ci_u32_e64 v3, null, 0, v107, vcc_lo
	v_dual_mov_b32 v108, 0 :: v_dual_mov_b32 v109, 0
	s_delay_alu instid0(VALU_DEP_3) | instskip(SKIP_1) | instid1(VALU_DEP_3)
	v_add_co_u32 v2, vcc_lo, 0xffffff01, v2
	s_wait_alu 0xfffd
	v_add_co_ci_u32_e64 v3, null, -1, v3, vcc_lo
	s_mov_b32 s18, exec_lo
	v_cmpx_gt_i64_e64 s[4:5], v[2:3]
	s_cbranch_execz .LBB59_7
; %bb.6:                                ;   in Loop: Header=BB59_3 Depth=1
	v_lshlrev_b64_e32 v[2:3], 2, v[2:3]
	s_delay_alu instid0(VALU_DEP_1) | instskip(SKIP_1) | instid1(VALU_DEP_2)
	v_add_co_u32 v4, vcc_lo, s12, v2
	s_wait_alu 0xfffd
	v_add_co_ci_u32_e64 v5, null, s13, v3, vcc_lo
	v_add_co_u32 v2, vcc_lo, s14, v2
	s_wait_alu 0xfffd
	v_add_co_ci_u32_e64 v3, null, s15, v3, vcc_lo
	global_load_b32 v108, v[4:5], off
	global_load_b32 v109, v[2:3], off
.LBB59_7:                               ;   in Loop: Header=BB59_3 Depth=1
	s_wait_alu 0xfffe
	s_or_b32 exec_lo, exec_lo, s18
.LBB59_8:                               ;   in Loop: Header=BB59_3 Depth=1
	s_wait_alu 0xfffe
	s_or_b32 exec_lo, exec_lo, s3
	v_add_co_u32 v17, vcc_lo, 0xffffff01, v106
	s_wait_alu 0xfffd
	v_add_co_ci_u32_e64 v18, null, -1, v107, vcc_lo
	v_mov_b32_e32 v16, v1
	v_dual_mov_b32 v2, v1 :: v_dual_mov_b32 v3, v1
	v_dual_mov_b32 v4, v1 :: v_dual_mov_b32 v5, v1
	;; [unrolled: 1-line block ×7, first 2 shown]
	v_cmp_gt_i64_e32 vcc_lo, s[4:5], v[17:18]
	s_delay_alu instid0(VALU_DEP_3) | instskip(NEXT) | instid1(VALU_DEP_3)
	v_dual_mov_b32 v33, v16 :: v_dual_mov_b32 v30, v13
	v_dual_mov_b32 v31, v14 :: v_dual_mov_b32 v32, v15
	;; [unrolled: 1-line block ×8, first 2 shown]
	v_mov_b32_e32 v17, v16
	v_mov_b32_e32 v16, v15
	;; [unrolled: 1-line block ×16, first 2 shown]
	s_and_b32 s18, s2, vcc_lo
	s_wait_alu 0xfffe
	s_and_saveexec_b32 s3, s18
	s_cbranch_execz .LBB59_10
; %bb.9:                                ;   in Loop: Header=BB59_3 Depth=1
	v_add_co_u32 v2, vcc_lo, v39, v34
	s_wait_alu 0xfffd
	v_add_co_ci_u32_e64 v3, null, v40, v35, vcc_lo
	v_add_co_u32 v4, vcc_lo, v41, v34
	s_wait_alu 0xfffd
	v_add_co_ci_u32_e64 v5, null, v42, v35, vcc_lo
	global_load_b32 v2, v[2:3], off
	global_load_b32 v18, v[4:5], off
	v_dual_mov_b32 v3, v1 :: v_dual_mov_b32 v4, v1
	v_dual_mov_b32 v5, v1 :: v_dual_mov_b32 v6, v1
	;; [unrolled: 1-line block ×14, first 2 shown]
	v_mov_b32_e32 v31, v1
	v_mov_b32_e32 v33, v1
.LBB59_10:                              ;   in Loop: Header=BB59_3 Depth=1
	s_wait_alu 0xfffe
	s_or_b32 exec_lo, exec_lo, s3
	v_add_co_u32 v110, vcc_lo, 0xffffff02, v106
	s_wait_alu 0xfffd
	v_add_co_ci_u32_e64 v111, null, -1, v107, vcc_lo
	s_delay_alu instid0(VALU_DEP_1)
	v_cmp_gt_i64_e32 vcc_lo, s[4:5], v[110:111]
	s_and_b32 s18, s2, vcc_lo
	s_wait_alu 0xfffe
	s_and_saveexec_b32 s3, s18
	s_cbranch_execz .LBB59_12
; %bb.11:                               ;   in Loop: Header=BB59_3 Depth=1
	v_add_co_u32 v110, vcc_lo, v101, v34
	s_wait_alu 0xfffd
	v_add_co_ci_u32_e64 v111, null, v102, v35, vcc_lo
	v_add_co_u32 v112, vcc_lo, v103, v34
	s_wait_alu 0xfffd
	v_add_co_ci_u32_e64 v113, null, v104, v35, vcc_lo
	global_load_b32 v3, v[110:111], off
	global_load_b32 v19, v[112:113], off
.LBB59_12:                              ;   in Loop: Header=BB59_3 Depth=1
	s_wait_alu 0xfffe
	s_or_b32 exec_lo, exec_lo, s3
	v_add_co_u32 v110, vcc_lo, 0xffffff03, v106
	s_wait_alu 0xfffd
	v_add_co_ci_u32_e64 v111, null, -1, v107, vcc_lo
	s_delay_alu instid0(VALU_DEP_1)
	v_cmp_gt_i64_e32 vcc_lo, s[4:5], v[110:111]
	s_and_b32 s18, s2, vcc_lo
	s_wait_alu 0xfffe
	s_and_saveexec_b32 s3, s18
	s_cbranch_execz .LBB59_14
; %bb.13:                               ;   in Loop: Header=BB59_3 Depth=1
	v_add_co_u32 v110, vcc_lo, v95, v34
	s_wait_alu 0xfffd
	v_add_co_ci_u32_e64 v111, null, v97, v35, vcc_lo
	v_add_co_u32 v112, vcc_lo, v98, v34
	s_wait_alu 0xfffd
	v_add_co_ci_u32_e64 v113, null, v100, v35, vcc_lo
	global_load_b32 v4, v[110:111], off
	global_load_b32 v20, v[112:113], off
.LBB59_14:                              ;   in Loop: Header=BB59_3 Depth=1
	;; [unrolled: 21-line block ×15, first 2 shown]
	s_wait_alu 0xfffe
	s_or_b32 exec_lo, exec_lo, s3
	s_wait_loadcnt 0x1
	ds_bpermute_b32 v99, v1, v108
	ds_bpermute_b32 v110, v1, v108 offset:4
	s_wait_loadcnt 0x0
	ds_bpermute_b32 v111, v1, v109
	ds_bpermute_b32 v113, v1, v108 offset:8
	ds_bpermute_b32 v117, v1, v108 offset:12
	;; [unrolled: 1-line block ×15, first 2 shown]
	s_mov_b32 s3, 0
	s_wait_dscnt 0x10
	v_dual_sub_f32 v18, v18, v99 :: v_dual_sub_f32 v19, v19, v110
	v_add_f32_e32 v112, v96, v2
	ds_bpermute_b32 v110, v1, v108 offset:36
	s_wait_dscnt 0xe
	v_dual_sub_f32 v21, v21, v117 :: v_dual_mul_f32 v2, v2, v18
	v_mul_f32_e32 v19, v3, v19
	s_wait_dscnt 0xb
	v_dual_add_f32 v3, v3, v112 :: v_dual_sub_f32 v22, v22, v119
	ds_bpermute_b32 v18, v1, v109 offset:36
	v_fma_f32 v99, v2, v111, v105
	v_sub_f32_e32 v20, v20, v113
	v_dual_add_f32 v3, v4, v3 :: v_dual_mul_f32 v22, v6, v22
	ds_bpermute_b32 v111, v1, v108 offset:40
	v_dual_fmac_f32 v99, v19, v114 :: v_dual_mul_f32 v20, v4, v20
	v_mul_f32_e32 v21, v5, v21
	ds_bpermute_b32 v4, v1, v108 offset:44
	ds_bpermute_b32 v2, v1, v109 offset:40
	;; [unrolled: 1-line block ×3, first 2 shown]
	s_wait_dscnt 0xe
	v_dual_fmac_f32 v99, v20, v115 :: v_dual_sub_f32 v20, v23, v121
	v_add_f32_e32 v3, v5, v3
	ds_bpermute_b32 v5, v1, v109 offset:48
	v_fmac_f32_e32 v99, v21, v116
	s_wait_dscnt 0xd
	v_dual_sub_f32 v21, v24, v123 :: v_dual_mul_f32 v20, v7, v20
	s_wait_dscnt 0xc
	s_delay_alu instid0(VALU_DEP_2)
	v_dual_fmac_f32 v99, v22, v118 :: v_dual_sub_f32 v22, v25, v125
	v_add_f32_e32 v3, v6, v3
	ds_bpermute_b32 v6, v1, v108 offset:48
	s_wait_dscnt 0xc
	v_dual_fmac_f32 v99, v20, v120 :: v_dual_mul_f32 v22, v9, v22
	s_wait_dscnt 0x4
	v_dual_add_f32 v3, v7, v3 :: v_dual_sub_f32 v4, v29, v4
	v_dual_sub_f32 v20, v26, v127 :: v_dual_mul_f32 v21, v8, v21
	ds_bpermute_b32 v7, v1, v109 offset:52
	v_dual_add_f32 v3, v8, v3 :: v_dual_mul_f32 v4, v13, v4
	ds_bpermute_b32 v8, v1, v108 offset:52
	v_mul_f32_e32 v20, v10, v20
	s_wait_dscnt 0x2
	v_sub_f32_e32 v6, v30, v6
	v_fmac_f32_e32 v99, v21, v122
	v_add_f32_e32 v3, v9, v3
	ds_bpermute_b32 v9, v1, v108 offset:56
	v_sub_f32_e32 v21, v27, v110
	v_mul_f32_e32 v6, v14, v6
	v_add_f32_e32 v3, v10, v3
	ds_bpermute_b32 v10, v1, v109 offset:56
	v_mul_f32_e32 v21, v11, v21
	ds_bpermute_b32 v109, v1, v109 offset:60
	s_wait_dscnt 0x3
	v_sub_f32_e32 v8, v31, v8
	v_dual_fmac_f32 v99, v22, v124 :: v_dual_sub_f32 v22, v28, v111
	v_add_f32_e32 v3, v11, v3
	s_delay_alu instid0(VALU_DEP_2) | instskip(NEXT) | instid1(VALU_DEP_3)
	v_dual_mul_f32 v8, v15, v8 :: v_dual_fmac_f32 v99, v20, v126
	v_mul_f32_e32 v20, v12, v22
	s_delay_alu instid0(VALU_DEP_3) | instskip(NEXT) | instid1(VALU_DEP_3)
	v_add_f32_e32 v3, v12, v3
	v_fmac_f32_e32 v99, v21, v18
	s_delay_alu instid0(VALU_DEP_2) | instskip(NEXT) | instid1(VALU_DEP_2)
	v_add_f32_e32 v3, v13, v3
	v_fmac_f32_e32 v99, v20, v2
	ds_bpermute_b32 v2, v1, v108 offset:60
	v_add_f32_e32 v3, v14, v3
	v_fmac_f32_e32 v99, v4, v19
	s_wait_dscnt 0x3
	s_delay_alu instid0(VALU_DEP_2) | instskip(NEXT) | instid1(VALU_DEP_1)
	v_dual_sub_f32 v4, v32, v9 :: v_dual_add_f32 v3, v15, v3
	v_dual_fmac_f32 v99, v6, v5 :: v_dual_mul_f32 v4, v16, v4
	s_delay_alu instid0(VALU_DEP_2) | instskip(NEXT) | instid1(VALU_DEP_2)
	v_add_f32_e32 v3, v16, v3
	v_fmac_f32_e32 v99, v8, v7
	s_wait_dscnt 0x2
	s_delay_alu instid0(VALU_DEP_1)
	v_fmac_f32_e32 v99, v4, v10
.LBB59_41:                              ;   in Loop: Header=BB59_3 Depth=1
	s_wait_alu 0xfffe
	s_and_b32 vcc_lo, exec_lo, s3
	s_wait_alu 0xfffe
	s_cbranch_vccz .LBB59_64
; %bb.42:                               ;   in Loop: Header=BB59_3 Depth=1
	s_load_b32 s3, s[20:21], 0x0
	v_dual_mov_b32 v108, 0 :: v_dual_mov_b32 v99, 0
	s_wait_kmcnt 0x0
	s_cmp_lt_u32 ttmp9, s3
	s_cselect_b32 s18, 12, 18
	s_wait_alu 0xfffe
	s_add_nc_u64 s[34:35], s[20:21], s[18:19]
	s_load_u16 s3, s[34:35], 0x0
	s_wait_dscnt 0x0
	s_wait_kmcnt 0x0
	v_mad_u32_u24 v2, v36, s3, v38
	s_mov_b32 s3, exec_lo
	s_delay_alu instid0(VALU_DEP_1) | instskip(NEXT) | instid1(VALU_DEP_1)
	v_and_b32_e32 v2, 31, v2
	v_cmpx_gt_u32_e32 16, v2
	s_cbranch_execz .LBB59_46
; %bb.43:                               ;   in Loop: Header=BB59_3 Depth=1
	v_add_co_u32 v2, vcc_lo, v106, v2
	s_wait_alu 0xfffd
	v_add_co_ci_u32_e64 v3, null, 0, v107, vcc_lo
	v_dual_mov_b32 v99, 0 :: v_dual_mov_b32 v108, 0
	s_delay_alu instid0(VALU_DEP_3) | instskip(SKIP_1) | instid1(VALU_DEP_3)
	v_add_co_u32 v2, vcc_lo, 0xffffff01, v2
	s_wait_alu 0xfffd
	v_add_co_ci_u32_e64 v3, null, -1, v3, vcc_lo
	s_mov_b32 s18, exec_lo
	v_cmpx_gt_i64_e64 s[4:5], v[2:3]
	s_cbranch_execz .LBB59_45
; %bb.44:                               ;   in Loop: Header=BB59_3 Depth=1
	v_lshlrev_b64_e32 v[2:3], 2, v[2:3]
	s_delay_alu instid0(VALU_DEP_1) | instskip(SKIP_1) | instid1(VALU_DEP_2)
	v_add_co_u32 v4, vcc_lo, s12, v2
	s_wait_alu 0xfffd
	v_add_co_ci_u32_e64 v5, null, s13, v3, vcc_lo
	v_add_co_u32 v2, vcc_lo, s14, v2
	s_wait_alu 0xfffd
	v_add_co_ci_u32_e64 v3, null, s15, v3, vcc_lo
	global_load_b32 v99, v[4:5], off
	global_load_b32 v108, v[2:3], off
.LBB59_45:                              ;   in Loop: Header=BB59_3 Depth=1
	s_wait_alu 0xfffe
	s_or_b32 exec_lo, exec_lo, s18
.LBB59_46:                              ;   in Loop: Header=BB59_3 Depth=1
	s_wait_alu 0xfffe
	s_or_b32 exec_lo, exec_lo, s3
	v_mov_b32_e32 v16, v1
	v_dual_mov_b32 v2, v1 :: v_dual_mov_b32 v3, v1
	v_dual_mov_b32 v4, v1 :: v_dual_mov_b32 v5, v1
	;; [unrolled: 1-line block ×7, first 2 shown]
	v_mov_b32_e32 v33, v16
	s_delay_alu instid0(VALU_DEP_3) | instskip(NEXT) | instid1(VALU_DEP_3)
	v_dual_mov_b32 v29, v12 :: v_dual_mov_b32 v28, v11
	v_dual_mov_b32 v31, v14 :: v_dual_mov_b32 v30, v13
	s_delay_alu instid0(VALU_DEP_4)
	v_dual_mov_b32 v32, v15 :: v_dual_mov_b32 v27, v10
	v_dual_mov_b32 v26, v9 :: v_dual_mov_b32 v25, v8
	;; [unrolled: 1-line block ×6, first 2 shown]
	v_mov_b32_e32 v16, v15
	v_mov_b32_e32 v15, v14
	;; [unrolled: 1-line block ×15, first 2 shown]
	s_and_saveexec_b32 s3, s2
	s_cbranch_execnz .LBB59_66
; %bb.47:                               ;   in Loop: Header=BB59_3 Depth=1
	s_wait_alu 0xfffe
	s_or_b32 exec_lo, exec_lo, s3
	s_and_saveexec_b32 s3, s2
	s_cbranch_execnz .LBB59_67
.LBB59_48:                              ;   in Loop: Header=BB59_3 Depth=1
	s_wait_alu 0xfffe
	s_or_b32 exec_lo, exec_lo, s3
	s_and_saveexec_b32 s3, s2
	s_cbranch_execnz .LBB59_68
.LBB59_49:                              ;   in Loop: Header=BB59_3 Depth=1
	s_wait_alu 0xfffe
	s_or_b32 exec_lo, exec_lo, s3
	s_and_saveexec_b32 s3, s2
	s_cbranch_execnz .LBB59_69
.LBB59_50:                              ;   in Loop: Header=BB59_3 Depth=1
	s_wait_alu 0xfffe
	s_or_b32 exec_lo, exec_lo, s3
	s_and_saveexec_b32 s3, s2
	s_cbranch_execnz .LBB59_70
.LBB59_51:                              ;   in Loop: Header=BB59_3 Depth=1
	s_wait_alu 0xfffe
	s_or_b32 exec_lo, exec_lo, s3
	s_and_saveexec_b32 s3, s2
	s_cbranch_execnz .LBB59_71
.LBB59_52:                              ;   in Loop: Header=BB59_3 Depth=1
	s_wait_alu 0xfffe
	s_or_b32 exec_lo, exec_lo, s3
	s_and_saveexec_b32 s3, s2
	s_cbranch_execnz .LBB59_72
.LBB59_53:                              ;   in Loop: Header=BB59_3 Depth=1
	s_wait_alu 0xfffe
	s_or_b32 exec_lo, exec_lo, s3
	s_and_saveexec_b32 s3, s2
	s_cbranch_execnz .LBB59_73
.LBB59_54:                              ;   in Loop: Header=BB59_3 Depth=1
	s_wait_alu 0xfffe
	s_or_b32 exec_lo, exec_lo, s3
	s_and_saveexec_b32 s3, s2
	s_cbranch_execnz .LBB59_74
.LBB59_55:                              ;   in Loop: Header=BB59_3 Depth=1
	s_wait_alu 0xfffe
	s_or_b32 exec_lo, exec_lo, s3
	s_and_saveexec_b32 s3, s2
	s_cbranch_execnz .LBB59_75
.LBB59_56:                              ;   in Loop: Header=BB59_3 Depth=1
	s_wait_alu 0xfffe
	s_or_b32 exec_lo, exec_lo, s3
	s_and_saveexec_b32 s3, s2
	s_cbranch_execnz .LBB59_76
.LBB59_57:                              ;   in Loop: Header=BB59_3 Depth=1
	s_wait_alu 0xfffe
	s_or_b32 exec_lo, exec_lo, s3
	s_and_saveexec_b32 s3, s2
	s_cbranch_execnz .LBB59_77
.LBB59_58:                              ;   in Loop: Header=BB59_3 Depth=1
	s_wait_alu 0xfffe
	s_or_b32 exec_lo, exec_lo, s3
	s_and_saveexec_b32 s3, s2
	s_cbranch_execnz .LBB59_78
.LBB59_59:                              ;   in Loop: Header=BB59_3 Depth=1
	s_wait_alu 0xfffe
	s_or_b32 exec_lo, exec_lo, s3
	s_and_saveexec_b32 s3, s2
	s_cbranch_execnz .LBB59_79
.LBB59_60:                              ;   in Loop: Header=BB59_3 Depth=1
	s_wait_alu 0xfffe
	s_or_b32 exec_lo, exec_lo, s3
	s_and_saveexec_b32 s3, s2
	s_cbranch_execnz .LBB59_80
.LBB59_61:                              ;   in Loop: Header=BB59_3 Depth=1
	s_wait_alu 0xfffe
	s_or_b32 exec_lo, exec_lo, s3
	s_and_saveexec_b32 s3, s2
	s_cbranch_execz .LBB59_63
.LBB59_62:                              ;   in Loop: Header=BB59_3 Depth=1
	v_add_co_u32 v106, vcc_lo, v43, v34
	s_wait_alu 0xfffd
	v_add_co_ci_u32_e64 v107, null, v44, v35, vcc_lo
	v_add_co_u32 v109, vcc_lo, v45, v34
	s_wait_alu 0xfffd
	v_add_co_ci_u32_e64 v110, null, v46, v35, vcc_lo
	global_load_b32 v17, v[106:107], off
	global_load_b32 v33, v[109:110], off
.LBB59_63:                              ;   in Loop: Header=BB59_3 Depth=1
	s_wait_alu 0xfffe
	s_or_b32 exec_lo, exec_lo, s3
	s_wait_loadcnt 0x1
	ds_bpermute_b32 v106, v1, v99
	ds_bpermute_b32 v107, v1, v99 offset:4
	s_wait_loadcnt 0x0
	ds_bpermute_b32 v109, v1, v108
	ds_bpermute_b32 v110, v1, v99 offset:8
	ds_bpermute_b32 v114, v1, v99 offset:12
	;; [unrolled: 1-line block ×4, first 2 shown]
	v_add_f32_e32 v96, v96, v2
	ds_bpermute_b32 v112, v1, v108 offset:8
	ds_bpermute_b32 v118, v1, v99 offset:20
	;; [unrolled: 1-line block ×9, first 2 shown]
	s_wait_dscnt 0xe
	v_dual_sub_f32 v19, v19, v107 :: v_dual_sub_f32 v18, v18, v106
	ds_bpermute_b32 v106, v1, v108 offset:28
	ds_bpermute_b32 v107, v1, v108 offset:36
	v_dual_mul_f32 v19, v3, v19 :: v_dual_mul_f32 v2, v2, v18
	ds_bpermute_b32 v18, v1, v99 offset:32
	s_wait_dscnt 0xf
	v_dual_sub_f32 v20, v20, v110 :: v_dual_fmac_f32 v105, v2, v109
	ds_bpermute_b32 v2, v1, v99 offset:36
	s_wait_dscnt 0xf
	v_dual_sub_f32 v21, v21, v114 :: v_dual_mul_f32 v20, v4, v20
	s_wait_dscnt 0xd
	v_dual_sub_f32 v22, v22, v116 :: v_dual_fmac_f32 v105, v19, v111
	ds_bpermute_b32 v19, v1, v99 offset:40
	v_mul_f32_e32 v21, v5, v21
	v_dual_add_f32 v3, v3, v96 :: v_dual_mul_f32 v22, v6, v22
	s_wait_dscnt 0xd
	v_fmac_f32_e32 v105, v20, v112
	ds_bpermute_b32 v109, v1, v108 offset:40
	ds_bpermute_b32 v20, v1, v108 offset:44
	s_wait_dscnt 0xe
	v_dual_add_f32 v3, v4, v3 :: v_dual_sub_f32 v4, v23, v118
	s_wait_dscnt 0x4
	v_dual_fmac_f32 v105, v21, v113 :: v_dual_sub_f32 v18, v26, v18
	ds_bpermute_b32 v21, v1, v99 offset:44
	v_dual_mul_f32 v4, v7, v4 :: v_dual_add_f32 v3, v5, v3
	s_wait_dscnt 0x4
	v_dual_sub_f32 v2, v27, v2 :: v_dual_sub_f32 v5, v24, v120
	s_delay_alu instid0(VALU_DEP_1)
	v_dual_add_f32 v3, v6, v3 :: v_dual_mul_f32 v2, v11, v2
	v_dual_sub_f32 v6, v25, v121 :: v_dual_fmac_f32 v105, v22, v115
	ds_bpermute_b32 v22, v1, v108 offset:48
	v_add_f32_e32 v3, v7, v3
	v_mul_f32_e32 v7, v10, v18
	v_dual_mul_f32 v6, v9, v6 :: v_dual_fmac_f32 v105, v4, v117
	ds_bpermute_b32 v4, v1, v99 offset:48
	v_mul_f32_e32 v5, v8, v5
	v_add_f32_e32 v3, v8, v3
	s_wait_dscnt 0x5
	v_sub_f32_e32 v8, v28, v19
	s_delay_alu instid0(VALU_DEP_3)
	v_fmac_f32_e32 v105, v5, v119
	ds_bpermute_b32 v5, v1, v99 offset:52
	v_add_f32_e32 v3, v9, v3
	s_wait_dscnt 0x3
	v_dual_sub_f32 v9, v29, v21 :: v_dual_mul_f32 v8, v12, v8
	v_fmac_f32_e32 v105, v6, v106
	ds_bpermute_b32 v6, v1, v108 offset:52
	v_add_f32_e32 v3, v10, v3
	v_fmac_f32_e32 v105, v7, v122
	ds_bpermute_b32 v7, v1, v99 offset:56
	v_add_f32_e32 v3, v11, v3
	v_fmac_f32_e32 v105, v2, v107
	s_wait_dscnt 0x3
	v_sub_f32_e32 v2, v30, v4
	s_delay_alu instid0(VALU_DEP_3) | instskip(NEXT) | instid1(VALU_DEP_3)
	v_dual_mul_f32 v4, v13, v9 :: v_dual_add_f32 v3, v12, v3
	v_fmac_f32_e32 v105, v8, v109
	ds_bpermute_b32 v8, v1, v108 offset:56
	s_wait_dscnt 0x3
	v_sub_f32_e32 v5, v31, v5
	v_mul_f32_e32 v9, v14, v2
	ds_bpermute_b32 v109, v1, v108 offset:60
	v_fmac_f32_e32 v105, v4, v20
	ds_bpermute_b32 v2, v1, v99 offset:60
	v_dual_mul_f32 v4, v15, v5 :: v_dual_add_f32 v3, v13, v3
	v_fmac_f32_e32 v105, v9, v22
	s_wait_dscnt 0x3
	v_sub_f32_e32 v5, v32, v7
	s_delay_alu instid0(VALU_DEP_3) | instskip(NEXT) | instid1(VALU_DEP_3)
	v_add_f32_e32 v3, v14, v3
	v_fmac_f32_e32 v105, v4, v6
	s_delay_alu instid0(VALU_DEP_2) | instskip(SKIP_1) | instid1(VALU_DEP_1)
	v_dual_mul_f32 v4, v16, v5 :: v_dual_add_f32 v3, v15, v3
	s_wait_dscnt 0x2
	v_fmac_f32_e32 v105, v4, v8
	s_delay_alu instid0(VALU_DEP_2) | instskip(NEXT) | instid1(VALU_DEP_2)
	v_add_f32_e32 v3, v16, v3
	v_mov_b32_e32 v99, v105
.LBB59_64:                              ;   in Loop: Header=BB59_3 Depth=1
	v_add_co_u32 v39, vcc_lo, v39, s24
	s_wait_alu 0xfffd
	v_add_co_ci_u32_e64 v40, null, s25, v40, vcc_lo
	v_add_co_u32 v41, vcc_lo, v41, s24
	s_wait_alu 0xfffd
	v_add_co_ci_u32_e64 v42, null, s25, v42, vcc_lo
	;; [unrolled: 3-line block ×26, first 2 shown]
	v_add_co_u32 v91, vcc_lo, v91, s24
	s_wait_dscnt 0x0
	v_sub_f32_e32 v2, v33, v2
	s_wait_alu 0xfffd
	v_add_co_ci_u32_e64 v92, null, s25, v92, vcc_lo
	v_add_co_u32 v93, vcc_lo, v93, s24
	s_wait_alu 0xfffd
	v_add_co_ci_u32_e64 v94, null, s25, v94, vcc_lo
	v_add_co_u32 v95, vcc_lo, v95, s24
	;; [unrolled: 3-line block ×3, first 2 shown]
	s_add_nc_u64 s[28:29], s[28:29], s[22:23]
	v_mul_f32_e32 v2, v17, v2
	s_wait_alu 0xfffd
	v_add_co_ci_u32_e64 v100, null, s25, v100, vcc_lo
	v_add_co_u32 v101, vcc_lo, v101, s24
	s_wait_alu 0xfffe
	v_cmp_lt_i64_e64 s3, s[28:29], s[4:5]
	s_wait_alu 0xfffd
	v_add_co_ci_u32_e64 v102, null, s25, v102, vcc_lo
	v_add_co_u32 v103, vcc_lo, v103, s24
	v_add_f32_e32 v96, v3, v17
	v_fmac_f32_e32 v99, v2, v109
	s_wait_alu 0xfffd
	v_add_co_ci_u32_e64 v104, null, s25, v104, vcc_lo
	s_and_b32 vcc_lo, exec_lo, s3
	s_add_nc_u64 s[26:27], s[26:27], s[22:23]
	s_wait_alu 0xfffe
	s_cbranch_vccz .LBB59_82
; %bb.65:                               ;   in Loop: Header=BB59_3 Depth=1
	v_mov_b32_e32 v105, v99
	s_branch .LBB59_3
.LBB59_66:                              ;   in Loop: Header=BB59_3 Depth=1
	v_add_co_u32 v2, vcc_lo, v39, v34
	s_wait_alu 0xfffd
	v_add_co_ci_u32_e64 v3, null, v40, v35, vcc_lo
	v_add_co_u32 v4, vcc_lo, v41, v34
	s_wait_alu 0xfffd
	v_add_co_ci_u32_e64 v5, null, v42, v35, vcc_lo
	global_load_b32 v2, v[2:3], off
	global_load_b32 v18, v[4:5], off
	v_dual_mov_b32 v3, v1 :: v_dual_mov_b32 v4, v1
	v_dual_mov_b32 v5, v1 :: v_dual_mov_b32 v6, v1
	v_dual_mov_b32 v7, v1 :: v_dual_mov_b32 v8, v1
	v_dual_mov_b32 v9, v1 :: v_dual_mov_b32 v10, v1
	v_dual_mov_b32 v11, v1 :: v_dual_mov_b32 v12, v1
	v_dual_mov_b32 v13, v1 :: v_dual_mov_b32 v14, v1
	v_dual_mov_b32 v15, v1 :: v_dual_mov_b32 v16, v1
	v_dual_mov_b32 v17, v1 :: v_dual_mov_b32 v20, v1
	v_dual_mov_b32 v19, v1 :: v_dual_mov_b32 v22, v1
	v_dual_mov_b32 v21, v1 :: v_dual_mov_b32 v24, v1
	v_dual_mov_b32 v23, v1 :: v_dual_mov_b32 v26, v1
	v_dual_mov_b32 v25, v1 :: v_dual_mov_b32 v28, v1
	v_dual_mov_b32 v27, v1 :: v_dual_mov_b32 v30, v1
	v_dual_mov_b32 v29, v1 :: v_dual_mov_b32 v32, v1
	v_mov_b32_e32 v31, v1
	v_mov_b32_e32 v33, v1
	s_wait_alu 0xfffe
	s_or_b32 exec_lo, exec_lo, s3
	s_and_saveexec_b32 s3, s2
	s_cbranch_execz .LBB59_48
.LBB59_67:                              ;   in Loop: Header=BB59_3 Depth=1
	v_add_co_u32 v106, vcc_lo, v101, v34
	s_wait_alu 0xfffd
	v_add_co_ci_u32_e64 v107, null, v102, v35, vcc_lo
	v_add_co_u32 v109, vcc_lo, v103, v34
	s_wait_alu 0xfffd
	v_add_co_ci_u32_e64 v110, null, v104, v35, vcc_lo
	global_load_b32 v3, v[106:107], off
	global_load_b32 v19, v[109:110], off
	s_wait_alu 0xfffe
	s_or_b32 exec_lo, exec_lo, s3
	s_and_saveexec_b32 s3, s2
	s_cbranch_execz .LBB59_49
.LBB59_68:                              ;   in Loop: Header=BB59_3 Depth=1
	v_add_co_u32 v106, vcc_lo, v95, v34
	s_wait_alu 0xfffd
	v_add_co_ci_u32_e64 v107, null, v97, v35, vcc_lo
	v_add_co_u32 v109, vcc_lo, v98, v34
	s_wait_alu 0xfffd
	v_add_co_ci_u32_e64 v110, null, v100, v35, vcc_lo
	global_load_b32 v4, v[106:107], off
	global_load_b32 v20, v[109:110], off
	s_wait_alu 0xfffe
	s_or_b32 exec_lo, exec_lo, s3
	s_and_saveexec_b32 s3, s2
	s_cbranch_execz .LBB59_50
.LBB59_69:                              ;   in Loop: Header=BB59_3 Depth=1
	v_add_co_u32 v106, vcc_lo, v91, v34
	s_wait_alu 0xfffd
	v_add_co_ci_u32_e64 v107, null, v92, v35, vcc_lo
	v_add_co_u32 v109, vcc_lo, v93, v34
	s_wait_alu 0xfffd
	v_add_co_ci_u32_e64 v110, null, v94, v35, vcc_lo
	global_load_b32 v5, v[106:107], off
	global_load_b32 v21, v[109:110], off
	s_wait_alu 0xfffe
	s_or_b32 exec_lo, exec_lo, s3
	s_and_saveexec_b32 s3, s2
	s_cbranch_execz .LBB59_51
.LBB59_70:                              ;   in Loop: Header=BB59_3 Depth=1
	v_add_co_u32 v106, vcc_lo, v87, v34
	s_wait_alu 0xfffd
	v_add_co_ci_u32_e64 v107, null, v88, v35, vcc_lo
	v_add_co_u32 v109, vcc_lo, v89, v34
	s_wait_alu 0xfffd
	v_add_co_ci_u32_e64 v110, null, v90, v35, vcc_lo
	global_load_b32 v6, v[106:107], off
	global_load_b32 v22, v[109:110], off
	s_wait_alu 0xfffe
	s_or_b32 exec_lo, exec_lo, s3
	s_and_saveexec_b32 s3, s2
	s_cbranch_execz .LBB59_52
.LBB59_71:                              ;   in Loop: Header=BB59_3 Depth=1
	v_add_co_u32 v106, vcc_lo, v83, v34
	s_wait_alu 0xfffd
	v_add_co_ci_u32_e64 v107, null, v84, v35, vcc_lo
	v_add_co_u32 v109, vcc_lo, v85, v34
	s_wait_alu 0xfffd
	v_add_co_ci_u32_e64 v110, null, v86, v35, vcc_lo
	global_load_b32 v7, v[106:107], off
	global_load_b32 v23, v[109:110], off
	s_wait_alu 0xfffe
	s_or_b32 exec_lo, exec_lo, s3
	s_and_saveexec_b32 s3, s2
	s_cbranch_execz .LBB59_53
.LBB59_72:                              ;   in Loop: Header=BB59_3 Depth=1
	v_add_co_u32 v106, vcc_lo, v79, v34
	s_wait_alu 0xfffd
	v_add_co_ci_u32_e64 v107, null, v80, v35, vcc_lo
	v_add_co_u32 v109, vcc_lo, v81, v34
	s_wait_alu 0xfffd
	v_add_co_ci_u32_e64 v110, null, v82, v35, vcc_lo
	global_load_b32 v8, v[106:107], off
	global_load_b32 v24, v[109:110], off
	s_wait_alu 0xfffe
	s_or_b32 exec_lo, exec_lo, s3
	s_and_saveexec_b32 s3, s2
	s_cbranch_execz .LBB59_54
.LBB59_73:                              ;   in Loop: Header=BB59_3 Depth=1
	v_add_co_u32 v106, vcc_lo, v75, v34
	s_wait_alu 0xfffd
	v_add_co_ci_u32_e64 v107, null, v76, v35, vcc_lo
	v_add_co_u32 v109, vcc_lo, v77, v34
	s_wait_alu 0xfffd
	v_add_co_ci_u32_e64 v110, null, v78, v35, vcc_lo
	global_load_b32 v9, v[106:107], off
	global_load_b32 v25, v[109:110], off
	s_wait_alu 0xfffe
	s_or_b32 exec_lo, exec_lo, s3
	s_and_saveexec_b32 s3, s2
	s_cbranch_execz .LBB59_55
.LBB59_74:                              ;   in Loop: Header=BB59_3 Depth=1
	v_add_co_u32 v106, vcc_lo, v71, v34
	s_wait_alu 0xfffd
	v_add_co_ci_u32_e64 v107, null, v72, v35, vcc_lo
	v_add_co_u32 v109, vcc_lo, v73, v34
	s_wait_alu 0xfffd
	v_add_co_ci_u32_e64 v110, null, v74, v35, vcc_lo
	global_load_b32 v10, v[106:107], off
	global_load_b32 v26, v[109:110], off
	s_wait_alu 0xfffe
	s_or_b32 exec_lo, exec_lo, s3
	s_and_saveexec_b32 s3, s2
	s_cbranch_execz .LBB59_56
.LBB59_75:                              ;   in Loop: Header=BB59_3 Depth=1
	v_add_co_u32 v106, vcc_lo, v67, v34
	s_wait_alu 0xfffd
	v_add_co_ci_u32_e64 v107, null, v68, v35, vcc_lo
	v_add_co_u32 v109, vcc_lo, v69, v34
	s_wait_alu 0xfffd
	v_add_co_ci_u32_e64 v110, null, v70, v35, vcc_lo
	global_load_b32 v11, v[106:107], off
	global_load_b32 v27, v[109:110], off
	s_wait_alu 0xfffe
	s_or_b32 exec_lo, exec_lo, s3
	s_and_saveexec_b32 s3, s2
	s_cbranch_execz .LBB59_57
.LBB59_76:                              ;   in Loop: Header=BB59_3 Depth=1
	v_add_co_u32 v106, vcc_lo, v63, v34
	s_wait_alu 0xfffd
	v_add_co_ci_u32_e64 v107, null, v64, v35, vcc_lo
	v_add_co_u32 v109, vcc_lo, v65, v34
	s_wait_alu 0xfffd
	v_add_co_ci_u32_e64 v110, null, v66, v35, vcc_lo
	global_load_b32 v12, v[106:107], off
	global_load_b32 v28, v[109:110], off
	s_wait_alu 0xfffe
	s_or_b32 exec_lo, exec_lo, s3
	s_and_saveexec_b32 s3, s2
	s_cbranch_execz .LBB59_58
.LBB59_77:                              ;   in Loop: Header=BB59_3 Depth=1
	v_add_co_u32 v106, vcc_lo, v59, v34
	s_wait_alu 0xfffd
	v_add_co_ci_u32_e64 v107, null, v60, v35, vcc_lo
	v_add_co_u32 v109, vcc_lo, v61, v34
	s_wait_alu 0xfffd
	v_add_co_ci_u32_e64 v110, null, v62, v35, vcc_lo
	global_load_b32 v13, v[106:107], off
	global_load_b32 v29, v[109:110], off
	s_wait_alu 0xfffe
	s_or_b32 exec_lo, exec_lo, s3
	s_and_saveexec_b32 s3, s2
	s_cbranch_execz .LBB59_59
.LBB59_78:                              ;   in Loop: Header=BB59_3 Depth=1
	v_add_co_u32 v106, vcc_lo, v55, v34
	s_wait_alu 0xfffd
	v_add_co_ci_u32_e64 v107, null, v56, v35, vcc_lo
	v_add_co_u32 v109, vcc_lo, v57, v34
	s_wait_alu 0xfffd
	v_add_co_ci_u32_e64 v110, null, v58, v35, vcc_lo
	global_load_b32 v14, v[106:107], off
	global_load_b32 v30, v[109:110], off
	s_wait_alu 0xfffe
	s_or_b32 exec_lo, exec_lo, s3
	s_and_saveexec_b32 s3, s2
	s_cbranch_execz .LBB59_60
.LBB59_79:                              ;   in Loop: Header=BB59_3 Depth=1
	v_add_co_u32 v106, vcc_lo, v51, v34
	s_wait_alu 0xfffd
	v_add_co_ci_u32_e64 v107, null, v52, v35, vcc_lo
	v_add_co_u32 v109, vcc_lo, v53, v34
	s_wait_alu 0xfffd
	v_add_co_ci_u32_e64 v110, null, v54, v35, vcc_lo
	global_load_b32 v15, v[106:107], off
	global_load_b32 v31, v[109:110], off
	s_wait_alu 0xfffe
	s_or_b32 exec_lo, exec_lo, s3
	s_and_saveexec_b32 s3, s2
	s_cbranch_execz .LBB59_61
.LBB59_80:                              ;   in Loop: Header=BB59_3 Depth=1
	v_add_co_u32 v106, vcc_lo, v47, v34
	s_wait_alu 0xfffd
	v_add_co_ci_u32_e64 v107, null, v48, v35, vcc_lo
	v_add_co_u32 v109, vcc_lo, v49, v34
	s_wait_alu 0xfffd
	v_add_co_ci_u32_e64 v110, null, v50, v35, vcc_lo
	global_load_b32 v16, v[106:107], off
	global_load_b32 v32, v[109:110], off
	s_wait_alu 0xfffe
	s_or_b32 exec_lo, exec_lo, s3
	s_and_saveexec_b32 s3, s2
	s_cbranch_execnz .LBB59_62
	s_branch .LBB59_63
.LBB59_81:
                                        ; implicit-def: $vgpr96
                                        ; implicit-def: $vgpr99
	s_branch .LBB59_83
.LBB59_82:
	s_cbranch_execnz .LBB59_130
.LBB59_83:
	v_dual_mov_b32 v96, 0 :: v_dual_mov_b32 v99, 0
	s_and_not1_b32 vcc_lo, exec_lo, s31
	s_wait_alu 0xfffe
	s_cbranch_vccnz .LBB59_130
; %bb.84:
	v_bfe_u32 v97, v0, 10, 10
	s_lshl_b64 s[2:3], s[16:17], 2
	s_add_nc_u64 s[20:21], s[16:17], 0xff
	s_delay_alu instid0(VALU_DEP_1) | instskip(SKIP_1) | instid1(VALU_DEP_2)
	v_lshlrev_b32_e32 v98, 4, v97
	v_lshlrev_b32_e32 v1, 6, v97
	v_add_co_u32 v3, s18, v98, s16
	s_wait_alu 0xf1ff
	v_add_co_ci_u32_e64 v4, null, 0, 0, s18
	s_wait_alu 0xfffe
	v_add_co_u32 v5, s2, v1, s2
	v_mul_lo_u32 v7, s7, v3
	s_delay_alu instid0(VALU_DEP_3)
	v_mul_lo_u32 v8, s6, v4
	v_mad_co_u64_u32 v[1:2], null, s6, v3, 0
	s_wait_alu 0xf1ff
	v_add_co_ci_u32_e64 v6, null, 0, s3, s2
	v_add_co_u32 v9, vcc_lo, v5, 4
	s_load_b32 s2, s[0:1], 0x44
	v_add_co_ci_u32_e64 v10, null, 0, v6, vcc_lo
	v_add_co_u32 v11, vcc_lo, v5, 8
	s_wait_alu 0xfffd
	v_add_co_ci_u32_e64 v12, null, 0, v6, vcc_lo
	v_add3_u32 v2, v2, v8, v7
	v_add_co_u32 v7, vcc_lo, v5, 12
	s_wait_alu 0xfffd
	v_add_co_ci_u32_e64 v8, null, 0, v6, vcc_lo
	v_add_co_u32 v15, vcc_lo, v5, 16
	s_wait_alu 0xfffd
	v_add_co_ci_u32_e64 v16, null, 0, v6, vcc_lo
	;; [unrolled: 3-line block ×12, first 2 shown]
	v_add_co_u32 v5, vcc_lo, v5, 60
	v_mad_co_u64_u32 v[52:53], null, s6, v33, s[8:9]
	v_mul_lo_u32 v91, s6, v54
	v_mul_lo_u32 v92, s7, v33
	v_mad_co_u64_u32 v[54:55], null, s6, v84, s[8:9]
	v_mul_lo_u32 v93, s6, v56
	v_mul_lo_u32 v94, s7, v84
	v_mad_co_u64_u32 v[82:83], null, s6, v33, s[10:11]
	v_mad_co_u64_u32 v[84:85], null, s6, v84, s[10:11]
	s_wait_alu 0xfffd
	v_add_co_ci_u32_e64 v6, null, 0, v6, vcc_lo
	v_mad_co_u64_u32 v[38:39], null, s6, v7, s[8:9]
	v_mul_lo_u32 v8, s6, v8
	v_mul_lo_u32 v17, s7, v7
	v_mad_co_u64_u32 v[68:69], null, s6, v7, s[10:11]
	v_mul_lo_u32 v104, s6, v6
	v_add_co_u32 v6, vcc_lo, v3, 15
	v_mad_co_u64_u32 v[36:37], null, s6, v11, s[8:9]
	v_mul_lo_u32 v12, s6, v12
	v_mul_lo_u32 v14, s7, v11
	v_mad_co_u64_u32 v[66:67], null, s6, v11, s[10:11]
	v_add3_u32 v53, v92, v53, v91
	v_add3_u32 v55, v94, v55, v93
	v_mul_lo_u32 v102, s6, v62
	v_mad_co_u64_u32 v[62:63], null, s6, v5, s[8:9]
	v_mul_lo_u32 v105, s7, v5
	v_add3_u32 v83, v92, v83, v91
	v_add3_u32 v85, v94, v85, v93
	v_mad_co_u64_u32 v[92:93], null, s6, v5, s[10:11]
	s_wait_alu 0xfffd
	v_add_co_ci_u32_e64 v5, null, 0, v4, vcc_lo
	v_add_co_u32 v7, vcc_lo, v3, 14
	v_mad_co_u64_u32 v[34:35], null, s6, v9, s[8:9]
	v_mul_lo_u32 v10, s6, v10
	v_mul_lo_u32 v13, s7, v9
	v_mad_co_u64_u32 v[64:65], null, s6, v9, s[10:11]
	v_add3_u32 v39, v17, v39, v8
	v_add3_u32 v69, v17, v69, v8
	s_wait_alu 0xfffd
	v_add_co_ci_u32_e64 v8, null, 0, v4, vcc_lo
	v_add3_u32 v37, v14, v37, v12
	v_add3_u32 v67, v14, v67, v12
	v_mul_lo_u32 v11, s7, v7
	s_delay_alu instid0(VALU_DEP_4)
	v_mul_lo_u32 v12, s6, v8
	v_mad_co_u64_u32 v[7:8], null, s6, v7, 0
	v_add3_u32 v35, v13, v35, v10
	v_mad_co_u64_u32 v[40:41], null, s6, v15, s[8:9]
	v_mul_lo_u32 v16, s6, v16
	v_mul_lo_u32 v19, s7, v15
	v_mad_co_u64_u32 v[70:71], null, s6, v15, s[10:11]
	v_add3_u32 v65, v13, v65, v10
	v_mul_lo_u32 v9, s7, v6
	v_mul_lo_u32 v10, s6, v5
	v_mad_co_u64_u32 v[5:6], null, s6, v6, 0
	v_mad_co_u64_u32 v[42:43], null, s6, v18, s[8:9]
	v_mul_lo_u32 v20, s6, v20
	v_mul_lo_u32 v23, s7, v18
	v_mad_co_u64_u32 v[72:73], null, s6, v18, s[10:11]
	v_add_co_u32 v13, vcc_lo, v3, 13
	v_mad_co_u64_u32 v[44:45], null, s6, v21, s[8:9]
	v_mul_lo_u32 v22, s6, v22
	v_mul_lo_u32 v25, s7, v21
	v_mad_co_u64_u32 v[74:75], null, s6, v21, s[10:11]
	s_wait_alu 0xfffd
	v_add_co_ci_u32_e64 v14, null, 0, v4, vcc_lo
	v_add3_u32 v8, v8, v12, v11
	v_add_co_u32 v11, vcc_lo, v3, 12
	v_add3_u32 v41, v19, v41, v16
	v_add3_u32 v71, v19, v71, v16
	;; [unrolled: 1-line block ×3, first 2 shown]
	v_mul_lo_u32 v19, s7, v13
	v_mad_co_u64_u32 v[9:10], null, s6, v13, 0
	s_wait_alu 0xfffd
	v_add_co_ci_u32_e64 v12, null, 0, v4, vcc_lo
	v_add_co_u32 v13, vcc_lo, v3, 11
	v_mad_co_u64_u32 v[46:47], null, s6, v24, s[8:9]
	v_mul_lo_u32 v26, s6, v26
	v_mul_lo_u32 v29, s7, v24
	v_mad_co_u64_u32 v[76:77], null, s6, v24, s[10:11]
	v_add3_u32 v43, v23, v43, v20
	v_add3_u32 v73, v23, v73, v20
	v_mul_lo_u32 v20, s6, v14
	s_wait_alu 0xfffd
	v_add_co_ci_u32_e64 v14, null, 0, v4, vcc_lo
	v_add_co_u32 v15, vcc_lo, v3, 10
	s_wait_alu 0xfffd
	v_add_co_ci_u32_e64 v16, null, 0, v4, vcc_lo
	v_add3_u32 v45, v25, v45, v22
	v_add3_u32 v75, v25, v75, v22
	v_mul_lo_u32 v21, s7, v11
	v_mul_lo_u32 v22, s6, v12
	v_mad_co_u64_u32 v[11:12], null, s6, v11, 0
	v_mul_lo_u32 v23, s7, v13
	v_mul_lo_u32 v24, s6, v14
	v_mad_co_u64_u32 v[13:14], null, s6, v13, 0
	v_add3_u32 v47, v29, v47, v26
	v_add3_u32 v77, v29, v77, v26
	v_mul_lo_u32 v25, s7, v15
	v_add_co_u32 v17, vcc_lo, v3, 9
	v_mul_lo_u32 v26, s6, v16
	v_mad_co_u64_u32 v[15:16], null, s6, v15, 0
	v_mad_co_u64_u32 v[50:51], null, s6, v31, s[8:9]
	v_mul_lo_u32 v32, s6, v32
	v_mul_lo_u32 v90, s7, v31
	v_mad_co_u64_u32 v[80:81], null, s6, v31, s[10:11]
	s_wait_alu 0xfffd
	v_add_co_ci_u32_e64 v18, null, 0, v4, vcc_lo
	v_add3_u32 v10, v10, v20, v19
	v_add_co_u32 v19, vcc_lo, v3, 8
	v_mad_co_u64_u32 v[48:49], null, s6, v27, s[8:9]
	v_mul_lo_u32 v28, s6, v28
	v_mul_lo_u32 v30, s7, v27
	v_mad_co_u64_u32 v[78:79], null, s6, v27, s[10:11]
	v_add3_u32 v12, v12, v22, v21
	s_wait_alu 0xfffd
	v_add_co_ci_u32_e64 v20, null, 0, v4, vcc_lo
	v_add_co_u32 v21, vcc_lo, v3, 7
	v_add3_u32 v14, v14, v24, v23
	s_wait_alu 0xfffd
	v_add_co_ci_u32_e64 v22, null, 0, v4, vcc_lo
	v_add_co_u32 v23, vcc_lo, v3, 6
	v_mul_lo_u32 v95, s6, v58
	v_mad_co_u64_u32 v[58:59], null, s6, v88, s[8:9]
	v_mul_lo_u32 v99, s6, v60
	v_mul_lo_u32 v101, s7, v88
	v_mad_co_u64_u32 v[88:89], null, s6, v88, s[10:11]
	v_add3_u32 v16, v16, v26, v25
	s_wait_alu 0xfffd
	v_add_co_ci_u32_e64 v24, null, 0, v4, vcc_lo
	v_add_co_u32 v25, vcc_lo, v3, 5
	v_add3_u32 v51, v90, v51, v32
	v_mad_co_u64_u32 v[60:61], null, s6, v100, s[8:9]
	v_mul_lo_u32 v103, s7, v100
	v_add3_u32 v81, v90, v81, v32
	v_mad_co_u64_u32 v[90:91], null, s6, v100, s[10:11]
	v_mul_lo_u32 v31, s7, v17
	v_mul_lo_u32 v32, s6, v18
	v_mad_co_u64_u32 v[17:18], null, s6, v17, 0
	s_wait_alu 0xfffd
	v_add_co_ci_u32_e64 v26, null, 0, v4, vcc_lo
	v_add_co_u32 v27, vcc_lo, v3, 4
	v_add3_u32 v49, v30, v49, v28
	v_add3_u32 v79, v30, v79, v28
	s_wait_alu 0xfffd
	v_add_co_ci_u32_e64 v28, null, 0, v4, vcc_lo
	v_add_co_u32 v29, vcc_lo, v3, 3
	v_add3_u32 v63, v105, v63, v104
	v_add3_u32 v93, v105, v93, v104
	;; [unrolled: 5-line block ×3, first 2 shown]
	v_mul_lo_u32 v99, s7, v23
	v_mul_lo_u32 v100, s6, v24
	v_mad_co_u64_u32 v[23:24], null, s6, v23, 0
	s_wait_alu 0xfffd
	v_add_co_ci_u32_e64 v106, null, 0, v4, vcc_lo
	v_add3_u32 v61, v103, v61, v102
	v_add3_u32 v91, v103, v91, v102
	v_mul_lo_u32 v101, s7, v25
	v_mul_lo_u32 v102, s6, v26
	v_mad_co_u64_u32 v[25:26], null, s6, v25, 0
	v_add3_u32 v18, v18, v32, v31
	v_lshlrev_b64_e32 v[31:32], 2, v[1:2]
	v_mul_lo_u32 v103, s7, v27
	v_mul_lo_u32 v104, s6, v28
	v_mad_co_u64_u32 v[27:28], null, s6, v27, 0
	v_mul_lo_u32 v107, s6, v30
	v_mul_lo_u32 v108, s7, v29
	v_mad_co_u64_u32 v[3:4], null, s6, v29, 0
	;; [unrolled: 3-line block ×3, first 2 shown]
	v_add_co_u32 v1, vcc_lo, v1, s6
	v_lshlrev_b64_e32 v[5:6], 2, v[5:6]
	v_add3_u32 v24, v24, v100, v99
	s_wait_alu 0xfffd
	v_add_co_ci_u32_e64 v2, null, s7, v2, vcc_lo
	v_add_co_u32 v100, vcc_lo, s8, v31
	v_add3_u32 v26, v26, v102, v101
	s_wait_alu 0xfffd
	v_add_co_ci_u32_e64 v101, null, s9, v32, vcc_lo
	v_add_co_u32 v102, vcc_lo, s10, v31
	v_lshlrev_b64_e32 v[7:8], 2, v[7:8]
	v_add3_u32 v28, v28, v104, v103
	s_wait_alu 0xfffd
	v_add_co_ci_u32_e64 v103, null, s11, v32, vcc_lo
	v_add_co_u32 v104, vcc_lo, s8, v5
	v_add3_u32 v30, v30, v106, v109
	s_wait_alu 0xfffd
	v_add_co_ci_u32_e64 v105, null, s9, v6, vcc_lo
	v_add_co_u32 v106, vcc_lo, s10, v5
	;; [unrolled: 4-line block ×3, first 2 shown]
	v_lshlrev_b64_e32 v[5:6], 2, v[9:10]
	s_wait_alu 0xfffd
	v_add_co_ci_u32_e64 v109, null, s9, v8, vcc_lo
	v_add_co_u32 v110, vcc_lo, s10, v7
	s_wait_alu 0xfffd
	v_add_co_ci_u32_e64 v111, null, s11, v8, vcc_lo
	v_lshlrev_b64_e32 v[7:8], 2, v[11:12]
	v_add_co_u32 v112, vcc_lo, s8, v5
	s_wait_alu 0xfffd
	v_add_co_ci_u32_e64 v113, null, s9, v6, vcc_lo
	v_add_co_u32 v114, vcc_lo, s10, v5
	v_mad_co_u64_u32 v[56:57], null, s6, v86, s[8:9]
	v_mul_lo_u32 v96, s7, v86
	v_mad_co_u64_u32 v[86:87], null, s6, v86, s[10:11]
	s_wait_alu 0xfffd
	v_add_co_ci_u32_e64 v115, null, s11, v6, vcc_lo
	v_add_co_u32 v116, vcc_lo, s8, v7
	v_lshlrev_b64_e32 v[5:6], 2, v[13:14]
	v_mul_lo_u32 v33, s7, v19
	v_mul_lo_u32 v94, s6, v20
	v_mad_co_u64_u32 v[19:20], null, s6, v19, 0
	s_wait_alu 0xfffd
	v_add_co_ci_u32_e64 v117, null, s9, v8, vcc_lo
	v_add_co_u32 v118, vcc_lo, s10, v7
	s_wait_alu 0xfffd
	v_add_co_ci_u32_e64 v119, null, s11, v8, vcc_lo
	v_lshlrev_b64_e32 v[7:8], 2, v[15:16]
	v_add_co_u32 v120, vcc_lo, s8, v5
	v_add3_u32 v57, v96, v57, v95
	v_add3_u32 v87, v96, v87, v95
	v_mul_lo_u32 v95, s7, v21
	v_mul_lo_u32 v96, s6, v22
	v_mad_co_u64_u32 v[21:22], null, s6, v21, 0
	s_wait_alu 0xfffd
	v_add_co_ci_u32_e64 v121, null, s9, v6, vcc_lo
	v_add_co_u32 v122, vcc_lo, s10, v5
	v_add3_u32 v20, v20, v94, v33
	s_wait_alu 0xfffd
	v_add_co_ci_u32_e64 v123, null, s11, v6, vcc_lo
	v_add_co_u32 v124, vcc_lo, s8, v7
	v_lshlrev_b64_e32 v[5:6], 2, v[17:18]
	s_wait_alu 0xfffd
	v_add_co_ci_u32_e64 v125, null, s9, v8, vcc_lo
	v_add_co_u32 v126, vcc_lo, s10, v7
	s_wait_alu 0xfffd
	v_add_co_ci_u32_e64 v127, null, s11, v8, vcc_lo
	v_lshlrev_b64_e32 v[7:8], 2, v[19:20]
	v_add3_u32 v22, v22, v96, v95
	v_add_co_u32 v128, vcc_lo, s8, v5
	s_wait_alu 0xfffd
	v_add_co_ci_u32_e64 v129, null, s9, v6, vcc_lo
	v_add_co_u32 v130, vcc_lo, s10, v5
	s_wait_alu 0xfffd
	v_add_co_ci_u32_e64 v131, null, s11, v6, vcc_lo
	v_add_co_u32 v132, vcc_lo, s8, v7
	v_lshlrev_b64_e32 v[5:6], 2, v[21:22]
	s_wait_alu 0xfffd
	v_add_co_ci_u32_e64 v133, null, s9, v8, vcc_lo
	v_add_co_u32 v134, vcc_lo, s10, v7
	s_wait_alu 0xfffd
	v_add_co_ci_u32_e64 v135, null, s11, v8, vcc_lo
	v_lshlrev_b64_e32 v[7:8], 2, v[23:24]
	v_add_co_u32 v136, vcc_lo, s8, v5
	s_wait_alu 0xfffd
	v_add_co_ci_u32_e64 v137, null, s9, v6, vcc_lo
	v_add_co_u32 v138, vcc_lo, s10, v5
	s_wait_alu 0xfffd
	v_add_co_ci_u32_e64 v139, null, s11, v6, vcc_lo
	v_add_co_u32 v140, vcc_lo, s8, v7
	v_lshlrev_b64_e32 v[5:6], 2, v[25:26]
	s_wait_alu 0xfffd
	v_add_co_ci_u32_e64 v141, null, s9, v8, vcc_lo
	v_add_co_u32 v142, vcc_lo, s10, v7
	s_wait_alu 0xfffd
	v_add_co_ci_u32_e64 v143, null, s11, v8, vcc_lo
	v_lshlrev_b64_e32 v[7:8], 2, v[27:28]
	v_add_co_u32 v144, vcc_lo, s8, v5
	s_wait_alu 0xfffd
	v_add_co_ci_u32_e64 v145, null, s9, v6, vcc_lo
	v_add_co_u32 v146, vcc_lo, s10, v5
	v_lshlrev_b64_e32 v[3:4], 2, v[3:4]
	s_wait_alu 0xfffd
	v_add_co_ci_u32_e64 v147, null, s11, v6, vcc_lo
	v_add_co_u32 v148, vcc_lo, s8, v7
	s_wait_alu 0xfffd
	v_add_co_ci_u32_e64 v149, null, s9, v8, vcc_lo
	v_add_co_u32 v150, vcc_lo, s10, v7
	v_lshlrev_b64_e32 v[5:6], 2, v[29:30]
	s_wait_alu 0xfffd
	v_add_co_ci_u32_e64 v151, null, s11, v8, vcc_lo
	v_add_co_u32 v152, vcc_lo, s8, v3
	s_wait_alu 0xfffd
	v_add_co_ci_u32_e64 v153, null, s9, v4, vcc_lo
	v_add_co_u32 v154, vcc_lo, s10, v3
	v_lshlrev_b64_e32 v[2:3], 2, v[1:2]
	v_dual_mov_b32 v1, 0 :: v_dual_and_b32 v160, 0x3ff, v0
	s_wait_alu 0xfffd
	v_add_co_ci_u32_e64 v155, null, s11, v4, vcc_lo
	v_add_co_u32 v156, vcc_lo, s8, v5
	s_wait_alu 0xfffd
	v_add_co_ci_u32_e64 v157, null, s9, v6, vcc_lo
	v_add_co_u32 v158, vcc_lo, s10, v5
	v_dual_mov_b32 v5, v1 :: v_dual_add_nc_u32 v4, s30, v160
	v_mov_b32_e32 v99, 0
	s_wait_alu 0xfffd
	v_add_co_ci_u32_e64 v159, null, s11, v6, vcc_lo
	v_add_co_u32 v161, vcc_lo, s8, v2
	s_mov_b32 s3, 0
	s_wait_alu 0xfffd
	v_add_co_ci_u32_e64 v162, null, s9, v3, vcc_lo
	v_add_co_u32 v163, vcc_lo, s10, v2
	s_wait_kmcnt 0x0
	s_lshl_b32 s8, s2, 8
	s_wait_alu 0xfffe
	s_mov_b32 s9, s3
	v_lshlrev_b64_e32 v[94:95], 2, v[4:5]
	s_wait_alu 0xfffd
	v_add_co_ci_u32_e64 v164, null, s11, v3, vcc_lo
	v_mov_b32_e32 v96, 0
	s_wait_alu 0xfffe
	s_mul_u64 s[18:19], s[6:7], s[8:9]
	s_add_nc_u64 s[10:11], s[0:1], 64
	s_wait_alu 0xfffe
	s_lshl_b64 s[18:19], s[18:19], 2
	s_branch .LBB59_88
.LBB59_85:                              ;   in Loop: Header=BB59_88 Depth=1
	s_wait_alu 0xfffe
	s_or_b32 exec_lo, exec_lo, s22
.LBB59_86:                              ;   in Loop: Header=BB59_88 Depth=1
	s_wait_alu 0xfffe
	s_or_b32 exec_lo, exec_lo, s2
	v_add_co_u32 v2, vcc_lo, v100, v94
	s_wait_alu 0xfffd
	v_add_co_ci_u32_e64 v3, null, v101, v95, vcc_lo
	v_add_co_u32 v6, vcc_lo, v102, v94
	s_wait_alu 0xfffd
	v_add_co_ci_u32_e64 v7, null, v103, v95, vcc_lo
	global_load_b32 v14, v[2:3], off
	global_load_b32 v15, v[6:7], off
	v_add_co_u32 v2, vcc_lo, v34, v94
	s_wait_alu 0xfffd
	v_add_co_ci_u32_e64 v3, null, v35, v95, vcc_lo
	v_add_co_u32 v6, vcc_lo, v64, v94
	s_wait_alu 0xfffd
	v_add_co_ci_u32_e64 v7, null, v65, v95, vcc_lo
	v_add_co_u32 v8, vcc_lo, v36, v94
	s_wait_alu 0xfffd
	v_add_co_ci_u32_e64 v9, null, v37, v95, vcc_lo
	v_add_co_u32 v10, vcc_lo, v66, v94
	s_wait_alu 0xfffd
	v_add_co_ci_u32_e64 v11, null, v67, v95, vcc_lo
	v_add_co_u32 v12, vcc_lo, v38, v94
	s_wait_alu 0xfffd
	v_add_co_ci_u32_e64 v13, null, v39, v95, vcc_lo
	global_load_b32 v16, v[2:3], off
	global_load_b32 v18, v[6:7], off
	global_load_b32 v19, v[8:9], off
	global_load_b32 v20, v[10:11], off
	global_load_b32 v21, v[12:13], off
	v_add_co_u32 v2, vcc_lo, v68, v94
	s_wait_alu 0xfffd
	v_add_co_ci_u32_e64 v3, null, v69, v95, vcc_lo
	v_add_co_u32 v6, vcc_lo, v40, v94
	s_wait_alu 0xfffd
	v_add_co_ci_u32_e64 v7, null, v41, v95, vcc_lo
	v_add_co_u32 v8, vcc_lo, v70, v94
	s_wait_alu 0xfffd
	v_add_co_ci_u32_e64 v9, null, v71, v95, vcc_lo
	v_add_co_u32 v10, vcc_lo, v42, v94
	s_wait_alu 0xfffd
	v_add_co_ci_u32_e64 v11, null, v43, v95, vcc_lo
	v_add_co_u32 v12, vcc_lo, v72, v94
	s_wait_alu 0xfffd
	v_add_co_ci_u32_e64 v13, null, v73, v95, vcc_lo
	global_load_b32 v22, v[2:3], off
	global_load_b32 v23, v[6:7], off
	global_load_b32 v24, v[8:9], off
	;; [unrolled: 20-line block ×4, first 2 shown]
	global_load_b32 v166, v[10:11], off
	global_load_b32 v167, v[12:13], off
	v_add_co_u32 v2, vcc_lo, v84, v94
	s_wait_alu 0xfffd
	v_add_co_ci_u32_e64 v3, null, v85, v95, vcc_lo
	v_add_co_u32 v6, vcc_lo, v54, v94
	s_wait_alu 0xfffd
	v_add_co_ci_u32_e64 v7, null, v55, v95, vcc_lo
	global_load_b32 v168, v[2:3], off
	v_add_co_u32 v2, vcc_lo, v56, v94
	s_wait_alu 0xfffd
	v_add_co_ci_u32_e64 v3, null, v57, v95, vcc_lo
	v_add_co_u32 v8, vcc_lo, v86, v94
	s_wait_alu 0xfffd
	v_add_co_ci_u32_e64 v9, null, v87, v95, vcc_lo
	;; [unrolled: 3-line block ×4, first 2 shown]
	global_load_b32 v169, v[6:7], off
	global_load_b32 v170, v[2:3], off
	;; [unrolled: 1-line block ×5, first 2 shown]
	v_add_co_u32 v2, vcc_lo, v90, v94
	s_wait_alu 0xfffd
	v_add_co_ci_u32_e64 v3, null, v91, v95, vcc_lo
	v_add_co_u32 v6, vcc_lo, v92, v94
	s_wait_alu 0xfffd
	v_add_co_ci_u32_e64 v7, null, v93, v95, vcc_lo
	;; [unrolled: 3-line block ×3, first 2 shown]
	global_load_b32 v12, v[2:3], off
	global_load_b32 v6, v[6:7], off
	v_add_co_u32 v2, vcc_lo, v62, v94
	s_wait_alu 0xfffd
	v_add_co_ci_u32_e64 v3, null, v63, v95, vcc_lo
	global_load_b32 v7, v[8:9], off
	global_load_b32 v17, v[2:3], off
	s_wait_loadcnt 0x21
	ds_bpermute_b32 v2, v1, v5
	ds_bpermute_b32 v3, v1, v5 offset:4
	ds_bpermute_b32 v8, v1, v5 offset:8
	s_wait_loadcnt 0x20
	ds_bpermute_b32 v9, v1, v4
	ds_bpermute_b32 v13, v1, v5 offset:12
	ds_bpermute_b32 v172, v1, v4 offset:4
	;; [unrolled: 1-line block ×15, first 2 shown]
	s_wait_loadcnt_dscnt 0x1e12
	v_sub_f32_e32 v2, v15, v2
	ds_bpermute_b32 v15, v1, v4 offset:32
	s_wait_loadcnt_dscnt 0x1c12
	v_sub_f32_e32 v3, v18, v3
	v_mul_f32_e32 v2, v14, v2
	ds_bpermute_b32 v18, v1, v5 offset:36
	v_mul_f32_e32 v3, v16, v3
	s_wait_loadcnt_dscnt 0x1a11
	v_dual_sub_f32 v8, v20, v8 :: v_dual_fmac_f32 v99, v2, v9
	ds_bpermute_b32 v2, v1, v5 offset:40
	v_mul_f32_e32 v8, v19, v8
	s_wait_dscnt 0x10
	v_fmac_f32_e32 v99, v3, v172
	ds_bpermute_b32 v3, v1, v4 offset:44
	s_wait_loadcnt 0x18
	v_sub_f32_e32 v9, v22, v13
	v_add_f32_e32 v13, v96, v14
	s_wait_loadcnt_dscnt 0x160f
	s_delay_alu instid0(VALU_DEP_2) | instskip(NEXT) | instid1(VALU_DEP_1)
	v_dual_sub_f32 v14, v24, v176 :: v_dual_mul_f32 v9, v21, v9
	v_dual_add_f32 v13, v13, v16 :: v_dual_mul_f32 v14, v23, v14
	s_wait_loadcnt_dscnt 0x140e
	v_dual_sub_f32 v16, v26, v178 :: v_dual_fmac_f32 v99, v8, v173
	ds_bpermute_b32 v8, v1, v5 offset:44
	v_add_f32_e32 v13, v13, v19
	v_mul_f32_e32 v16, v25, v16
	s_wait_loadcnt_dscnt 0x100b
	v_dual_sub_f32 v19, v28, v180 :: v_dual_sub_f32 v20, v30, v182
	v_fmac_f32_e32 v99, v9, v174
	ds_bpermute_b32 v9, v1, v4 offset:48
	v_mul_f32_e32 v20, v29, v20
	s_wait_loadcnt_dscnt 0xc04
	v_dual_sub_f32 v18, v165, v18 :: v_dual_mul_f32 v19, v27, v19
	s_wait_loadcnt_dscnt 0xa03
	v_dual_sub_f32 v2, v167, v2 :: v_dual_add_f32 v13, v13, v21
	s_delay_alu instid0(VALU_DEP_2) | instskip(NEXT) | instid1(VALU_DEP_2)
	v_mul_f32_e32 v18, v33, v18
	v_mul_f32_e32 v2, v166, v2
	s_wait_loadcnt_dscnt 0x901
	v_dual_sub_f32 v8, v168, v8 :: v_dual_fmac_f32 v99, v14, v175
	ds_bpermute_b32 v14, v1, v5 offset:48
	v_add_f32_e32 v13, v13, v23
	v_fmac_f32_e32 v99, v16, v177
	ds_bpermute_b32 v16, v1, v4 offset:52
	s_wait_loadcnt 0x8
	v_dual_mul_f32 v8, v169, v8 :: v_dual_fmac_f32 v99, v19, v179
	ds_bpermute_b32 v19, v1, v5 offset:52
	v_fmac_f32_e32 v99, v20, v181
	ds_bpermute_b32 v20, v1, v5 offset:56
	ds_bpermute_b32 v5, v1, v5 offset:60
	s_wait_loadcnt_dscnt 0x604
	v_dual_sub_f32 v14, v171, v14 :: v_dual_add_f32 v13, v13, v25
	s_delay_alu instid0(VALU_DEP_1) | instskip(NEXT) | instid1(VALU_DEP_1)
	v_add_f32_e32 v13, v13, v27
	v_add_f32_e32 v13, v13, v29
	s_delay_alu instid0(VALU_DEP_1) | instskip(SKIP_2) | instid1(VALU_DEP_2)
	v_add_f32_e32 v13, v13, v31
	s_wait_loadcnt_dscnt 0x200
	v_sub_f32_e32 v5, v6, v5
	v_add_f32_e32 v13, v13, v33
	s_wait_loadcnt 0x0
	s_delay_alu instid0(VALU_DEP_2) | instskip(NEXT) | instid1(VALU_DEP_2)
	v_mul_f32_e32 v5, v17, v5
	v_add_f32_e32 v13, v13, v166
	v_sub_f32_e32 v21, v32, v183
	s_delay_alu instid0(VALU_DEP_1) | instskip(NEXT) | instid1(VALU_DEP_1)
	v_mul_f32_e32 v21, v31, v21
	v_fmac_f32_e32 v99, v21, v15
	ds_bpermute_b32 v15, v1, v4 offset:56
	v_fmac_f32_e32 v99, v18, v184
	s_delay_alu instid0(VALU_DEP_1) | instskip(SKIP_4) | instid1(VALU_DEP_3)
	v_fmac_f32_e32 v99, v2, v185
	ds_bpermute_b32 v2, v1, v4 offset:60
	v_dual_sub_f32 v4, v11, v19 :: v_dual_mul_f32 v11, v170, v14
	v_fmac_f32_e32 v99, v8, v3
	v_sub_f32_e32 v8, v12, v20
	v_dual_mul_f32 v3, v10, v4 :: v_dual_add_f32 v4, v13, v169
	s_delay_alu instid0(VALU_DEP_1) | instskip(NEXT) | instid1(VALU_DEP_1)
	v_dual_fmac_f32 v99, v11, v9 :: v_dual_add_f32 v4, v4, v170
	v_fmac_f32_e32 v99, v3, v16
	s_delay_alu instid0(VALU_DEP_2) | instskip(SKIP_1) | instid1(VALU_DEP_1)
	v_dual_mul_f32 v3, v7, v8 :: v_dual_add_f32 v4, v4, v10
	s_wait_dscnt 0x1
	v_fmac_f32_e32 v99, v3, v15
	s_wait_dscnt 0x0
	s_delay_alu instid0(VALU_DEP_2) | instskip(NEXT) | instid1(VALU_DEP_2)
	v_dual_add_f32 v3, v4, v7 :: v_dual_mul_f32 v4, v5, v2
	v_mov_b32_e32 v2, v99
.LBB59_87:                              ;   in Loop: Header=BB59_88 Depth=1
	v_add_co_u32 v100, vcc_lo, v100, s18
	s_wait_alu 0xfffd
	v_add_co_ci_u32_e64 v101, null, s19, v101, vcc_lo
	v_add_co_u32 v102, vcc_lo, v102, s18
	s_wait_alu 0xfffd
	v_add_co_ci_u32_e64 v103, null, s19, v103, vcc_lo
	;; [unrolled: 3-line block ×59, first 2 shown]
	v_add_co_u32 v158, vcc_lo, v158, s18
	s_add_nc_u64 s[16:17], s[16:17], s[8:9]
	s_wait_alu 0xfffd
	v_add_co_ci_u32_e64 v159, null, s19, v159, vcc_lo
	v_add_co_u32 v161, vcc_lo, v161, s18
	s_wait_alu 0xfffe
	v_cmp_ge_i64_e64 s2, s[16:17], s[4:5]
	s_wait_alu 0xfffd
	v_add_co_ci_u32_e64 v162, null, s19, v162, vcc_lo
	v_add_co_u32 v163, vcc_lo, v163, s18
	v_dual_add_f32 v99, v2, v4 :: v_dual_add_f32 v96, v3, v17
	s_wait_alu 0xfffd
	v_add_co_ci_u32_e64 v164, null, s19, v164, vcc_lo
	s_and_b32 vcc_lo, exec_lo, s2
	s_add_nc_u64 s[20:21], s[20:21], s[8:9]
	s_wait_alu 0xfffe
	s_cbranch_vccnz .LBB59_130
.LBB59_88:                              ; =>This Inner Loop Header: Depth=1
	v_cmp_ge_i64_e64 s2, s[20:21], s[4:5]
	v_add_co_u32 v165, s22, v98, s20
	s_wait_alu 0xf1ff
	v_add_co_ci_u32_e64 v166, null, 0, s21, s22
                                        ; implicit-def: $vgpr17
                                        ; implicit-def: $vgpr4
                                        ; implicit-def: $vgpr3
                                        ; implicit-def: $vgpr2
	s_and_b32 vcc_lo, exec_lo, s2
	s_mov_b32 s2, -1
	s_wait_alu 0xfffe
	s_cbranch_vccz .LBB59_126
; %bb.89:                               ;   in Loop: Header=BB59_88 Depth=1
	s_load_b32 s2, s[10:11], 0xc
	v_dual_mov_b32 v168, 0 :: v_dual_mov_b32 v167, 0
	s_wait_kmcnt 0x0
	s_and_b32 s2, s2, 0xffff
	s_wait_alu 0xfffe
	v_mad_u32_u24 v2, v97, s2, v160
	s_mov_b32 s2, exec_lo
	s_delay_alu instid0(VALU_DEP_1) | instskip(NEXT) | instid1(VALU_DEP_1)
	v_and_b32_e32 v2, 31, v2
	v_cmpx_gt_u32_e32 16, v2
	s_cbranch_execz .LBB59_93
; %bb.90:                               ;   in Loop: Header=BB59_88 Depth=1
	v_add_co_u32 v2, vcc_lo, v165, v2
	s_wait_alu 0xfffd
	v_add_co_ci_u32_e64 v3, null, 0, v166, vcc_lo
	v_dual_mov_b32 v168, 0 :: v_dual_mov_b32 v167, 0
	s_delay_alu instid0(VALU_DEP_3) | instskip(SKIP_1) | instid1(VALU_DEP_3)
	v_add_co_u32 v2, vcc_lo, 0xffffff01, v2
	s_wait_alu 0xfffd
	v_add_co_ci_u32_e64 v3, null, -1, v3, vcc_lo
	s_mov_b32 s22, exec_lo
	v_cmpx_gt_i64_e64 s[4:5], v[2:3]
	s_cbranch_execz .LBB59_92
; %bb.91:                               ;   in Loop: Header=BB59_88 Depth=1
	v_lshlrev_b64_e32 v[2:3], 2, v[2:3]
	s_delay_alu instid0(VALU_DEP_1) | instskip(SKIP_1) | instid1(VALU_DEP_2)
	v_add_co_u32 v4, vcc_lo, s12, v2
	s_wait_alu 0xfffd
	v_add_co_ci_u32_e64 v5, null, s13, v3, vcc_lo
	v_add_co_u32 v2, vcc_lo, s14, v2
	s_wait_alu 0xfffd
	v_add_co_ci_u32_e64 v3, null, s15, v3, vcc_lo
	global_load_b32 v168, v[4:5], off
	global_load_b32 v167, v[2:3], off
.LBB59_92:                              ;   in Loop: Header=BB59_88 Depth=1
	s_wait_alu 0xfffe
	s_or_b32 exec_lo, exec_lo, s22
.LBB59_93:                              ;   in Loop: Header=BB59_88 Depth=1
	s_wait_alu 0xfffe
	s_or_b32 exec_lo, exec_lo, s2
	v_add_co_u32 v17, vcc_lo, 0xffffff01, v165
	s_wait_alu 0xfffd
	v_add_co_ci_u32_e64 v18, null, -1, v166, vcc_lo
	v_mov_b32_e32 v16, v1
	v_dual_mov_b32 v2, v1 :: v_dual_mov_b32 v3, v1
	v_dual_mov_b32 v4, v1 :: v_dual_mov_b32 v5, v1
	;; [unrolled: 1-line block ×7, first 2 shown]
	v_cmp_gt_i64_e32 vcc_lo, s[4:5], v[17:18]
	s_delay_alu instid0(VALU_DEP_3) | instskip(NEXT) | instid1(VALU_DEP_3)
	v_dual_mov_b32 v33, v16 :: v_dual_mov_b32 v30, v13
	v_dual_mov_b32 v31, v14 :: v_dual_mov_b32 v32, v15
	;; [unrolled: 1-line block ×8, first 2 shown]
	v_mov_b32_e32 v17, v16
	v_mov_b32_e32 v16, v15
	;; [unrolled: 1-line block ×16, first 2 shown]
	s_and_saveexec_b32 s2, vcc_lo
	s_cbranch_execz .LBB59_95
; %bb.94:                               ;   in Loop: Header=BB59_88 Depth=1
	v_add_co_u32 v2, vcc_lo, v100, v94
	s_wait_alu 0xfffd
	v_add_co_ci_u32_e64 v3, null, v101, v95, vcc_lo
	v_add_co_u32 v4, vcc_lo, v102, v94
	s_wait_alu 0xfffd
	v_add_co_ci_u32_e64 v5, null, v103, v95, vcc_lo
	global_load_b32 v2, v[2:3], off
	global_load_b32 v18, v[4:5], off
	v_dual_mov_b32 v3, v1 :: v_dual_mov_b32 v4, v1
	v_dual_mov_b32 v5, v1 :: v_dual_mov_b32 v6, v1
	;; [unrolled: 1-line block ×14, first 2 shown]
	v_mov_b32_e32 v31, v1
	v_mov_b32_e32 v33, v1
.LBB59_95:                              ;   in Loop: Header=BB59_88 Depth=1
	s_wait_alu 0xfffe
	s_or_b32 exec_lo, exec_lo, s2
	v_add_co_u32 v169, vcc_lo, 0xffffff02, v165
	s_wait_alu 0xfffd
	v_add_co_ci_u32_e64 v170, null, -1, v166, vcc_lo
	s_mov_b32 s2, exec_lo
	v_cmpx_gt_i64_e64 s[4:5], v[169:170]
	s_cbranch_execz .LBB59_97
; %bb.96:                               ;   in Loop: Header=BB59_88 Depth=1
	v_add_co_u32 v169, vcc_lo, v161, v94
	s_wait_alu 0xfffd
	v_add_co_ci_u32_e64 v170, null, v162, v95, vcc_lo
	v_add_co_u32 v171, vcc_lo, v163, v94
	s_wait_alu 0xfffd
	v_add_co_ci_u32_e64 v172, null, v164, v95, vcc_lo
	global_load_b32 v3, v[169:170], off
	global_load_b32 v19, v[171:172], off
.LBB59_97:                              ;   in Loop: Header=BB59_88 Depth=1
	s_wait_alu 0xfffe
	s_or_b32 exec_lo, exec_lo, s2
	v_add_co_u32 v169, vcc_lo, 0xffffff03, v165
	s_wait_alu 0xfffd
	v_add_co_ci_u32_e64 v170, null, -1, v166, vcc_lo
	s_mov_b32 s2, exec_lo
	v_cmpx_gt_i64_e64 s[4:5], v[169:170]
	s_cbranch_execz .LBB59_99
; %bb.98:                               ;   in Loop: Header=BB59_88 Depth=1
	v_add_co_u32 v169, vcc_lo, v156, v94
	s_wait_alu 0xfffd
	v_add_co_ci_u32_e64 v170, null, v157, v95, vcc_lo
	v_add_co_u32 v171, vcc_lo, v158, v94
	s_wait_alu 0xfffd
	v_add_co_ci_u32_e64 v172, null, v159, v95, vcc_lo
	global_load_b32 v4, v[169:170], off
	global_load_b32 v20, v[171:172], off
.LBB59_99:                              ;   in Loop: Header=BB59_88 Depth=1
	s_wait_alu 0xfffe
	s_or_b32 exec_lo, exec_lo, s2
	v_add_co_u32 v169, vcc_lo, 0xffffff04, v165
	s_wait_alu 0xfffd
	v_add_co_ci_u32_e64 v170, null, -1, v166, vcc_lo
	s_mov_b32 s2, exec_lo
	v_cmpx_gt_i64_e64 s[4:5], v[169:170]
	s_cbranch_execz .LBB59_101
; %bb.100:                              ;   in Loop: Header=BB59_88 Depth=1
	v_add_co_u32 v169, vcc_lo, v152, v94
	s_wait_alu 0xfffd
	v_add_co_ci_u32_e64 v170, null, v153, v95, vcc_lo
	v_add_co_u32 v171, vcc_lo, v154, v94
	s_wait_alu 0xfffd
	v_add_co_ci_u32_e64 v172, null, v155, v95, vcc_lo
	global_load_b32 v5, v[169:170], off
	global_load_b32 v21, v[171:172], off
.LBB59_101:                             ;   in Loop: Header=BB59_88 Depth=1
	s_wait_alu 0xfffe
	s_or_b32 exec_lo, exec_lo, s2
	v_add_co_u32 v169, vcc_lo, 0xffffff05, v165
	s_wait_alu 0xfffd
	v_add_co_ci_u32_e64 v170, null, -1, v166, vcc_lo
	s_mov_b32 s2, exec_lo
	v_cmpx_gt_i64_e64 s[4:5], v[169:170]
	s_cbranch_execz .LBB59_103
; %bb.102:                              ;   in Loop: Header=BB59_88 Depth=1
	v_add_co_u32 v169, vcc_lo, v148, v94
	s_wait_alu 0xfffd
	v_add_co_ci_u32_e64 v170, null, v149, v95, vcc_lo
	v_add_co_u32 v171, vcc_lo, v150, v94
	s_wait_alu 0xfffd
	v_add_co_ci_u32_e64 v172, null, v151, v95, vcc_lo
	global_load_b32 v6, v[169:170], off
	global_load_b32 v22, v[171:172], off
.LBB59_103:                             ;   in Loop: Header=BB59_88 Depth=1
	;; [unrolled: 18-line block ×13, first 2 shown]
	s_wait_alu 0xfffe
	s_or_b32 exec_lo, exec_lo, s2
	s_wait_loadcnt 0x1
	ds_bpermute_b32 v169, v1, v168
	ds_bpermute_b32 v170, v1, v168 offset:4
	s_wait_loadcnt 0x0
	ds_bpermute_b32 v171, v1, v167
	ds_bpermute_b32 v174, v1, v168 offset:8
	ds_bpermute_b32 v173, v1, v167 offset:4
	;; [unrolled: 1-line block ×15, first 2 shown]
	s_mov_b32 s2, 0
	s_wait_dscnt 0x10
	v_dual_sub_f32 v18, v18, v169 :: v_dual_sub_f32 v19, v19, v170
	v_add_f32_e32 v172, v96, v2
	s_wait_dscnt 0xe
	v_sub_f32_e32 v20, v20, v174
	ds_bpermute_b32 v169, v1, v167 offset:32
	v_dual_mul_f32 v2, v2, v18 :: v_dual_mul_f32 v19, v3, v19
	v_add_f32_e32 v3, v3, v172
	s_wait_dscnt 0xd
	v_dual_sub_f32 v21, v21, v177 :: v_dual_mul_f32 v20, v4, v20
	s_delay_alu instid0(VALU_DEP_3)
	v_fma_f32 v2, v2, v171, v99
	ds_bpermute_b32 v18, v1, v168 offset:36
	ds_bpermute_b32 v171, v1, v168 offset:40
	v_mul_f32_e32 v21, v5, v21
	ds_bpermute_b32 v170, v1, v167 offset:40
	v_dual_fmac_f32 v2, v19, v173 :: v_dual_add_f32 v3, v4, v3
	s_wait_dscnt 0xe
	v_sub_f32_e32 v4, v22, v179
	ds_bpermute_b32 v19, v1, v167 offset:44
	v_add_f32_e32 v3, v5, v3
	s_wait_dscnt 0xe
	v_dual_sub_f32 v5, v23, v181 :: v_dual_fmac_f32 v2, v20, v175
	v_mul_f32_e32 v4, v6, v4
	ds_bpermute_b32 v20, v1, v168 offset:44
	v_add_f32_e32 v3, v6, v3
	s_wait_dscnt 0xe
	v_dual_mul_f32 v5, v7, v5 :: v_dual_fmac_f32 v2, v21, v176
	s_wait_dscnt 0xc
	v_sub_f32_e32 v6, v24, v183
	ds_bpermute_b32 v21, v1, v167 offset:48
	s_wait_dscnt 0xc
	v_dual_add_f32 v3, v7, v3 :: v_dual_sub_f32 v22, v25, v185
	v_fmac_f32_e32 v2, v4, v178
	s_wait_dscnt 0xb
	v_sub_f32_e32 v7, v26, v186
	v_mul_f32_e32 v6, v8, v6
	s_wait_dscnt 0x5
	v_dual_add_f32 v3, v8, v3 :: v_dual_sub_f32 v8, v27, v18
	ds_bpermute_b32 v4, v1, v168 offset:48
	v_mul_f32_e32 v7, v10, v7
	s_wait_dscnt 0x5
	v_sub_f32_e32 v18, v28, v171
	v_add_f32_e32 v3, v9, v3
	v_fmac_f32_e32 v2, v5, v180
	ds_bpermute_b32 v5, v1, v167 offset:52
	v_dual_add_f32 v3, v10, v3 :: v_dual_mul_f32 v22, v9, v22
	ds_bpermute_b32 v9, v1, v168 offset:56
	v_mul_f32_e32 v8, v11, v8
	v_dual_add_f32 v3, v11, v3 :: v_dual_fmac_f32 v2, v6, v182
	ds_bpermute_b32 v6, v1, v168 offset:52
	ds_bpermute_b32 v11, v1, v167 offset:60
	v_dual_add_f32 v3, v12, v3 :: v_dual_fmac_f32 v2, v22, v184
	s_delay_alu instid0(VALU_DEP_1)
	v_dual_add_f32 v3, v13, v3 :: v_dual_fmac_f32 v2, v7, v169
	ds_bpermute_b32 v7, v1, v168 offset:60
	v_dual_add_f32 v3, v14, v3 :: v_dual_mul_f32 v18, v12, v18
	s_wait_dscnt 0x3
	v_dual_sub_f32 v9, v32, v9 :: v_dual_sub_f32 v10, v29, v20
	v_fmac_f32_e32 v2, v8, v187
	ds_bpermute_b32 v8, v1, v167 offset:56
	v_dual_add_f32 v3, v15, v3 :: v_dual_sub_f32 v4, v30, v4
	v_mul_f32_e32 v10, v13, v10
	v_fmac_f32_e32 v2, v18, v170
	s_wait_dscnt 0x3
	s_delay_alu instid0(VALU_DEP_3) | instskip(SKIP_1) | instid1(VALU_DEP_3)
	v_dual_sub_f32 v6, v31, v6 :: v_dual_add_f32 v3, v16, v3
	v_mul_f32_e32 v4, v14, v4
	v_fmac_f32_e32 v2, v10, v19
	s_delay_alu instid0(VALU_DEP_3) | instskip(NEXT) | instid1(VALU_DEP_2)
	v_mul_f32_e32 v6, v15, v6
	v_fmac_f32_e32 v2, v4, v21
	s_wait_dscnt 0x1
	v_dual_sub_f32 v4, v33, v7 :: v_dual_mul_f32 v7, v16, v9
	s_delay_alu instid0(VALU_DEP_2) | instskip(NEXT) | instid1(VALU_DEP_2)
	v_fmac_f32_e32 v2, v6, v5
	v_mul_f32_e32 v4, v17, v4
	s_wait_dscnt 0x0
	s_delay_alu instid0(VALU_DEP_2) | instskip(NEXT) | instid1(VALU_DEP_2)
	v_fmac_f32_e32 v2, v7, v8
	v_mul_f32_e32 v4, v4, v11
.LBB59_126:                             ;   in Loop: Header=BB59_88 Depth=1
	s_wait_alu 0xfffe
	s_and_b32 vcc_lo, exec_lo, s2
	s_wait_alu 0xfffe
	s_cbranch_vccz .LBB59_87
; %bb.127:                              ;   in Loop: Header=BB59_88 Depth=1
	s_load_b32 s2, s[10:11], 0x0
	v_dual_mov_b32 v4, 0 :: v_dual_mov_b32 v5, 0
	s_wait_kmcnt 0x0
	s_cmp_lt_u32 ttmp9, s2
	s_cselect_b32 s2, 12, 18
	s_wait_alu 0xfffe
	s_add_nc_u64 s[22:23], s[10:11], s[2:3]
	s_load_u16 s2, s[22:23], 0x0
	s_wait_kmcnt 0x0
	v_mad_u32_u24 v2, v97, s2, v160
	s_mov_b32 s2, exec_lo
	s_delay_alu instid0(VALU_DEP_1) | instskip(NEXT) | instid1(VALU_DEP_1)
	v_and_b32_e32 v2, 31, v2
	v_cmpx_gt_u32_e32 16, v2
	s_cbranch_execz .LBB59_86
; %bb.128:                              ;   in Loop: Header=BB59_88 Depth=1
	v_add_co_u32 v2, vcc_lo, v165, v2
	s_wait_alu 0xfffd
	v_add_co_ci_u32_e64 v3, null, 0, v166, vcc_lo
	v_dual_mov_b32 v5, 0 :: v_dual_mov_b32 v4, 0
	s_delay_alu instid0(VALU_DEP_3) | instskip(SKIP_1) | instid1(VALU_DEP_3)
	v_add_co_u32 v2, vcc_lo, 0xffffff01, v2
	s_wait_alu 0xfffd
	v_add_co_ci_u32_e64 v3, null, -1, v3, vcc_lo
	s_mov_b32 s22, exec_lo
	v_cmpx_gt_i64_e64 s[4:5], v[2:3]
	s_cbranch_execz .LBB59_85
; %bb.129:                              ;   in Loop: Header=BB59_88 Depth=1
	v_lshlrev_b64_e32 v[2:3], 2, v[2:3]
	s_delay_alu instid0(VALU_DEP_1) | instskip(SKIP_1) | instid1(VALU_DEP_2)
	v_add_co_u32 v4, vcc_lo, s12, v2
	s_wait_alu 0xfffd
	v_add_co_ci_u32_e64 v5, null, s13, v3, vcc_lo
	v_add_co_u32 v2, vcc_lo, s14, v2
	s_wait_alu 0xfffd
	v_add_co_ci_u32_e64 v3, null, s15, v3, vcc_lo
	global_load_b32 v5, v[4:5], off
	global_load_b32 v4, v[2:3], off
	s_branch .LBB59_85
.LBB59_130:
	v_and_b32_e32 v8, 0x3ff, v0
	v_bfe_u32 v0, v0, 10, 10
	s_mov_b32 s2, exec_lo
	s_delay_alu instid0(VALU_DEP_1) | instskip(NEXT) | instid1(VALU_DEP_1)
	v_mad_u32_u24 v1, 0x41, v0, v8
	v_lshl_add_u32 v2, v1, 2, 0
	v_sub_nc_u32_e32 v3, v1, v0
	ds_store_b32 v2, v99
	ds_store_b32 v2, v96 offset:4160
	s_wait_dscnt 0x0
	s_barrier_signal -1
	s_barrier_wait -1
	global_inv scope:SCOPE_SE
	v_cmpx_gt_u32_e32 0x800, v3
	s_cbranch_execz .LBB59_146
; %bb.131:
	s_load_b128 s[8:11], s[0:1], 0x30
	v_and_b32_e32 v0, 31, v8
	v_lshrrev_b32_e32 v2, 5, v3
                                        ; implicit-def: $vgpr1
	s_delay_alu instid0(VALU_DEP_2)
	v_cmp_gt_u32_e64 s0, 16, v0
	v_mul_u32_u24_e32 v4, 0x41, v0
                                        ; implicit-def: $vgpr0
	s_and_saveexec_b32 s1, s0
	s_cbranch_execz .LBB59_133
; %bb.132:
	s_delay_alu instid0(VALU_DEP_1) | instskip(NEXT) | instid1(VALU_DEP_1)
	v_add_nc_u32_e32 v0, v2, v4
	v_lshl_add_u32 v0, v0, 2, 0
	ds_load_b32 v1, v0
	ds_load_b32 v0, v0 offset:4160
.LBB59_133:
	s_or_b32 exec_lo, exec_lo, s1
	v_mbcnt_lo_u32_b32 v9, -1, 0
	s_mov_b32 s2, ttmp9
	s_mov_b32 s3, 0
	v_cmp_eq_u32_e64 s1, 0, v8
	s_wait_alu 0xfffe
	s_lshl_b64 s[2:3], s[2:3], 6
	v_xor_b32_e32 v5, 8, v9
	v_xor_b32_e32 v6, 4, v9
	;; [unrolled: 1-line block ×3, first 2 shown]
	s_wait_kmcnt 0x0
	s_cmp_lg_u64 s[8:9], 0
	s_cselect_b32 s5, -1, 0
	v_cmp_gt_i32_e32 vcc_lo, 32, v5
	s_cmp_lg_u64 s[10:11], 0
	s_cselect_b32 s4, -1, 0
	s_wait_alu 0xfffd
	v_cndmask_b32_e32 v5, v9, v5, vcc_lo
	v_cmp_gt_i32_e32 vcc_lo, 32, v6
	s_wait_alu 0xfffd
	v_cndmask_b32_e32 v6, v9, v6, vcc_lo
	s_delay_alu instid0(VALU_DEP_1)
	v_lshlrev_b32_e32 v6, 2, v6
	v_lshlrev_b32_e32 v5, 2, v5
	s_wait_dscnt 0x0
	ds_bpermute_b32 v10, v5, v0
	s_wait_dscnt 0x0
	v_add_f32_e32 v0, v0, v10
	ds_bpermute_b32 v7, v5, v1
	ds_bpermute_b32 v11, v6, v0
	s_wait_dscnt 0x1
	v_add_f32_e32 v1, v1, v7
	v_xor_b32_e32 v7, 2, v9
	s_wait_dscnt 0x0
	v_add_f32_e32 v0, v0, v11
	ds_bpermute_b32 v10, v6, v1
	v_cmp_gt_i32_e32 vcc_lo, 32, v7
	s_wait_alu 0xfffd
	v_cndmask_b32_e32 v7, v9, v7, vcc_lo
	v_cmp_gt_i32_e32 vcc_lo, 32, v12
	s_delay_alu instid0(VALU_DEP_2)
	v_lshlrev_b32_e32 v7, 2, v7
	s_wait_alu 0xfffd
	v_cndmask_b32_e32 v9, v9, v12, vcc_lo
	ds_bpermute_b32 v11, v7, v0
	s_wait_dscnt 0x1
	v_add_f32_e32 v1, v1, v10
	ds_bpermute_b32 v10, v7, v1
	v_lshlrev_b32_e32 v9, 2, v9
	s_wait_dscnt 0x1
	v_add_f32_e32 v11, v0, v11
	s_wait_alu 0xfffe
	v_or_b32_e32 v0, s2, v2
	s_wait_dscnt 0x0
	v_add_f32_e32 v10, v1, v10
	ds_bpermute_b32 v13, v9, v11
	v_mov_b32_e32 v1, s3
	ds_bpermute_b32 v12, v9, v10
	v_cmp_gt_i64_e32 vcc_lo, s[6:7], v[0:1]
	s_and_b32 s13, s1, vcc_lo
	s_wait_dscnt 0x0
	v_add_f32_e32 v8, v10, v12
	v_add_f32_e32 v10, v11, v13
	s_wait_alu 0xfffe
	s_and_saveexec_b32 s12, s13
	s_cbranch_execz .LBB59_138
; %bb.134:
	v_lshlrev_b64_e32 v[0:1], 2, v[0:1]
	s_and_not1_b32 vcc_lo, exec_lo, s5
	s_wait_alu 0xfffe
	s_cbranch_vccnz .LBB59_136
; %bb.135:
	s_delay_alu instid0(VALU_DEP_1)
	v_add_co_u32 v11, vcc_lo, s8, v0
	s_wait_alu 0xfffd
	v_add_co_ci_u32_e64 v12, null, s9, v1, vcc_lo
	global_store_b32 v[11:12], v8, off
.LBB59_136:
	s_and_not1_b32 vcc_lo, exec_lo, s4
	s_wait_alu 0xfffe
	s_cbranch_vccnz .LBB59_138
; %bb.137:
	v_add_co_u32 v0, vcc_lo, s10, v0
	s_wait_alu 0xfffd
	v_add_co_ci_u32_e64 v1, null, s11, v1, vcc_lo
	global_store_b32 v[0:1], v10, off
.LBB59_138:
	s_wait_alu 0xfffe
	s_or_b32 exec_lo, exec_lo, s12
	v_cmp_gt_u32_e32 vcc_lo, 0x400, v3
	s_and_b32 exec_lo, exec_lo, vcc_lo
	s_cbranch_execz .LBB59_146
; %bb.139:
	s_and_saveexec_b32 s12, s0
	s_cbranch_execz .LBB59_141
; %bb.140:
	v_add_nc_u32_e32 v0, v2, v4
	s_delay_alu instid0(VALU_DEP_1)
	v_lshl_add_u32 v0, v0, 2, 0
	ds_load_b32 v8, v0 offset:128
	ds_load_b32 v10, v0 offset:4288
.LBB59_141:
	s_wait_alu 0xfffe
	s_or_b32 exec_lo, exec_lo, s12
	s_wait_dscnt 0x1
	ds_bpermute_b32 v0, v5, v8
	s_wait_dscnt 0x1
	ds_bpermute_b32 v1, v5, v10
	s_wait_dscnt 0x1
	v_dual_add_f32 v0, v8, v0 :: v_dual_add_nc_u32 v5, 32, v2
	s_wait_dscnt 0x0
	v_add_f32_e32 v1, v10, v1
	ds_bpermute_b32 v3, v6, v0
	ds_bpermute_b32 v4, v6, v1
	v_mov_b32_e32 v6, s3
	v_or_b32_e32 v5, s2, v5
	s_delay_alu instid0(VALU_DEP_1)
	v_cmp_gt_i64_e32 vcc_lo, s[6:7], v[5:6]
	s_and_b32 s0, s1, vcc_lo
	s_wait_dscnt 0x0
	v_dual_add_f32 v0, v0, v3 :: v_dual_add_f32 v1, v1, v4
	ds_bpermute_b32 v3, v7, v0
	ds_bpermute_b32 v4, v7, v1
	s_wait_dscnt 0x0
	v_dual_add_f32 v3, v0, v3 :: v_dual_add_f32 v0, v1, v4
	ds_bpermute_b32 v4, v9, v3
	ds_bpermute_b32 v1, v9, v0
	s_and_b32 exec_lo, exec_lo, s0
	s_cbranch_execz .LBB59_146
; %bb.142:
	s_and_not1_b32 vcc_lo, exec_lo, s5
	s_wait_alu 0xfffe
	s_cbranch_vccnz .LBB59_144
; %bb.143:
	v_add_co_u32 v5, s0, s2, v2
	s_delay_alu instid0(VALU_DEP_1) | instskip(SKIP_2) | instid1(VALU_DEP_2)
	v_add_co_ci_u32_e64 v6, null, s3, 0, s0
	s_wait_dscnt 0x1
	v_add_f32_e32 v7, v3, v4
	v_lshlrev_b64_e32 v[5:6], 2, v[5:6]
	s_delay_alu instid0(VALU_DEP_1) | instskip(SKIP_1) | instid1(VALU_DEP_2)
	v_add_co_u32 v3, vcc_lo, s8, v5
	s_wait_alu 0xfffd
	v_add_co_ci_u32_e64 v4, null, s9, v6, vcc_lo
	global_store_b32 v[3:4], v7, off offset:128
.LBB59_144:
	s_and_not1_b32 vcc_lo, exec_lo, s4
	s_wait_alu 0xfffe
	s_cbranch_vccnz .LBB59_146
; %bb.145:
	v_add_co_u32 v2, s0, s2, v2
	s_wait_alu 0xf1ff
	v_add_co_ci_u32_e64 v3, null, s3, 0, s0
	s_wait_dscnt 0x0
	v_add_f32_e32 v4, v0, v1
	s_delay_alu instid0(VALU_DEP_2) | instskip(NEXT) | instid1(VALU_DEP_1)
	v_lshlrev_b64_e32 v[2:3], 2, v[2:3]
	v_add_co_u32 v0, vcc_lo, s10, v2
	s_wait_alu 0xfffd
	s_delay_alu instid0(VALU_DEP_2)
	v_add_co_ci_u32_e64 v1, null, s11, v3, vcc_lo
	global_store_b32 v[0:1], v4, off offset:128
.LBB59_146:
	s_nop 0
	s_sendmsg sendmsg(MSG_DEALLOC_VGPRS)
	s_endpgm
	.section	.rodata,"a",@progbits
	.p2align	6, 0x0
	.amdhsa_kernel _ZN2at6native12_GLOBAL__N_135GammaBetaBackwardCUDAKernelTemplateIffLj64ELj16ELj256ELb0ELb0ELb0EEEvllPKT_S5_PKT0_S8_PS3_S9_
		.amdhsa_group_segment_fixed_size 0
		.amdhsa_private_segment_fixed_size 0
		.amdhsa_kernarg_size 320
		.amdhsa_user_sgpr_count 2
		.amdhsa_user_sgpr_dispatch_ptr 0
		.amdhsa_user_sgpr_queue_ptr 0
		.amdhsa_user_sgpr_kernarg_segment_ptr 1
		.amdhsa_user_sgpr_dispatch_id 0
		.amdhsa_user_sgpr_private_segment_size 0
		.amdhsa_wavefront_size32 1
		.amdhsa_uses_dynamic_stack 0
		.amdhsa_enable_private_segment 0
		.amdhsa_system_sgpr_workgroup_id_x 1
		.amdhsa_system_sgpr_workgroup_id_y 1
		.amdhsa_system_sgpr_workgroup_id_z 0
		.amdhsa_system_sgpr_workgroup_info 0
		.amdhsa_system_vgpr_workitem_id 1
		.amdhsa_next_free_vgpr 188
		.amdhsa_next_free_sgpr 36
		.amdhsa_reserve_vcc 1
		.amdhsa_float_round_mode_32 0
		.amdhsa_float_round_mode_16_64 0
		.amdhsa_float_denorm_mode_32 3
		.amdhsa_float_denorm_mode_16_64 3
		.amdhsa_fp16_overflow 0
		.amdhsa_workgroup_processor_mode 1
		.amdhsa_memory_ordered 1
		.amdhsa_forward_progress 1
		.amdhsa_inst_pref_size 141
		.amdhsa_round_robin_scheduling 0
		.amdhsa_exception_fp_ieee_invalid_op 0
		.amdhsa_exception_fp_denorm_src 0
		.amdhsa_exception_fp_ieee_div_zero 0
		.amdhsa_exception_fp_ieee_overflow 0
		.amdhsa_exception_fp_ieee_underflow 0
		.amdhsa_exception_fp_ieee_inexact 0
		.amdhsa_exception_int_div_zero 0
	.end_amdhsa_kernel
	.section	.text._ZN2at6native12_GLOBAL__N_135GammaBetaBackwardCUDAKernelTemplateIffLj64ELj16ELj256ELb0ELb0ELb0EEEvllPKT_S5_PKT0_S8_PS3_S9_,"axG",@progbits,_ZN2at6native12_GLOBAL__N_135GammaBetaBackwardCUDAKernelTemplateIffLj64ELj16ELj256ELb0ELb0ELb0EEEvllPKT_S5_PKT0_S8_PS3_S9_,comdat
.Lfunc_end59:
	.size	_ZN2at6native12_GLOBAL__N_135GammaBetaBackwardCUDAKernelTemplateIffLj64ELj16ELj256ELb0ELb0ELb0EEEvllPKT_S5_PKT0_S8_PS3_S9_, .Lfunc_end59-_ZN2at6native12_GLOBAL__N_135GammaBetaBackwardCUDAKernelTemplateIffLj64ELj16ELj256ELb0ELb0ELb0EEEvllPKT_S5_PKT0_S8_PS3_S9_
                                        ; -- End function
	.set _ZN2at6native12_GLOBAL__N_135GammaBetaBackwardCUDAKernelTemplateIffLj64ELj16ELj256ELb0ELb0ELb0EEEvllPKT_S5_PKT0_S8_PS3_S9_.num_vgpr, 188
	.set _ZN2at6native12_GLOBAL__N_135GammaBetaBackwardCUDAKernelTemplateIffLj64ELj16ELj256ELb0ELb0ELb0EEEvllPKT_S5_PKT0_S8_PS3_S9_.num_agpr, 0
	.set _ZN2at6native12_GLOBAL__N_135GammaBetaBackwardCUDAKernelTemplateIffLj64ELj16ELj256ELb0ELb0ELb0EEEvllPKT_S5_PKT0_S8_PS3_S9_.numbered_sgpr, 36
	.set _ZN2at6native12_GLOBAL__N_135GammaBetaBackwardCUDAKernelTemplateIffLj64ELj16ELj256ELb0ELb0ELb0EEEvllPKT_S5_PKT0_S8_PS3_S9_.num_named_barrier, 0
	.set _ZN2at6native12_GLOBAL__N_135GammaBetaBackwardCUDAKernelTemplateIffLj64ELj16ELj256ELb0ELb0ELb0EEEvllPKT_S5_PKT0_S8_PS3_S9_.private_seg_size, 0
	.set _ZN2at6native12_GLOBAL__N_135GammaBetaBackwardCUDAKernelTemplateIffLj64ELj16ELj256ELb0ELb0ELb0EEEvllPKT_S5_PKT0_S8_PS3_S9_.uses_vcc, 1
	.set _ZN2at6native12_GLOBAL__N_135GammaBetaBackwardCUDAKernelTemplateIffLj64ELj16ELj256ELb0ELb0ELb0EEEvllPKT_S5_PKT0_S8_PS3_S9_.uses_flat_scratch, 0
	.set _ZN2at6native12_GLOBAL__N_135GammaBetaBackwardCUDAKernelTemplateIffLj64ELj16ELj256ELb0ELb0ELb0EEEvllPKT_S5_PKT0_S8_PS3_S9_.has_dyn_sized_stack, 0
	.set _ZN2at6native12_GLOBAL__N_135GammaBetaBackwardCUDAKernelTemplateIffLj64ELj16ELj256ELb0ELb0ELb0EEEvllPKT_S5_PKT0_S8_PS3_S9_.has_recursion, 0
	.set _ZN2at6native12_GLOBAL__N_135GammaBetaBackwardCUDAKernelTemplateIffLj64ELj16ELj256ELb0ELb0ELb0EEEvllPKT_S5_PKT0_S8_PS3_S9_.has_indirect_call, 0
	.section	.AMDGPU.csdata,"",@progbits
; Kernel info:
; codeLenInByte = 18028
; TotalNumSgprs: 38
; NumVgprs: 188
; ScratchSize: 0
; MemoryBound: 0
; FloatMode: 240
; IeeeMode: 1
; LDSByteSize: 0 bytes/workgroup (compile time only)
; SGPRBlocks: 0
; VGPRBlocks: 23
; NumSGPRsForWavesPerEU: 38
; NumVGPRsForWavesPerEU: 188
; Occupancy: 8
; WaveLimiterHint : 0
; COMPUTE_PGM_RSRC2:SCRATCH_EN: 0
; COMPUTE_PGM_RSRC2:USER_SGPR: 2
; COMPUTE_PGM_RSRC2:TRAP_HANDLER: 0
; COMPUTE_PGM_RSRC2:TGID_X_EN: 1
; COMPUTE_PGM_RSRC2:TGID_Y_EN: 1
; COMPUTE_PGM_RSRC2:TGID_Z_EN: 0
; COMPUTE_PGM_RSRC2:TIDIG_COMP_CNT: 1
	.section	.text._ZN2at6native12_GLOBAL__N_135GammaBetaBackwardCUDAKernelTemplateIffLj32ELj1ELj32ELb1ELb1ELb0EEEvllPKT_S5_PKT0_S8_PS3_S9_,"axG",@progbits,_ZN2at6native12_GLOBAL__N_135GammaBetaBackwardCUDAKernelTemplateIffLj32ELj1ELj32ELb1ELb1ELb0EEEvllPKT_S5_PKT0_S8_PS3_S9_,comdat
	.globl	_ZN2at6native12_GLOBAL__N_135GammaBetaBackwardCUDAKernelTemplateIffLj32ELj1ELj32ELb1ELb1ELb0EEEvllPKT_S5_PKT0_S8_PS3_S9_ ; -- Begin function _ZN2at6native12_GLOBAL__N_135GammaBetaBackwardCUDAKernelTemplateIffLj32ELj1ELj32ELb1ELb1ELb0EEEvllPKT_S5_PKT0_S8_PS3_S9_
	.p2align	8
	.type	_ZN2at6native12_GLOBAL__N_135GammaBetaBackwardCUDAKernelTemplateIffLj32ELj1ELj32ELb1ELb1ELb0EEEvllPKT_S5_PKT0_S8_PS3_S9_,@function
_ZN2at6native12_GLOBAL__N_135GammaBetaBackwardCUDAKernelTemplateIffLj32ELj1ELj32ELb1ELb1ELb0EEEvllPKT_S5_PKT0_S8_PS3_S9_: ; @_ZN2at6native12_GLOBAL__N_135GammaBetaBackwardCUDAKernelTemplateIffLj32ELj1ELj32ELb1ELb1ELb0EEEvllPKT_S5_PKT0_S8_PS3_S9_
; %bb.0:
	s_load_b128 s[8:11], s[0:1], 0x0
	s_lshl_b32 s16, ttmp7, 5
	s_mov_b32 s17, 0
	v_bfe_u32 v6, v0, 10, 10
	s_add_nc_u64 s[18:19], s[0:1], 64
	s_wait_kmcnt 0x0
	v_cmp_gt_i64_e64 s2, s[8:9], s[16:17]
	s_and_b32 vcc_lo, exec_lo, s2
	s_cbranch_vccnz .LBB60_2
; %bb.1:
	v_bfe_u32 v1, v0, 10, 10
	s_add_nc_u64 s[2:3], s[0:1], 64
	s_mov_b32 s4, s17
	s_branch .LBB60_3
.LBB60_2:
	s_mov_b32 s4, -1
                                        ; implicit-def: $sgpr2_sgpr3
                                        ; implicit-def: $vgpr1
.LBB60_3:
	s_load_b128 s[12:15], s[0:1], 0x30
	v_dual_mov_b32 v26, 0 :: v_dual_and_b32 v7, 0x3ff, v0
	v_mov_b32_e32 v43, 0
	s_and_not1_b32 vcc_lo, exec_lo, s4
	s_cbranch_vccnz .LBB60_9
; %bb.4:
	s_clause 0x2
	s_load_b32 s20, s[0:1], 0x4c
	s_load_b32 s22, s[0:1], 0x44
	s_load_b256 s[0:7], s[0:1], 0x10
	v_dual_mov_b32 v1, 0 :: v_dual_lshlrev_b32 v2, 5, v6
	v_lshl_add_u32 v0, ttmp9, 5, v7
	s_mov_b32 s21, 0
	v_dual_mov_b32 v8, 4 :: v_dual_mov_b32 v9, 8
	v_dual_mov_b32 v10, 12 :: v_dual_mov_b32 v11, 16
	s_delay_alu instid0(VALU_DEP_3)
	v_lshlrev_b64_e32 v[40:41], 2, v[0:1]
	v_dual_mov_b32 v12, 20 :: v_dual_mov_b32 v13, 24
	v_dual_mov_b32 v14, 28 :: v_dual_mov_b32 v15, 32
	v_dual_mov_b32 v16, 36 :: v_dual_mov_b32 v17, 40
	v_dual_mov_b32 v18, 44 :: v_dual_mov_b32 v19, 48
	s_wait_kmcnt 0x0
	s_and_b32 s20, s20, 0xffff
	v_dual_mov_b32 v20, 52 :: v_dual_mov_b32 v21, 56
	v_mad_u32_u24 v3, v6, s20, v7
	v_add_co_u32 v42, s20, v2, s16
	s_wait_alu 0xf1ff
	v_add_co_ci_u32_e64 v43, null, 0, 0, s20
	s_delay_alu instid0(VALU_DEP_3) | instskip(NEXT) | instid1(VALU_DEP_3)
	v_dual_mov_b32 v25, 0x48 :: v_dual_and_b32 v26, 31, v3
	v_mul_lo_u32 v4, s11, v42
	s_delay_alu instid0(VALU_DEP_3)
	v_mul_lo_u32 v5, s10, v43
	v_mad_co_u64_u32 v[2:3], null, s10, v42, 0
	s_lshl_b32 s20, s22, 5
	v_dual_mov_b32 v22, 60 :: v_dual_mov_b32 v23, 64
	v_mov_b32_e32 v24, 0x44
	v_mov_b32_e32 v27, 0x4c
	;; [unrolled: 1-line block ×3, first 2 shown]
	v_add3_u32 v3, v3, v5, v4
	v_mov_b32_e32 v29, 0x54
	v_mov_b32_e32 v30, 0x58
	;; [unrolled: 1-line block ×4, first 2 shown]
	v_lshlrev_b64_e32 v[4:5], 2, v[2:3]
	v_add_co_u32 v2, vcc_lo, v42, v26
	s_delay_alu instid0(VALU_DEP_1) | instskip(SKIP_1) | instid1(VALU_DEP_4)
	v_add_co_ci_u32_e64 v3, null, 0, v43, vcc_lo
	v_mov_b32_e32 v33, 0x64
	v_add_co_u32 v0, vcc_lo, v4, v40
	s_wait_alu 0xfffd
	v_add_co_ci_u32_e64 v40, null, v5, v41, vcc_lo
	v_lshlrev_b64_e32 v[4:5], 2, v[2:3]
	v_mov_b32_e32 v34, 0x68
	v_mov_b32_e32 v35, 0x6c
	;; [unrolled: 1-line block ×5, first 2 shown]
	v_dual_mov_b32 v39, 0x7c :: v_dual_mov_b32 v26, 0
	v_mov_b32_e32 v43, 0
	s_wait_alu 0xfffe
	s_mul_u64 s[22:23], s[10:11], s[20:21]
	s_lshl_b64 s[24:25], s[20:21], 2
	s_lshl_b64 s[22:23], s[22:23], 2
	;; [unrolled: 1-line block ×3, first 2 shown]
	s_branch .LBB60_6
.LBB60_5:                               ;   in Loop: Header=BB60_6 Depth=1
	s_or_b32 exec_lo, exec_lo, s28
	v_add_co_u32 v44, vcc_lo, s2, v0
	s_wait_alu 0xfffd
	v_add_co_ci_u32_e64 v45, null, s3, v40, vcc_lo
	v_add_co_u32 v47, vcc_lo, s0, v0
	s_wait_alu 0xfffd
	v_add_co_ci_u32_e64 v48, null, s1, v40, vcc_lo
	global_load_b32 v46, v[44:45], off
	v_add_co_u32 v44, vcc_lo, v44, s26
	s_wait_alu 0xfffd
	v_add_co_ci_u32_e64 v45, null, s27, v45, vcc_lo
	v_add_co_u32 v50, vcc_lo, v47, s26
	s_wait_alu 0xfffd
	v_add_co_ci_u32_e64 v51, null, s27, v48, vcc_lo
	;; [unrolled: 3-line block ×4, first 2 shown]
	global_load_b32 v47, v[47:48], off
	global_load_b32 v49, v[44:45], off
	;; [unrolled: 1-line block ×5, first 2 shown]
	v_add_co_u32 v50, vcc_lo, v52, s26
	s_wait_alu 0xfffd
	v_add_co_ci_u32_e64 v51, null, s27, v53, vcc_lo
	v_add_co_u32 v52, vcc_lo, v54, s26
	s_wait_alu 0xfffd
	v_add_co_ci_u32_e64 v53, null, s27, v55, vcc_lo
	global_load_b32 v54, v[50:51], off
	v_add_co_u32 v55, vcc_lo, v52, s26
	s_wait_alu 0xfffd
	v_add_co_ci_u32_e64 v56, null, s27, v53, vcc_lo
	v_add_co_u32 v57, vcc_lo, v50, s26
	s_wait_alu 0xfffd
	v_add_co_ci_u32_e64 v58, null, s27, v51, vcc_lo
	;; [unrolled: 3-line block ×4, first 2 shown]
	s_clause 0x1
	global_load_b32 v51, v[52:53], off
	global_load_b32 v50, v[55:56], off
	global_load_b32 v55, v[57:58], off
	global_load_b32 v52, v[59:60], off
	global_load_b32 v56, v[61:62], off
	v_add_co_u32 v57, vcc_lo, v59, s26
	s_wait_alu 0xfffd
	v_add_co_ci_u32_e64 v58, null, s27, v60, vcc_lo
	v_add_co_u32 v59, vcc_lo, v61, s26
	s_wait_alu 0xfffd
	v_add_co_ci_u32_e64 v60, null, s27, v62, vcc_lo
	global_load_b32 v53, v[57:58], off
	v_add_co_u32 v57, vcc_lo, v57, s26
	s_wait_alu 0xfffd
	v_add_co_ci_u32_e64 v58, null, s27, v58, vcc_lo
	v_add_co_u32 v62, vcc_lo, v59, s26
	s_wait_alu 0xfffd
	v_add_co_ci_u32_e64 v63, null, s27, v60, vcc_lo
	v_add_co_u32 v64, vcc_lo, v57, s26
	s_wait_alu 0xfffd
	v_add_co_ci_u32_e64 v65, null, s27, v58, vcc_lo
	v_add_co_u32 v66, vcc_lo, v62, s26
	s_wait_alu 0xfffd
	v_add_co_ci_u32_e64 v67, null, s27, v63, vcc_lo
	global_load_b32 v61, v[59:60], off
	global_load_b32 v57, v[57:58], off
	global_load_b32 v60, v[62:63], off
	global_load_b32 v58, v[64:65], off
	global_load_b32 v62, v[66:67], off
	v_add_co_u32 v63, vcc_lo, v64, s26
	s_wait_alu 0xfffd
	v_add_co_ci_u32_e64 v64, null, s27, v65, vcc_lo
	v_add_co_u32 v65, vcc_lo, v66, s26
	s_wait_alu 0xfffd
	v_add_co_ci_u32_e64 v66, null, s27, v67, vcc_lo
	global_load_b32 v59, v[63:64], off
	v_add_co_u32 v63, vcc_lo, v63, s26
	s_wait_alu 0xfffd
	v_add_co_ci_u32_e64 v64, null, s27, v64, vcc_lo
	v_add_co_u32 v67, vcc_lo, v65, s26
	s_wait_alu 0xfffd
	v_add_co_ci_u32_e64 v68, null, s27, v66, vcc_lo
	v_add_co_u32 v72, vcc_lo, v63, s26
	s_wait_alu 0xfffd
	v_add_co_ci_u32_e64 v73, null, s27, v64, vcc_lo
	v_add_co_u32 v74, vcc_lo, v67, s26
	s_wait_alu 0xfffd
	v_add_co_ci_u32_e64 v75, null, s27, v68, vcc_lo
	;; [unrolled: 24-line block ×3, first 2 shown]
	global_load_b32 v77, v[72:73], off
	global_load_b32 v66, v[66:67], off
	;; [unrolled: 1-line block ×5, first 2 shown]
	v_add_co_u32 v72, vcc_lo, v78, s26
	s_wait_alu 0xfffd
	v_add_co_ci_u32_e64 v73, null, s27, v79, vcc_lo
	v_add_co_u32 v78, vcc_lo, v80, s26
	s_wait_alu 0xfffd
	v_add_co_ci_u32_e64 v79, null, s27, v81, vcc_lo
	global_load_b32 v69, v[72:73], off
	v_add_co_u32 v72, vcc_lo, v72, s26
	s_wait_alu 0xfffd
	v_add_co_ci_u32_e64 v73, null, s27, v73, vcc_lo
	v_add_co_u32 v81, vcc_lo, v78, s26
	s_wait_alu 0xfffd
	v_add_co_ci_u32_e64 v82, null, s27, v79, vcc_lo
	;; [unrolled: 3-line block ×3, first 2 shown]
	v_add_co_u32 v85, vcc_lo, v81, s26
	global_load_b32 v80, v[78:79], off
	global_load_b32 v73, v[72:73], off
	;; [unrolled: 1-line block ×3, first 2 shown]
	s_wait_alu 0xfffd
	v_add_co_ci_u32_e64 v86, null, s27, v82, vcc_lo
	v_add_co_u32 v81, vcc_lo, v83, s26
	s_wait_alu 0xfffd
	v_add_co_ci_u32_e64 v82, null, s27, v84, vcc_lo
	global_load_b32 v74, v[83:84], off
	global_load_b32 v79, v[85:86], off
	v_add_co_u32 v83, vcc_lo, v85, s26
	s_wait_alu 0xfffd
	v_add_co_ci_u32_e64 v84, null, s27, v86, vcc_lo
	v_add_co_u32 v85, vcc_lo, v81, s26
	s_wait_alu 0xfffd
	v_add_co_ci_u32_e64 v86, null, s27, v82, vcc_lo
	global_load_b32 v72, v[81:82], off
	v_add_co_u32 v81, vcc_lo, v83, s26
	s_wait_alu 0xfffd
	v_add_co_ci_u32_e64 v82, null, s27, v84, vcc_lo
	global_load_b32 v87, v[83:84], off
	;; [unrolled: 4-line block ×7, first 2 shown]
	v_add_co_u32 v81, vcc_lo, v83, s26
	global_load_b32 v94, v[85:86], off
	s_wait_alu 0xfffd
	v_add_co_ci_u32_e64 v82, null, s27, v84, vcc_lo
	global_load_b32 v93, v[83:84], off
	v_add_co_u32 v83, vcc_lo, v85, s26
	s_wait_alu 0xfffd
	v_add_co_ci_u32_e64 v84, null, s27, v86, vcc_lo
	v_add_co_u32 v85, vcc_lo, v81, s26
	s_wait_alu 0xfffd
	v_add_co_ci_u32_e64 v86, null, s27, v82, vcc_lo
	global_load_b32 v96, v[83:84], off
	global_load_b32 v95, v[81:82], off
	v_add_co_u32 v81, vcc_lo, v83, s26
	s_wait_alu 0xfffd
	v_add_co_ci_u32_e64 v82, null, s27, v84, vcc_lo
	v_add_co_u32 v83, vcc_lo, v85, s26
	s_wait_alu 0xfffd
	v_add_co_ci_u32_e64 v84, null, s27, v86, vcc_lo
	global_load_b32 v97, v[85:86], off
	v_add_co_u32 v85, vcc_lo, v81, s26
	s_wait_alu 0xfffd
	v_add_co_ci_u32_e64 v86, null, s27, v82, vcc_lo
	global_load_b32 v98, v[81:82], off
	v_add_co_u32 v81, vcc_lo, v83, s26
	global_load_b32 v100, v[85:86], off
	s_wait_alu 0xfffd
	v_add_co_ci_u32_e64 v82, null, s27, v84, vcc_lo
	global_load_b32 v99, v[83:84], off
	v_add_co_u32 v83, vcc_lo, v85, s26
	s_wait_alu 0xfffd
	v_add_co_ci_u32_e64 v84, null, s27, v86, vcc_lo
	v_add_co_u32 v85, vcc_lo, v81, s26
	s_wait_alu 0xfffd
	v_add_co_ci_u32_e64 v86, null, s27, v82, vcc_lo
	global_load_b32 v101, v[81:82], off
	v_add_co_u32 v81, vcc_lo, v83, s26
	s_wait_alu 0xfffd
	v_add_co_ci_u32_e64 v82, null, s27, v84, vcc_lo
	global_load_b32 v102, v[83:84], off
	v_add_co_u32 v83, vcc_lo, v85, s26
	global_load_b32 v103, v[85:86], off
	s_wait_alu 0xfffd
	v_add_co_ci_u32_e64 v84, null, s27, v86, vcc_lo
	v_add_co_u32 v85, vcc_lo, v81, s26
	s_wait_alu 0xfffd
	v_add_co_ci_u32_e64 v86, null, s27, v82, vcc_lo
	global_load_b32 v104, v[81:82], off
	v_add_co_u32 v81, vcc_lo, v83, s26
	s_wait_alu 0xfffd
	v_add_co_ci_u32_e64 v82, null, s27, v84, vcc_lo
	global_load_b32 v105, v[83:84], off
	;; [unrolled: 4-line block ×8, first 2 shown]
	global_load_b32 v83, v[83:84], off
	global_load_b32 v81, v[81:82], off
	s_wait_loadcnt 0x3e
	ds_bpermute_b32 v82, v1, v42
	ds_bpermute_b32 v84, v8, v42
	;; [unrolled: 1-line block ×8, first 2 shown]
	v_add_co_u32 v0, vcc_lo, v0, s22
	s_add_nc_u64 s[16:17], s[16:17], s[20:21]
	s_wait_alu 0xfffd
	v_add_co_ci_u32_e64 v40, null, s23, v40, vcc_lo
	v_add_co_u32 v4, vcc_lo, v4, s24
	s_wait_alu 0xfffe
	v_cmp_lt_i64_e64 s28, s[16:17], s[8:9]
	s_wait_alu 0xfffd
	v_add_co_ci_u32_e64 v5, null, s25, v5, vcc_lo
	v_add_co_u32 v2, vcc_lo, v2, s20
	s_wait_alu 0xfffd
	v_add_co_ci_u32_e64 v3, null, 0, v3, vcc_lo
	s_and_b32 vcc_lo, exec_lo, s28
	s_wait_dscnt 0x7
	v_sub_f32_e32 v46, v46, v82
	ds_bpermute_b32 v82, v9, v41
	v_add_f32_e32 v43, v43, v47
	s_wait_loadcnt_dscnt 0x3d07
	v_dual_sub_f32 v49, v49, v84 :: v_dual_mul_f32 v46, v47, v46
	ds_bpermute_b32 v84, v10, v41
	s_wait_loadcnt_dscnt 0x3c07
	v_dual_add_f32 v43, v43, v45 :: v_dual_fmac_f32 v26, v46, v86
	ds_bpermute_b32 v86, v13, v42
	s_wait_loadcnt_dscnt 0x3b07
	v_sub_f32_e32 v48, v48, v111
	s_wait_loadcnt 0x3a
	v_dual_mul_f32 v46, v45, v49 :: v_dual_add_f32 v43, v43, v44
	ds_bpermute_b32 v49, v11, v41
	ds_bpermute_b32 v111, v14, v42
	s_wait_loadcnt_dscnt 0x3808
	v_dual_fmac_f32 v26, v46, v112 :: v_dual_add_f32 v43, v43, v51
	s_wait_loadcnt 0x37
	s_delay_alu instid0(VALU_DEP_1) | instskip(SKIP_1) | instid1(VALU_DEP_1)
	v_add_f32_e32 v43, v43, v50
	s_wait_loadcnt 0x35
	v_add_f32_e32 v43, v43, v52
	s_wait_loadcnt 0x33
	s_delay_alu instid0(VALU_DEP_1)
	v_add_f32_e32 v43, v43, v53
	s_wait_loadcnt_dscnt 0x3202
	v_dual_sub_f32 v47, v61, v86 :: v_dual_mul_f32 v46, v44, v48
	v_sub_f32_e32 v48, v54, v113
	ds_bpermute_b32 v54, v12, v41
	s_wait_loadcnt 0x31
	v_add_f32_e32 v43, v43, v57
	v_mul_f32_e32 v45, v53, v47
	ds_bpermute_b32 v47, v17, v42
	v_fmac_f32_e32 v26, v46, v82
	v_mul_f32_e32 v46, v51, v48
	ds_bpermute_b32 v82, v15, v42
	s_wait_loadcnt 0x2f
	v_add_f32_e32 v43, v43, v58
	s_wait_loadcnt 0x2d
	s_delay_alu instid0(VALU_DEP_1) | instskip(SKIP_1) | instid1(VALU_DEP_1)
	v_add_f32_e32 v43, v43, v59
	s_wait_loadcnt 0x2b
	v_add_f32_e32 v43, v43, v63
	s_wait_loadcnt_dscnt 0x2a01
	v_dual_sub_f32 v47, v68, v47 :: v_dual_fmac_f32 v26, v46, v84
	ds_bpermute_b32 v84, v16, v42
	v_sub_f32_e32 v48, v55, v114
	ds_bpermute_b32 v55, v13, v41
	s_wait_loadcnt 0x29
	v_add_f32_e32 v43, v43, v64
	s_wait_loadcnt 0x27
	s_delay_alu instid0(VALU_DEP_1)
	v_add_f32_e32 v43, v43, v65
	s_wait_dscnt 0x1
	v_sub_f32_e32 v51, v70, v84
	v_mul_f32_e32 v46, v50, v48
	ds_bpermute_b32 v50, v19, v42
	s_wait_loadcnt 0x25
	v_dual_add_f32 v43, v43, v66 :: v_dual_fmac_f32 v26, v46, v49
	ds_bpermute_b32 v49, v18, v42
	v_sub_f32_e32 v48, v56, v115
	ds_bpermute_b32 v56, v14, v41
	s_wait_loadcnt 0x23
	v_dual_add_f32 v43, v43, v67 :: v_dual_mul_f32 v46, v52, v48
	ds_bpermute_b32 v48, v15, v41
	ds_bpermute_b32 v52, v37, v41
	s_wait_loadcnt 0x21
	v_dual_add_f32 v43, v43, v69 :: v_dual_fmac_f32 v26, v46, v54
	v_sub_f32_e32 v46, v60, v111
	s_wait_dscnt 0x5
	s_delay_alu instid0(VALU_DEP_2) | instskip(NEXT) | instid1(VALU_DEP_2)
	v_fmac_f32_e32 v26, v45, v55
	v_mul_f32_e32 v44, v57, v46
	ds_bpermute_b32 v45, v16, v41
	v_sub_f32_e32 v46, v62, v82
	s_wait_loadcnt_dscnt 0x1f03
	v_dual_fmac_f32 v26, v44, v56 :: v_dual_add_f32 v43, v43, v73
	s_delay_alu instid0(VALU_DEP_2)
	v_mul_f32_e32 v44, v58, v46
	ds_bpermute_b32 v46, v17, v41
	s_wait_dscnt 0x3
	v_fmac_f32_e32 v26, v44, v48
	v_mul_f32_e32 v44, v59, v51
	ds_bpermute_b32 v48, v18, v41
	ds_bpermute_b32 v51, v20, v42
	s_wait_loadcnt_dscnt 0x1d03
	v_dual_add_f32 v43, v43, v74 :: v_dual_fmac_f32 v26, v44, v45
	v_mul_f32_e32 v44, v63, v47
	ds_bpermute_b32 v45, v19, v41
	v_sub_f32_e32 v47, v71, v49
	ds_bpermute_b32 v49, v21, v42
	s_wait_loadcnt_dscnt 0x1b04
	v_dual_add_f32 v43, v43, v72 :: v_dual_fmac_f32 v26, v44, v46
	ds_bpermute_b32 v44, v20, v41
	v_dual_mul_f32 v46, v64, v47 :: v_dual_sub_f32 v47, v77, v50
	ds_bpermute_b32 v50, v22, v42
	s_wait_loadcnt 0x19
	v_add_f32_e32 v43, v43, v88
	s_wait_dscnt 0x5
	v_fmac_f32_e32 v26, v46, v48
	v_mul_f32_e32 v46, v65, v47
	ds_bpermute_b32 v47, v21, v41
	s_wait_dscnt 0x5
	v_sub_f32_e32 v48, v75, v51
	ds_bpermute_b32 v51, v23, v42
	s_wait_dscnt 0x5
	v_fmac_f32_e32 v26, v46, v45
	v_mul_f32_e32 v45, v66, v48
	ds_bpermute_b32 v46, v22, v41
	s_wait_dscnt 0x5
	v_sub_f32_e32 v48, v76, v49
	ds_bpermute_b32 v49, v24, v42
	s_wait_loadcnt_dscnt 0x1705
	v_dual_add_f32 v43, v43, v90 :: v_dual_fmac_f32 v26, v45, v44
	ds_bpermute_b32 v44, v23, v41
	s_wait_dscnt 0x5
	v_dual_mul_f32 v45, v67, v48 :: v_dual_sub_f32 v48, v80, v50
	s_wait_loadcnt 0x15
	v_add_f32_e32 v43, v43, v92
	ds_bpermute_b32 v50, v25, v42
	s_wait_dscnt 0x5
	v_fmac_f32_e32 v26, v45, v47
	ds_bpermute_b32 v45, v24, v41
	s_wait_dscnt 0x5
	v_dual_mul_f32 v47, v69, v48 :: v_dual_sub_f32 v48, v78, v51
	s_wait_loadcnt 0x14
	v_add_f32_e32 v43, v43, v94
	ds_bpermute_b32 v51, v27, v42
	s_wait_dscnt 0x5
	v_fmac_f32_e32 v26, v47, v46
	ds_bpermute_b32 v46, v25, v41
	s_wait_dscnt 0x5
	v_dual_mul_f32 v47, v73, v48 :: v_dual_sub_f32 v48, v79, v49
	ds_bpermute_b32 v49, v28, v42
	s_wait_loadcnt 0x12
	v_add_f32_e32 v43, v43, v96
	s_wait_dscnt 0x5
	v_fmac_f32_e32 v26, v47, v44
	ds_bpermute_b32 v44, v27, v41
	s_wait_dscnt 0x5
	v_dual_mul_f32 v47, v74, v48 :: v_dual_sub_f32 v48, v87, v50
	ds_bpermute_b32 v50, v29, v42
	s_wait_dscnt 0x5
	v_fmac_f32_e32 v26, v47, v45
	ds_bpermute_b32 v45, v28, v41
	s_wait_dscnt 0x5
	v_dual_mul_f32 v47, v72, v48 :: v_dual_sub_f32 v48, v89, v51
	ds_bpermute_b32 v51, v30, v42
	s_wait_loadcnt 0xf
	v_add_f32_e32 v43, v43, v98
	s_wait_dscnt 0x5
	v_fmac_f32_e32 v26, v47, v46
	ds_bpermute_b32 v46, v29, v41
	s_wait_dscnt 0x5
	v_dual_mul_f32 v47, v88, v48 :: v_dual_sub_f32 v48, v91, v49
	ds_bpermute_b32 v49, v31, v42
	s_wait_loadcnt 0xe
	v_add_f32_e32 v43, v43, v100
	s_wait_dscnt 0x5
	v_fmac_f32_e32 v26, v47, v44
	ds_bpermute_b32 v44, v30, v41
	s_wait_dscnt 0x5
	v_dual_mul_f32 v47, v90, v48 :: v_dual_sub_f32 v48, v93, v50
	ds_bpermute_b32 v50, v32, v42
	s_wait_dscnt 0x5
	v_fmac_f32_e32 v26, v47, v45
	ds_bpermute_b32 v45, v31, v41
	s_wait_dscnt 0x5
	v_dual_mul_f32 v47, v92, v48 :: v_dual_sub_f32 v48, v95, v51
	ds_bpermute_b32 v51, v33, v42
	s_wait_loadcnt 0xb
	v_add_f32_e32 v43, v43, v102
	s_wait_dscnt 0x5
	v_fmac_f32_e32 v26, v47, v46
	ds_bpermute_b32 v46, v32, v41
	s_wait_dscnt 0x5
	v_dual_mul_f32 v47, v94, v48 :: v_dual_sub_f32 v48, v97, v49
	ds_bpermute_b32 v49, v34, v42
	s_wait_loadcnt 0x9
	v_add_f32_e32 v43, v43, v104
	s_wait_dscnt 0x5
	v_fmac_f32_e32 v26, v47, v44
	ds_bpermute_b32 v44, v33, v41
	s_wait_dscnt 0x5
	v_dual_mul_f32 v47, v96, v48 :: v_dual_sub_f32 v48, v99, v50
	ds_bpermute_b32 v50, v35, v42
	s_wait_dscnt 0x5
	v_dual_fmac_f32 v26, v47, v45 :: v_dual_mul_f32 v45, v98, v48
	ds_bpermute_b32 v47, v34, v41
	s_wait_dscnt 0x5
	v_sub_f32_e32 v48, v101, v51
	ds_bpermute_b32 v51, v36, v42
	s_wait_loadcnt 0x7
	v_add_f32_e32 v43, v43, v106
	s_wait_dscnt 0x5
	v_dual_fmac_f32 v26, v45, v46 :: v_dual_mul_f32 v45, v100, v48
	ds_bpermute_b32 v46, v35, v41
	s_wait_dscnt 0x5
	v_sub_f32_e32 v48, v103, v49
	ds_bpermute_b32 v49, v37, v42
	s_wait_dscnt 0x5
	v_fmac_f32_e32 v26, v45, v44
	ds_bpermute_b32 v44, v36, v41
	v_mul_f32_e32 v45, v102, v48
	ds_bpermute_b32 v48, v38, v42
	s_wait_dscnt 0x6
	v_sub_f32_e32 v50, v105, v50
	ds_bpermute_b32 v42, v39, v42
	s_wait_loadcnt_dscnt 0x406
	v_dual_add_f32 v43, v43, v109 :: v_dual_fmac_f32 v26, v45, v47
	v_mul_f32_e32 v45, v104, v50
	s_wait_dscnt 0x5
	v_sub_f32_e32 v47, v107, v51
	ds_bpermute_b32 v50, v38, v41
	ds_bpermute_b32 v41, v39, v41
	s_wait_loadcnt_dscnt 0x206
	v_dual_add_f32 v43, v43, v85 :: v_dual_fmac_f32 v26, v45, v46
	s_wait_dscnt 0x5
	v_dual_mul_f32 v45, v106, v47 :: v_dual_sub_f32 v46, v108, v49
	s_wait_loadcnt_dscnt 0x4
	s_delay_alu instid0(VALU_DEP_1) | instskip(SKIP_1) | instid1(VALU_DEP_2)
	v_dual_add_f32 v43, v43, v81 :: v_dual_fmac_f32 v26, v45, v44
	s_wait_dscnt 0x3
	v_dual_mul_f32 v44, v109, v46 :: v_dual_sub_f32 v45, v110, v48
	s_wait_dscnt 0x2
	v_sub_f32_e32 v42, v83, v42
	s_delay_alu instid0(VALU_DEP_2) | instskip(NEXT) | instid1(VALU_DEP_3)
	v_fmac_f32_e32 v26, v44, v52
	v_mul_f32_e32 v44, v85, v45
	s_delay_alu instid0(VALU_DEP_3) | instskip(SKIP_1) | instid1(VALU_DEP_2)
	v_mul_f32_e32 v42, v81, v42
	s_wait_dscnt 0x1
	v_fmac_f32_e32 v26, v44, v50
	s_wait_dscnt 0x0
	s_delay_alu instid0(VALU_DEP_1)
	v_fmac_f32_e32 v26, v42, v41
	s_wait_alu 0xfffe
	s_cbranch_vccz .LBB60_8
.LBB60_6:                               ; =>This Inner Loop Header: Depth=1
	v_dual_mov_b32 v41, 0 :: v_dual_mov_b32 v42, 0
	s_mov_b32 s28, exec_lo
	v_cmpx_gt_i64_e64 s[8:9], v[2:3]
	s_cbranch_execz .LBB60_5
; %bb.7:                                ;   in Loop: Header=BB60_6 Depth=1
	v_add_co_u32 v41, vcc_lo, s4, v4
	s_wait_alu 0xfffd
	v_add_co_ci_u32_e64 v42, null, s5, v5, vcc_lo
	v_add_co_u32 v44, vcc_lo, s6, v4
	s_wait_alu 0xfffd
	v_add_co_ci_u32_e64 v45, null, s7, v5, vcc_lo
	global_load_b32 v42, v[41:42], off
	global_load_b32 v41, v[44:45], off
	s_branch .LBB60_5
.LBB60_8:
	v_mov_b32_e32 v1, v6
	s_mov_b64 s[2:3], s[18:19]
.LBB60_9:
	s_load_u16 s2, s[2:3], 0xe
	v_mov_b32_e32 v2, 0
	s_mov_b32 s0, ttmp9
	s_mov_b32 s1, 0
	s_wait_alu 0xfffe
	s_lshl_b64 s[0:1], s[0:1], 5
	s_wait_kmcnt 0x0
	s_cmp_eq_u64 s[12:13], 0
	s_wait_alu 0xfffe
	v_add_co_u32 v0, s0, s0, v7
	s_wait_alu 0xf1ff
	v_mad_co_u64_u32 v[2:3], null, s2, ttmp7, v[1:2]
	v_add_co_ci_u32_e64 v1, null, s1, 0, s0
	s_delay_alu instid0(VALU_DEP_1) | instskip(NEXT) | instid1(VALU_DEP_3)
	v_lshlrev_b64_e32 v[0:1], 2, v[0:1]
	v_mul_lo_u32 v3, v3, s10
	s_delay_alu instid0(VALU_DEP_4)
	v_mul_lo_u32 v4, v2, s11
	s_cbranch_scc1 .LBB60_11
; %bb.10:
	v_mad_co_u64_u32 v[5:6], null, v2, s10, 0
	s_delay_alu instid0(VALU_DEP_1) | instskip(NEXT) | instid1(VALU_DEP_1)
	v_add3_u32 v6, v6, v4, v3
	v_lshlrev_b64_e32 v[5:6], 2, v[5:6]
	s_delay_alu instid0(VALU_DEP_1) | instskip(SKIP_1) | instid1(VALU_DEP_2)
	v_add_co_u32 v5, vcc_lo, s12, v5
	s_wait_alu 0xfffd
	v_add_co_ci_u32_e64 v6, null, s13, v6, vcc_lo
	s_delay_alu instid0(VALU_DEP_2) | instskip(SKIP_1) | instid1(VALU_DEP_2)
	v_add_co_u32 v5, vcc_lo, v5, v0
	s_wait_alu 0xfffd
	v_add_co_ci_u32_e64 v6, null, v6, v1, vcc_lo
	global_store_b32 v[5:6], v26, off
.LBB60_11:
	s_cmp_eq_u64 s[14:15], 0
	s_cbranch_scc1 .LBB60_13
; %bb.12:
	v_mad_co_u64_u32 v[5:6], null, v2, s10, 0
	s_delay_alu instid0(VALU_DEP_1) | instskip(NEXT) | instid1(VALU_DEP_1)
	v_add3_u32 v6, v6, v4, v3
	v_lshlrev_b64_e32 v[2:3], 2, v[5:6]
	s_delay_alu instid0(VALU_DEP_1) | instskip(SKIP_1) | instid1(VALU_DEP_2)
	v_add_co_u32 v2, vcc_lo, s14, v2
	s_wait_alu 0xfffd
	v_add_co_ci_u32_e64 v3, null, s15, v3, vcc_lo
	s_delay_alu instid0(VALU_DEP_2) | instskip(SKIP_1) | instid1(VALU_DEP_2)
	v_add_co_u32 v0, vcc_lo, v2, v0
	s_wait_alu 0xfffd
	v_add_co_ci_u32_e64 v1, null, v3, v1, vcc_lo
	global_store_b32 v[0:1], v43, off
.LBB60_13:
	s_nop 0
	s_sendmsg sendmsg(MSG_DEALLOC_VGPRS)
	s_endpgm
	.section	.rodata,"a",@progbits
	.p2align	6, 0x0
	.amdhsa_kernel _ZN2at6native12_GLOBAL__N_135GammaBetaBackwardCUDAKernelTemplateIffLj32ELj1ELj32ELb1ELb1ELb0EEEvllPKT_S5_PKT0_S8_PS3_S9_
		.amdhsa_group_segment_fixed_size 0
		.amdhsa_private_segment_fixed_size 0
		.amdhsa_kernarg_size 320
		.amdhsa_user_sgpr_count 2
		.amdhsa_user_sgpr_dispatch_ptr 0
		.amdhsa_user_sgpr_queue_ptr 0
		.amdhsa_user_sgpr_kernarg_segment_ptr 1
		.amdhsa_user_sgpr_dispatch_id 0
		.amdhsa_user_sgpr_private_segment_size 0
		.amdhsa_wavefront_size32 1
		.amdhsa_uses_dynamic_stack 0
		.amdhsa_enable_private_segment 0
		.amdhsa_system_sgpr_workgroup_id_x 1
		.amdhsa_system_sgpr_workgroup_id_y 1
		.amdhsa_system_sgpr_workgroup_id_z 0
		.amdhsa_system_sgpr_workgroup_info 0
		.amdhsa_system_vgpr_workitem_id 1
		.amdhsa_next_free_vgpr 116
		.amdhsa_next_free_sgpr 29
		.amdhsa_reserve_vcc 1
		.amdhsa_float_round_mode_32 0
		.amdhsa_float_round_mode_16_64 0
		.amdhsa_float_denorm_mode_32 3
		.amdhsa_float_denorm_mode_16_64 3
		.amdhsa_fp16_overflow 0
		.amdhsa_workgroup_processor_mode 1
		.amdhsa_memory_ordered 1
		.amdhsa_forward_progress 1
		.amdhsa_inst_pref_size 35
		.amdhsa_round_robin_scheduling 0
		.amdhsa_exception_fp_ieee_invalid_op 0
		.amdhsa_exception_fp_denorm_src 0
		.amdhsa_exception_fp_ieee_div_zero 0
		.amdhsa_exception_fp_ieee_overflow 0
		.amdhsa_exception_fp_ieee_underflow 0
		.amdhsa_exception_fp_ieee_inexact 0
		.amdhsa_exception_int_div_zero 0
	.end_amdhsa_kernel
	.section	.text._ZN2at6native12_GLOBAL__N_135GammaBetaBackwardCUDAKernelTemplateIffLj32ELj1ELj32ELb1ELb1ELb0EEEvllPKT_S5_PKT0_S8_PS3_S9_,"axG",@progbits,_ZN2at6native12_GLOBAL__N_135GammaBetaBackwardCUDAKernelTemplateIffLj32ELj1ELj32ELb1ELb1ELb0EEEvllPKT_S5_PKT0_S8_PS3_S9_,comdat
.Lfunc_end60:
	.size	_ZN2at6native12_GLOBAL__N_135GammaBetaBackwardCUDAKernelTemplateIffLj32ELj1ELj32ELb1ELb1ELb0EEEvllPKT_S5_PKT0_S8_PS3_S9_, .Lfunc_end60-_ZN2at6native12_GLOBAL__N_135GammaBetaBackwardCUDAKernelTemplateIffLj32ELj1ELj32ELb1ELb1ELb0EEEvllPKT_S5_PKT0_S8_PS3_S9_
                                        ; -- End function
	.set _ZN2at6native12_GLOBAL__N_135GammaBetaBackwardCUDAKernelTemplateIffLj32ELj1ELj32ELb1ELb1ELb0EEEvllPKT_S5_PKT0_S8_PS3_S9_.num_vgpr, 116
	.set _ZN2at6native12_GLOBAL__N_135GammaBetaBackwardCUDAKernelTemplateIffLj32ELj1ELj32ELb1ELb1ELb0EEEvllPKT_S5_PKT0_S8_PS3_S9_.num_agpr, 0
	.set _ZN2at6native12_GLOBAL__N_135GammaBetaBackwardCUDAKernelTemplateIffLj32ELj1ELj32ELb1ELb1ELb0EEEvllPKT_S5_PKT0_S8_PS3_S9_.numbered_sgpr, 29
	.set _ZN2at6native12_GLOBAL__N_135GammaBetaBackwardCUDAKernelTemplateIffLj32ELj1ELj32ELb1ELb1ELb0EEEvllPKT_S5_PKT0_S8_PS3_S9_.num_named_barrier, 0
	.set _ZN2at6native12_GLOBAL__N_135GammaBetaBackwardCUDAKernelTemplateIffLj32ELj1ELj32ELb1ELb1ELb0EEEvllPKT_S5_PKT0_S8_PS3_S9_.private_seg_size, 0
	.set _ZN2at6native12_GLOBAL__N_135GammaBetaBackwardCUDAKernelTemplateIffLj32ELj1ELj32ELb1ELb1ELb0EEEvllPKT_S5_PKT0_S8_PS3_S9_.uses_vcc, 1
	.set _ZN2at6native12_GLOBAL__N_135GammaBetaBackwardCUDAKernelTemplateIffLj32ELj1ELj32ELb1ELb1ELb0EEEvllPKT_S5_PKT0_S8_PS3_S9_.uses_flat_scratch, 0
	.set _ZN2at6native12_GLOBAL__N_135GammaBetaBackwardCUDAKernelTemplateIffLj32ELj1ELj32ELb1ELb1ELb0EEEvllPKT_S5_PKT0_S8_PS3_S9_.has_dyn_sized_stack, 0
	.set _ZN2at6native12_GLOBAL__N_135GammaBetaBackwardCUDAKernelTemplateIffLj32ELj1ELj32ELb1ELb1ELb0EEEvllPKT_S5_PKT0_S8_PS3_S9_.has_recursion, 0
	.set _ZN2at6native12_GLOBAL__N_135GammaBetaBackwardCUDAKernelTemplateIffLj32ELj1ELj32ELb1ELb1ELb0EEEvllPKT_S5_PKT0_S8_PS3_S9_.has_indirect_call, 0
	.section	.AMDGPU.csdata,"",@progbits
; Kernel info:
; codeLenInByte = 4408
; TotalNumSgprs: 31
; NumVgprs: 116
; ScratchSize: 0
; MemoryBound: 0
; FloatMode: 240
; IeeeMode: 1
; LDSByteSize: 0 bytes/workgroup (compile time only)
; SGPRBlocks: 0
; VGPRBlocks: 14
; NumSGPRsForWavesPerEU: 31
; NumVGPRsForWavesPerEU: 116
; Occupancy: 12
; WaveLimiterHint : 0
; COMPUTE_PGM_RSRC2:SCRATCH_EN: 0
; COMPUTE_PGM_RSRC2:USER_SGPR: 2
; COMPUTE_PGM_RSRC2:TRAP_HANDLER: 0
; COMPUTE_PGM_RSRC2:TGID_X_EN: 1
; COMPUTE_PGM_RSRC2:TGID_Y_EN: 1
; COMPUTE_PGM_RSRC2:TGID_Z_EN: 0
; COMPUTE_PGM_RSRC2:TIDIG_COMP_CNT: 1
	.section	.text._ZN2at6native12_GLOBAL__N_135GammaBetaBackwardCUDAKernelTemplateIffLj32ELj1ELj32ELb1ELb0ELb0EEEvllPKT_S5_PKT0_S8_PS3_S9_,"axG",@progbits,_ZN2at6native12_GLOBAL__N_135GammaBetaBackwardCUDAKernelTemplateIffLj32ELj1ELj32ELb1ELb0ELb0EEEvllPKT_S5_PKT0_S8_PS3_S9_,comdat
	.globl	_ZN2at6native12_GLOBAL__N_135GammaBetaBackwardCUDAKernelTemplateIffLj32ELj1ELj32ELb1ELb0ELb0EEEvllPKT_S5_PKT0_S8_PS3_S9_ ; -- Begin function _ZN2at6native12_GLOBAL__N_135GammaBetaBackwardCUDAKernelTemplateIffLj32ELj1ELj32ELb1ELb0ELb0EEEvllPKT_S5_PKT0_S8_PS3_S9_
	.p2align	8
	.type	_ZN2at6native12_GLOBAL__N_135GammaBetaBackwardCUDAKernelTemplateIffLj32ELj1ELj32ELb1ELb0ELb0EEEvllPKT_S5_PKT0_S8_PS3_S9_,@function
_ZN2at6native12_GLOBAL__N_135GammaBetaBackwardCUDAKernelTemplateIffLj32ELj1ELj32ELb1ELb0ELb0EEEvllPKT_S5_PKT0_S8_PS3_S9_: ; @_ZN2at6native12_GLOBAL__N_135GammaBetaBackwardCUDAKernelTemplateIffLj32ELj1ELj32ELb1ELb0ELb0EEEvllPKT_S5_PKT0_S8_PS3_S9_
; %bb.0:
	s_clause 0x1
	s_load_b256 s[4:11], s[0:1], 0x0
	s_load_b128 s[12:15], s[0:1], 0x20
	s_lshl_b32 s30, ttmp9, 5
	s_mov_b32 s17, 0
	s_or_b32 s16, s30, 31
	v_mov_b32_e32 v227, v0
	s_wait_kmcnt 0x0
	v_cmp_le_i64_e64 s2, s[6:7], s[16:17]
	s_lshl_b32 s16, ttmp7, 5
	s_wait_alu 0xfffe
	v_cmp_gt_i64_e64 s31, s[4:5], s[16:17]
	s_and_b32 vcc_lo, exec_lo, s2
	v_cndmask_b32_e64 v0, 0, 1, s31
	s_delay_alu instid0(VALU_DEP_1)
	v_cmp_ne_u32_e64 s2, 1, v0
	s_cbranch_vccz .LBB61_141
; %bb.1:
	v_dual_mov_b32 v223, 0 :: v_dual_mov_b32 v170, 0
	s_and_b32 vcc_lo, exec_lo, s2
	s_cbranch_vccnz .LBB61_142
; %bb.2:
	v_bfe_u32 v38, v227, 10, 10
	v_dual_mov_b32 v1, 0 :: v_dual_and_b32 v40, 0x3ff, v227
	s_load_b32 s3, s[0:1], 0x44
	s_mov_b32 s19, 0
	s_delay_alu instid0(VALU_DEP_2) | instskip(NEXT) | instid1(VALU_DEP_2)
	v_dual_mov_b32 v202, 0 :: v_dual_lshlrev_b32 v39, 5, v38
	v_dual_mov_b32 v7, v1 :: v_dual_add_nc_u32 v6, s30, v40
	s_mov_b32 s23, s19
	s_delay_alu instid0(VALU_DEP_2) | instskip(NEXT) | instid1(VALU_DEP_1)
	v_add_co_u32 v4, s2, v39, s16
	v_add_co_ci_u32_e64 v5, null, 0, 0, s2
	s_delay_alu instid0(VALU_DEP_3) | instskip(NEXT) | instid1(VALU_DEP_3)
	v_cmp_gt_i64_e64 s2, s[6:7], v[6:7]
	v_mul_lo_u32 v0, s7, v4
	v_mad_co_u64_u32 v[2:3], null, s6, v4, 0
	s_delay_alu instid0(VALU_DEP_4)
	v_mul_lo_u32 v8, s6, v5
	v_lshlrev_b64_e32 v[34:35], 2, v[6:7]
	v_mov_b32_e32 v41, v1
	v_mov_b32_e32 v223, 0
	s_add_nc_u64 s[20:21], s[0:1], 64
	s_wait_kmcnt 0x0
	s_lshl_b32 s22, s3, 5
	s_mov_b64 s[26:27], 31
	s_mul_u64 s[24:25], s[6:7], s[22:23]
	v_add3_u32 v3, v3, v8, v0
	v_add_co_u32 v0, vcc_lo, v4, 31
	s_delay_alu instid0(VALU_DEP_1) | instskip(NEXT) | instid1(VALU_DEP_3)
	v_add_co_ci_u32_e64 v8, null, 0, v5, vcc_lo
	v_lshlrev_b64_e32 v[6:7], 2, v[2:3]
	s_delay_alu instid0(VALU_DEP_3) | instskip(SKIP_1) | instid1(VALU_DEP_3)
	v_mul_lo_u32 v12, s7, v0
	s_lshl_b64 s[24:25], s[24:25], 2
	v_mul_lo_u32 v13, s6, v8
	v_mad_co_u64_u32 v[8:9], null, s6, v0, 0
	v_add_co_u32 v0, vcc_lo, v4, 30
	s_wait_alu 0xfffd
	v_add_co_ci_u32_e64 v10, null, 0, v5, vcc_lo
	v_add_co_u32 v42, vcc_lo, s8, v6
	s_delay_alu instid0(VALU_DEP_3) | instskip(NEXT) | instid1(VALU_DEP_3)
	v_mul_lo_u32 v14, s7, v0
	v_mul_lo_u32 v15, s6, v10
	v_mad_co_u64_u32 v[10:11], null, s6, v0, 0
	s_wait_alu 0xfffd
	v_add_co_ci_u32_e64 v43, null, s9, v7, vcc_lo
	v_add_co_u32 v44, vcc_lo, s10, v6
	s_wait_alu 0xfffd
	v_add_co_ci_u32_e64 v45, null, s11, v7, vcc_lo
	v_add_co_u32 v0, vcc_lo, v4, 29
	v_add3_u32 v9, v9, v13, v12
	v_add3_u32 v11, v11, v15, v14
	s_wait_alu 0xfffd
	v_add_co_ci_u32_e64 v12, null, 0, v5, vcc_lo
	v_mul_lo_u32 v13, s7, v0
	v_lshlrev_b64_e32 v[6:7], 2, v[8:9]
	v_lshlrev_b64_e32 v[8:9], 2, v[10:11]
	s_delay_alu instid0(VALU_DEP_4)
	v_mul_lo_u32 v12, s6, v12
	v_mad_co_u64_u32 v[10:11], null, s6, v0, 0
	s_mov_b64 s[28:29], s[16:17]
	v_add_co_u32 v46, vcc_lo, s8, v6
	s_wait_alu 0xfffd
	v_add_co_ci_u32_e64 v47, null, s9, v7, vcc_lo
	v_add_co_u32 v48, vcc_lo, s10, v6
	v_add3_u32 v11, v11, v12, v13
	s_wait_alu 0xfffd
	v_add_co_ci_u32_e64 v49, null, s11, v7, vcc_lo
	v_add_co_u32 v50, vcc_lo, s8, v8
	s_wait_alu 0xfffd
	v_add_co_ci_u32_e64 v51, null, s9, v9, vcc_lo
	v_add_co_u32 v0, vcc_lo, v4, 28
	v_add_co_u32 v52, s3, s10, v8
	v_lshlrev_b64_e32 v[6:7], 2, v[10:11]
	s_wait_alu 0xfffd
	v_add_co_ci_u32_e64 v8, null, 0, v5, vcc_lo
	v_add_co_u32 v10, vcc_lo, v4, 27
	s_wait_alu 0xfffd
	v_add_co_ci_u32_e64 v11, null, 0, v5, vcc_lo
	s_wait_alu 0xf1ff
	v_add_co_ci_u32_e64 v53, null, s11, v9, s3
	v_mul_lo_u32 v12, s7, v0
	v_mul_lo_u32 v13, s6, v8
	v_mad_co_u64_u32 v[8:9], null, s6, v0, 0
	v_mul_lo_u32 v0, s7, v10
	v_mul_lo_u32 v14, s6, v11
	v_mad_co_u64_u32 v[10:11], null, s6, v10, 0
	v_add_co_u32 v54, vcc_lo, s8, v6
	s_wait_alu 0xfffd
	v_add_co_ci_u32_e64 v55, null, s9, v7, vcc_lo
	v_add_co_u32 v56, vcc_lo, s10, v6
	s_wait_alu 0xfffd
	v_add_co_ci_u32_e64 v57, null, s11, v7, vcc_lo
	v_add3_u32 v11, v11, v14, v0
	v_add_co_u32 v0, vcc_lo, v4, 26
	v_add3_u32 v9, v9, v13, v12
	s_wait_alu 0xfffd
	v_add_co_ci_u32_e64 v12, null, 0, v5, vcc_lo
	s_delay_alu instid0(VALU_DEP_3) | instskip(NEXT) | instid1(VALU_DEP_3)
	v_mul_lo_u32 v13, s7, v0
	v_lshlrev_b64_e32 v[6:7], 2, v[8:9]
	v_lshlrev_b64_e32 v[8:9], 2, v[10:11]
	s_delay_alu instid0(VALU_DEP_4) | instskip(SKIP_1) | instid1(VALU_DEP_4)
	v_mul_lo_u32 v12, s6, v12
	v_mad_co_u64_u32 v[10:11], null, s6, v0, 0
	v_add_co_u32 v58, vcc_lo, s8, v6
	s_wait_alu 0xfffd
	v_add_co_ci_u32_e64 v59, null, s9, v7, vcc_lo
	v_add_co_u32 v60, vcc_lo, s10, v6
	s_delay_alu instid0(VALU_DEP_4)
	v_add3_u32 v11, v11, v12, v13
	s_wait_alu 0xfffd
	v_add_co_ci_u32_e64 v61, null, s11, v7, vcc_lo
	v_add_co_u32 v62, vcc_lo, s8, v8
	s_wait_alu 0xfffd
	v_add_co_ci_u32_e64 v63, null, s9, v9, vcc_lo
	v_add_co_u32 v0, vcc_lo, v4, 25
	v_add_co_u32 v64, s3, s10, v8
	v_lshlrev_b64_e32 v[6:7], 2, v[10:11]
	s_wait_alu 0xfffd
	v_add_co_ci_u32_e64 v8, null, 0, v5, vcc_lo
	v_add_co_u32 v10, vcc_lo, v4, 24
	s_wait_alu 0xfffd
	v_add_co_ci_u32_e64 v11, null, 0, v5, vcc_lo
	s_wait_alu 0xf1ff
	v_add_co_ci_u32_e64 v65, null, s11, v9, s3
	v_mul_lo_u32 v12, s7, v0
	v_mul_lo_u32 v13, s6, v8
	v_mad_co_u64_u32 v[8:9], null, s6, v0, 0
	v_mul_lo_u32 v0, s7, v10
	v_mul_lo_u32 v14, s6, v11
	v_mad_co_u64_u32 v[10:11], null, s6, v10, 0
	v_add_co_u32 v66, vcc_lo, s8, v6
	s_wait_alu 0xfffd
	v_add_co_ci_u32_e64 v67, null, s9, v7, vcc_lo
	v_add_co_u32 v68, vcc_lo, s10, v6
	s_wait_alu 0xfffd
	v_add_co_ci_u32_e64 v69, null, s11, v7, vcc_lo
	v_add3_u32 v11, v11, v14, v0
	v_add_co_u32 v0, vcc_lo, v4, 23
	v_add3_u32 v9, v9, v13, v12
	s_wait_alu 0xfffd
	v_add_co_ci_u32_e64 v12, null, 0, v5, vcc_lo
	s_delay_alu instid0(VALU_DEP_3) | instskip(NEXT) | instid1(VALU_DEP_3)
	v_mul_lo_u32 v13, s7, v0
	v_lshlrev_b64_e32 v[6:7], 2, v[8:9]
	v_lshlrev_b64_e32 v[8:9], 2, v[10:11]
	s_delay_alu instid0(VALU_DEP_4) | instskip(SKIP_1) | instid1(VALU_DEP_4)
	v_mul_lo_u32 v12, s6, v12
	v_mad_co_u64_u32 v[10:11], null, s6, v0, 0
	v_add_co_u32 v70, vcc_lo, s8, v6
	s_wait_alu 0xfffd
	v_add_co_ci_u32_e64 v71, null, s9, v7, vcc_lo
	v_add_co_u32 v72, vcc_lo, s10, v6
	s_delay_alu instid0(VALU_DEP_4)
	;; [unrolled: 45-line block ×6, first 2 shown]
	v_add3_u32 v11, v11, v13, v14
	s_wait_alu 0xfffd
	v_add_co_ci_u32_e64 v120, null, s11, v7, vcc_lo
	v_add_co_u32 v121, vcc_lo, s8, v8
	s_wait_alu 0xfffd
	v_add_co_ci_u32_e64 v122, null, s9, v9, vcc_lo
	v_add_co_u32 v12, vcc_lo, v4, 10
	v_add_co_u32 v123, s3, s10, v8
	v_lshlrev_b64_e32 v[6:7], 2, v[10:11]
	s_wait_alu 0xfffd
	v_add_co_ci_u32_e64 v8, null, 0, v5, vcc_lo
	v_add_co_u32 v10, vcc_lo, v4, 9
	s_wait_alu 0xfffd
	v_add_co_ci_u32_e64 v11, null, 0, v5, vcc_lo
	s_wait_alu 0xf1ff
	v_add_co_ci_u32_e64 v124, null, s11, v9, s3
	v_mul_lo_u32 v13, s7, v12
	v_mul_lo_u32 v14, s6, v8
	v_mad_co_u64_u32 v[8:9], null, s6, v12, 0
	v_mul_lo_u32 v12, s7, v10
	v_mul_lo_u32 v15, s6, v11
	v_mad_co_u64_u32 v[10:11], null, s6, v10, 0
	v_add_co_u32 v125, vcc_lo, s8, v6
	s_wait_alu 0xfffd
	v_add_co_ci_u32_e64 v126, null, s9, v7, vcc_lo
	v_add_co_u32 v127, vcc_lo, s10, v6
	v_add3_u32 v9, v9, v14, v13
	s_wait_alu 0xfffd
	v_add_co_ci_u32_e64 v128, null, s11, v7, vcc_lo
	v_add3_u32 v11, v11, v15, v12
	v_add_co_u32 v12, vcc_lo, v4, 8
	s_wait_alu 0xfffd
	v_add_co_ci_u32_e64 v13, null, 0, v5, vcc_lo
	v_lshlrev_b64_e32 v[6:7], 2, v[8:9]
	v_lshlrev_b64_e32 v[8:9], 2, v[10:11]
	v_mul_lo_u32 v14, s7, v12
	s_delay_alu instid0(VALU_DEP_4)
	v_mul_lo_u32 v13, s6, v13
	v_mad_co_u64_u32 v[10:11], null, s6, v12, 0
	v_add_co_u32 v129, vcc_lo, s8, v6
	s_wait_alu 0xfffd
	v_add_co_ci_u32_e64 v130, null, s9, v7, vcc_lo
	v_add_co_u32 v131, vcc_lo, s10, v6
	s_wait_alu 0xfffd
	v_add_co_ci_u32_e64 v132, null, s11, v7, vcc_lo
	v_add_co_u32 v133, vcc_lo, s8, v8
	v_add3_u32 v11, v11, v13, v14
	s_wait_alu 0xfffd
	v_add_co_ci_u32_e64 v134, null, s9, v9, vcc_lo
	v_add_co_u32 v12, vcc_lo, v4, 7
	v_add_co_u32 v135, s3, s10, v8
	s_wait_alu 0xfffd
	v_add_co_ci_u32_e64 v8, null, 0, v5, vcc_lo
	v_lshlrev_b64_e32 v[6:7], 2, v[10:11]
	v_add_co_u32 v10, vcc_lo, v4, 6
	s_wait_alu 0xfffd
	v_add_co_ci_u32_e64 v11, null, 0, v5, vcc_lo
	s_wait_alu 0xf1ff
	v_add_co_ci_u32_e64 v136, null, s11, v9, s3
	v_mul_lo_u32 v13, s7, v12
	v_mul_lo_u32 v14, s6, v8
	v_mad_co_u64_u32 v[8:9], null, s6, v12, 0
	v_mul_lo_u32 v12, s7, v10
	v_mul_lo_u32 v15, s6, v11
	v_mad_co_u64_u32 v[10:11], null, s6, v10, 0
	v_add_co_u32 v137, vcc_lo, s8, v6
	v_add3_u32 v9, v9, v14, v13
	s_wait_alu 0xfffd
	v_add_co_ci_u32_e64 v138, null, s9, v7, vcc_lo
	v_add_co_u32 v139, vcc_lo, s10, v6
	s_wait_alu 0xfffd
	v_add_co_ci_u32_e64 v140, null, s11, v7, vcc_lo
	v_add3_u32 v11, v11, v15, v12
	v_add_co_u32 v12, vcc_lo, v4, 5
	v_lshlrev_b64_e32 v[6:7], 2, v[8:9]
	s_wait_alu 0xfffd
	v_add_co_ci_u32_e64 v13, null, 0, v5, vcc_lo
	v_lshlrev_b64_e32 v[8:9], 2, v[10:11]
	v_mul_lo_u32 v14, s7, v12
	v_mad_co_u64_u32 v[10:11], null, s6, v12, 0
	v_add_co_u32 v141, vcc_lo, s8, v6
	v_mul_lo_u32 v13, s6, v13
	s_wait_alu 0xfffd
	v_add_co_ci_u32_e64 v142, null, s9, v7, vcc_lo
	v_add_co_u32 v143, vcc_lo, s10, v6
	s_wait_alu 0xfffd
	v_add_co_ci_u32_e64 v144, null, s11, v7, vcc_lo
	v_add_co_u32 v145, vcc_lo, s8, v8
	;; [unrolled: 3-line block ×3, first 2 shown]
	v_add3_u32 v11, v11, v13, v14
	v_add_co_u32 v147, s3, s10, v8
	s_wait_alu 0xfffd
	v_add_co_ci_u32_e64 v8, null, 0, v5, vcc_lo
	s_wait_alu 0xf1ff
	v_add_co_ci_u32_e64 v148, null, s11, v9, s3
	v_lshlrev_b64_e32 v[6:7], 2, v[10:11]
	v_mul_lo_u32 v13, s7, v12
	v_add_co_u32 v10, vcc_lo, v4, 3
	v_mul_lo_u32 v14, s6, v8
	v_mad_co_u64_u32 v[8:9], null, s6, v12, 0
	s_wait_alu 0xfffd
	v_add_co_ci_u32_e64 v11, null, 0, v5, vcc_lo
	v_mul_lo_u32 v12, s7, v10
	v_add_co_u32 v149, vcc_lo, s8, v6
	s_delay_alu instid0(VALU_DEP_3)
	v_mul_lo_u32 v15, s6, v11
	v_mad_co_u64_u32 v[10:11], null, s6, v10, 0
	v_add3_u32 v9, v9, v14, v13
	s_wait_alu 0xfffd
	v_add_co_ci_u32_e64 v150, null, s9, v7, vcc_lo
	v_add_co_u32 v151, vcc_lo, s10, v6
	s_wait_alu 0xfffd
	v_add_co_ci_u32_e64 v152, null, s11, v7, vcc_lo
	v_lshlrev_b64_e32 v[6:7], 2, v[8:9]
	v_add_co_u32 v8, vcc_lo, v4, 2
	v_add3_u32 v11, v11, v15, v12
	s_wait_alu 0xfffd
	v_add_co_ci_u32_e64 v9, null, 0, v5, vcc_lo
	s_delay_alu instid0(VALU_DEP_4) | instskip(NEXT) | instid1(VALU_DEP_3)
	v_add_co_u32 v153, vcc_lo, s8, v6
	v_lshlrev_b64_e32 v[4:5], 2, v[10:11]
	v_mul_lo_u32 v10, s7, v8
	s_delay_alu instid0(VALU_DEP_4)
	v_mul_lo_u32 v11, s6, v9
	v_mad_co_u64_u32 v[8:9], null, s6, v8, 0
	s_wait_alu 0xfffd
	v_add_co_ci_u32_e64 v154, null, s9, v7, vcc_lo
	v_add_co_u32 v155, vcc_lo, s10, v6
	s_wait_alu 0xfffd
	v_add_co_ci_u32_e64 v156, null, s11, v7, vcc_lo
	v_add_co_u32 v157, vcc_lo, s8, v4
	s_wait_alu 0xfffd
	v_add_co_ci_u32_e64 v158, null, s9, v5, vcc_lo
	v_add3_u32 v9, v9, v11, v10
	v_add_co_u32 v159, vcc_lo, s10, v4
	s_wait_alu 0xfffd
	v_add_co_ci_u32_e64 v160, null, s11, v5, vcc_lo
	v_add_co_u32 v2, vcc_lo, v2, s6
	s_wait_alu 0xfffd
	v_add_co_ci_u32_e64 v3, null, s7, v3, vcc_lo
	v_lshlrev_b64_e32 v[4:5], 2, v[8:9]
	s_delay_alu instid0(VALU_DEP_2) | instskip(NEXT) | instid1(VALU_DEP_2)
	v_lshlrev_b64_e32 v[2:3], 2, v[2:3]
	v_add_co_u32 v161, vcc_lo, s8, v4
	s_wait_alu 0xfffd
	s_delay_alu instid0(VALU_DEP_3)
	v_add_co_ci_u32_e64 v162, null, s9, v5, vcc_lo
	v_add_co_u32 v163, vcc_lo, s10, v4
	s_wait_alu 0xfffd
	v_add_co_ci_u32_e64 v164, null, s11, v5, vcc_lo
	v_add_co_u32 v166, vcc_lo, s8, v2
	s_wait_alu 0xfffd
	;; [unrolled: 3-line block ×3, first 2 shown]
	v_add_co_ci_u32_e64 v169, null, s11, v3, vcc_lo
.LBB61_3:                               ; =>This Inner Loop Header: Depth=1
	s_add_nc_u64 s[34:35], s[16:17], s[26:27]
	v_add_co_u32 v36, vcc_lo, s16, v39
	s_wait_alu 0xfffe
	v_cmp_ge_i64_e64 s3, s[34:35], s[4:5]
	s_wait_alu 0xfffd
	v_add_co_ci_u32_e64 v37, null, 0, v41, vcc_lo
                                        ; implicit-def: $vgpr2_vgpr3_vgpr4_vgpr5_vgpr6_vgpr7_vgpr8_vgpr9_vgpr10_vgpr11_vgpr12_vgpr13_vgpr14_vgpr15_vgpr16_vgpr17_vgpr18_vgpr19_vgpr20_vgpr21_vgpr22_vgpr23_vgpr24_vgpr25_vgpr26_vgpr27_vgpr28_vgpr29_vgpr30_vgpr31_vgpr32_vgpr33
                                        ; implicit-def: $vgpr165
                                        ; implicit-def: $vgpr186
                                        ; implicit-def: $vgpr2
                                        ; implicit-def: $vgpr3
                                        ; implicit-def: $vgpr170
	s_and_b32 vcc_lo, exec_lo, s3
	s_mov_b32 s3, -1
	s_wait_alu 0xfffe
	s_cbranch_vccz .LBB61_71
; %bb.4:                                ;   in Loop: Header=BB61_3 Depth=1
	s_load_b32 s3, s[20:21], 0xc
	v_dual_mov_b32 v172, 0 :: v_dual_mov_b32 v171, 0
	v_mov_b32_e32 v165, 0
	s_wait_kmcnt 0x0
	s_and_b32 s3, s3, 0xffff
	s_wait_alu 0xfffe
	v_mad_u32_u24 v2, v38, s3, v40
	s_mov_b32 s3, exec_lo
	s_delay_alu instid0(VALU_DEP_1) | instskip(NEXT) | instid1(VALU_DEP_1)
	v_and_b32_e32 v2, 31, v2
	v_add_co_u32 v2, vcc_lo, v36, v2
	s_wait_alu 0xfffd
	v_add_co_ci_u32_e64 v3, null, 0, v37, vcc_lo
	s_delay_alu instid0(VALU_DEP_1)
	v_cmpx_gt_i64_e64 s[4:5], v[2:3]
	s_cbranch_execz .LBB61_6
; %bb.5:                                ;   in Loop: Header=BB61_3 Depth=1
	v_lshlrev_b64_e32 v[2:3], 2, v[2:3]
	s_delay_alu instid0(VALU_DEP_1) | instskip(SKIP_1) | instid1(VALU_DEP_2)
	v_add_co_u32 v4, vcc_lo, s12, v2
	s_wait_alu 0xfffd
	v_add_co_ci_u32_e64 v5, null, s13, v3, vcc_lo
	v_add_co_u32 v2, vcc_lo, s14, v2
	s_wait_alu 0xfffd
	v_add_co_ci_u32_e64 v3, null, s15, v3, vcc_lo
	global_load_b32 v171, v[4:5], off
	global_load_b32 v172, v[2:3], off
.LBB61_6:                               ;   in Loop: Header=BB61_3 Depth=1
	s_wait_alu 0xfffe
	s_or_b32 exec_lo, exec_lo, s3
	v_mov_b32_e32 v32, v1
	v_cmp_gt_i64_e32 vcc_lo, s[4:5], v[36:37]
	v_dual_mov_b32 v2, v1 :: v_dual_mov_b32 v3, v1
	v_dual_mov_b32 v4, v1 :: v_dual_mov_b32 v5, v1
	;; [unrolled: 1-line block ×15, first 2 shown]
	v_mov_b32_e32 v33, v32
	s_delay_alu instid0(VALU_DEP_2) | instskip(NEXT) | instid1(VALU_DEP_3)
	v_mov_b32_e32 v32, v31
	v_mov_b32_e32 v31, v30
	;; [unrolled: 1-line block ×31, first 2 shown]
	s_and_b32 s18, s2, vcc_lo
	s_delay_alu instid0(SALU_CYCLE_1)
	s_and_saveexec_b32 s3, s18
	s_cbranch_execz .LBB61_8
; %bb.7:                                ;   in Loop: Header=BB61_3 Depth=1
	v_add_co_u32 v2, vcc_lo, v42, v34
	s_wait_alu 0xfffd
	v_add_co_ci_u32_e64 v3, null, v43, v35, vcc_lo
	v_add_co_u32 v4, vcc_lo, v44, v34
	s_wait_alu 0xfffd
	v_add_co_ci_u32_e64 v5, null, v45, v35, vcc_lo
	global_load_b32 v2, v[2:3], off
	global_load_b32 v165, v[4:5], off
	v_dual_mov_b32 v3, v1 :: v_dual_mov_b32 v4, v1
	v_dual_mov_b32 v5, v1 :: v_dual_mov_b32 v6, v1
	;; [unrolled: 1-line block ×15, first 2 shown]
	v_mov_b32_e32 v33, v1
.LBB61_8:                               ;   in Loop: Header=BB61_3 Depth=1
	s_wait_alu 0xfffe
	s_or_b32 exec_lo, exec_lo, s3
	v_add_co_u32 v173, vcc_lo, v36, 1
	s_wait_alu 0xfffd
	v_add_co_ci_u32_e64 v174, null, 0, v37, vcc_lo
	s_delay_alu instid0(VALU_DEP_1) | instskip(SKIP_2) | instid1(SALU_CYCLE_1)
	v_cmp_gt_i64_e32 vcc_lo, s[4:5], v[173:174]
	v_dual_mov_b32 v173, 0 :: v_dual_mov_b32 v174, 0
	s_and_b32 s18, s2, vcc_lo
	s_and_saveexec_b32 s3, s18
	s_cbranch_execz .LBB61_10
; %bb.9:                                ;   in Loop: Header=BB61_3 Depth=1
	v_add_co_u32 v174, vcc_lo, v166, v34
	s_wait_alu 0xfffd
	v_add_co_ci_u32_e64 v175, null, v167, v35, vcc_lo
	v_add_co_u32 v176, vcc_lo, v168, v34
	s_wait_alu 0xfffd
	v_add_co_ci_u32_e64 v177, null, v169, v35, vcc_lo
	global_load_b32 v3, v[174:175], off
	global_load_b32 v174, v[176:177], off
.LBB61_10:                              ;   in Loop: Header=BB61_3 Depth=1
	s_wait_alu 0xfffe
	s_or_b32 exec_lo, exec_lo, s3
	v_add_co_u32 v175, vcc_lo, v36, 2
	s_wait_alu 0xfffd
	v_add_co_ci_u32_e64 v176, null, 0, v37, vcc_lo
	s_delay_alu instid0(VALU_DEP_1) | instskip(SKIP_1) | instid1(SALU_CYCLE_1)
	v_cmp_gt_i64_e32 vcc_lo, s[4:5], v[175:176]
	s_and_b32 s18, s2, vcc_lo
	s_and_saveexec_b32 s3, s18
	s_cbranch_execz .LBB61_12
; %bb.11:                               ;   in Loop: Header=BB61_3 Depth=1
	v_add_co_u32 v175, vcc_lo, v161, v34
	s_wait_alu 0xfffd
	v_add_co_ci_u32_e64 v176, null, v162, v35, vcc_lo
	v_add_co_u32 v177, vcc_lo, v163, v34
	s_wait_alu 0xfffd
	v_add_co_ci_u32_e64 v178, null, v164, v35, vcc_lo
	global_load_b32 v4, v[175:176], off
	global_load_b32 v173, v[177:178], off
.LBB61_12:                              ;   in Loop: Header=BB61_3 Depth=1
	s_wait_alu 0xfffe
	s_or_b32 exec_lo, exec_lo, s3
	v_add_co_u32 v175, vcc_lo, v36, 3
	s_wait_alu 0xfffd
	v_add_co_ci_u32_e64 v176, null, 0, v37, vcc_lo
	s_delay_alu instid0(VALU_DEP_1) | instskip(SKIP_2) | instid1(SALU_CYCLE_1)
	v_cmp_gt_i64_e32 vcc_lo, s[4:5], v[175:176]
	v_dual_mov_b32 v175, 0 :: v_dual_mov_b32 v176, 0
	s_and_b32 s18, s2, vcc_lo
	s_and_saveexec_b32 s3, s18
	s_cbranch_execz .LBB61_14
; %bb.13:                               ;   in Loop: Header=BB61_3 Depth=1
	v_add_co_u32 v176, vcc_lo, v157, v34
	s_wait_alu 0xfffd
	v_add_co_ci_u32_e64 v177, null, v158, v35, vcc_lo
	v_add_co_u32 v178, vcc_lo, v159, v34
	s_wait_alu 0xfffd
	v_add_co_ci_u32_e64 v179, null, v160, v35, vcc_lo
	global_load_b32 v5, v[176:177], off
	global_load_b32 v176, v[178:179], off
.LBB61_14:                              ;   in Loop: Header=BB61_3 Depth=1
	s_wait_alu 0xfffe
	s_or_b32 exec_lo, exec_lo, s3
	v_add_co_u32 v177, vcc_lo, v36, 4
	s_wait_alu 0xfffd
	v_add_co_ci_u32_e64 v178, null, 0, v37, vcc_lo
	s_delay_alu instid0(VALU_DEP_1) | instskip(SKIP_1) | instid1(SALU_CYCLE_1)
	v_cmp_gt_i64_e32 vcc_lo, s[4:5], v[177:178]
	s_and_b32 s18, s2, vcc_lo
	s_and_saveexec_b32 s3, s18
	s_cbranch_execz .LBB61_16
; %bb.15:                               ;   in Loop: Header=BB61_3 Depth=1
	v_add_co_u32 v177, vcc_lo, v153, v34
	s_wait_alu 0xfffd
	v_add_co_ci_u32_e64 v178, null, v154, v35, vcc_lo
	v_add_co_u32 v179, vcc_lo, v155, v34
	s_wait_alu 0xfffd
	v_add_co_ci_u32_e64 v180, null, v156, v35, vcc_lo
	global_load_b32 v6, v[177:178], off
	global_load_b32 v175, v[179:180], off
.LBB61_16:                              ;   in Loop: Header=BB61_3 Depth=1
	s_wait_alu 0xfffe
	s_or_b32 exec_lo, exec_lo, s3
	v_add_co_u32 v177, vcc_lo, v36, 5
	s_wait_alu 0xfffd
	v_add_co_ci_u32_e64 v178, null, 0, v37, vcc_lo
	s_delay_alu instid0(VALU_DEP_1) | instskip(SKIP_2) | instid1(SALU_CYCLE_1)
	v_cmp_gt_i64_e32 vcc_lo, s[4:5], v[177:178]
	v_dual_mov_b32 v177, 0 :: v_dual_mov_b32 v178, 0
	s_and_b32 s18, s2, vcc_lo
	s_and_saveexec_b32 s3, s18
	s_cbranch_execz .LBB61_18
; %bb.17:                               ;   in Loop: Header=BB61_3 Depth=1
	v_add_co_u32 v178, vcc_lo, v149, v34
	s_wait_alu 0xfffd
	v_add_co_ci_u32_e64 v179, null, v150, v35, vcc_lo
	v_add_co_u32 v180, vcc_lo, v151, v34
	s_wait_alu 0xfffd
	v_add_co_ci_u32_e64 v181, null, v152, v35, vcc_lo
	global_load_b32 v7, v[178:179], off
	global_load_b32 v178, v[180:181], off
.LBB61_18:                              ;   in Loop: Header=BB61_3 Depth=1
	;; [unrolled: 41-line block ×5, first 2 shown]
	s_wait_alu 0xfffe
	s_or_b32 exec_lo, exec_lo, s3
	v_add_co_u32 v185, vcc_lo, v36, 12
	s_wait_alu 0xfffd
	v_add_co_ci_u32_e64 v186, null, 0, v37, vcc_lo
	s_delay_alu instid0(VALU_DEP_1) | instskip(SKIP_1) | instid1(SALU_CYCLE_1)
	v_cmp_gt_i64_e32 vcc_lo, s[4:5], v[185:186]
	s_and_b32 s18, s2, vcc_lo
	s_and_saveexec_b32 s3, s18
	s_cbranch_execz .LBB61_32
; %bb.31:                               ;   in Loop: Header=BB61_3 Depth=1
	v_add_co_u32 v185, vcc_lo, v121, v34
	s_wait_alu 0xfffd
	v_add_co_ci_u32_e64 v186, null, v122, v35, vcc_lo
	v_add_co_u32 v187, vcc_lo, v123, v34
	s_wait_alu 0xfffd
	v_add_co_ci_u32_e64 v188, null, v124, v35, vcc_lo
	global_load_b32 v14, v[185:186], off
	global_load_b32 v183, v[187:188], off
.LBB61_32:                              ;   in Loop: Header=BB61_3 Depth=1
	s_wait_alu 0xfffe
	s_or_b32 exec_lo, exec_lo, s3
	v_add_co_u32 v185, vcc_lo, v36, 13
	s_wait_alu 0xfffd
	v_add_co_ci_u32_e64 v186, null, 0, v37, vcc_lo
	v_mov_b32_e32 v187, 0
	s_delay_alu instid0(VALU_DEP_2) | instskip(SKIP_2) | instid1(SALU_CYCLE_1)
	v_cmp_gt_i64_e32 vcc_lo, s[4:5], v[185:186]
	v_mov_b32_e32 v185, 0
	s_and_b32 s18, s2, vcc_lo
	s_and_saveexec_b32 s3, s18
	s_cbranch_execz .LBB61_34
; %bb.33:                               ;   in Loop: Header=BB61_3 Depth=1
	v_add_co_u32 v186, vcc_lo, v117, v34
	s_wait_alu 0xfffd
	v_add_co_ci_u32_e64 v187, null, v118, v35, vcc_lo
	v_add_co_u32 v188, vcc_lo, v119, v34
	s_wait_alu 0xfffd
	v_add_co_ci_u32_e64 v189, null, v120, v35, vcc_lo
	global_load_b32 v15, v[186:187], off
	global_load_b32 v187, v[188:189], off
.LBB61_34:                              ;   in Loop: Header=BB61_3 Depth=1
	s_wait_alu 0xfffe
	s_or_b32 exec_lo, exec_lo, s3
	v_add_co_u32 v188, vcc_lo, v36, 14
	s_wait_alu 0xfffd
	v_add_co_ci_u32_e64 v189, null, 0, v37, vcc_lo
	s_delay_alu instid0(VALU_DEP_1) | instskip(SKIP_1) | instid1(SALU_CYCLE_1)
	v_cmp_gt_i64_e32 vcc_lo, s[4:5], v[188:189]
	s_and_b32 s18, s2, vcc_lo
	s_and_saveexec_b32 s3, s18
	s_cbranch_execz .LBB61_36
; %bb.35:                               ;   in Loop: Header=BB61_3 Depth=1
	v_add_co_u32 v185, vcc_lo, v113, v34
	s_wait_alu 0xfffd
	v_add_co_ci_u32_e64 v186, null, v114, v35, vcc_lo
	v_add_co_u32 v188, vcc_lo, v115, v34
	s_wait_alu 0xfffd
	v_add_co_ci_u32_e64 v189, null, v116, v35, vcc_lo
	global_load_b32 v16, v[185:186], off
	global_load_b32 v185, v[188:189], off
.LBB61_36:                              ;   in Loop: Header=BB61_3 Depth=1
	s_wait_alu 0xfffe
	s_or_b32 exec_lo, exec_lo, s3
	v_add_co_u32 v188, vcc_lo, v36, 15
	s_wait_alu 0xfffd
	v_add_co_ci_u32_e64 v189, null, 0, v37, vcc_lo
	s_delay_alu instid0(VALU_DEP_1) | instskip(SKIP_2) | instid1(SALU_CYCLE_1)
	v_cmp_gt_i64_e32 vcc_lo, s[4:5], v[188:189]
	v_dual_mov_b32 v188, 0 :: v_dual_mov_b32 v189, 0
	s_and_b32 s18, s2, vcc_lo
	s_and_saveexec_b32 s3, s18
	s_cbranch_execz .LBB61_38
; %bb.37:                               ;   in Loop: Header=BB61_3 Depth=1
	v_add_co_u32 v189, vcc_lo, v109, v34
	s_wait_alu 0xfffd
	v_add_co_ci_u32_e64 v190, null, v110, v35, vcc_lo
	v_add_co_u32 v191, vcc_lo, v111, v34
	s_wait_alu 0xfffd
	v_add_co_ci_u32_e64 v192, null, v112, v35, vcc_lo
	global_load_b32 v17, v[189:190], off
	global_load_b32 v189, v[191:192], off
.LBB61_38:                              ;   in Loop: Header=BB61_3 Depth=1
	s_wait_alu 0xfffe
	s_or_b32 exec_lo, exec_lo, s3
	v_add_co_u32 v190, vcc_lo, v36, 16
	s_wait_alu 0xfffd
	v_add_co_ci_u32_e64 v191, null, 0, v37, vcc_lo
	s_delay_alu instid0(VALU_DEP_1) | instskip(SKIP_1) | instid1(SALU_CYCLE_1)
	v_cmp_gt_i64_e32 vcc_lo, s[4:5], v[190:191]
	s_and_b32 s18, s2, vcc_lo
	s_and_saveexec_b32 s3, s18
	s_cbranch_execz .LBB61_40
; %bb.39:                               ;   in Loop: Header=BB61_3 Depth=1
	v_add_co_u32 v190, vcc_lo, v105, v34
	s_wait_alu 0xfffd
	v_add_co_ci_u32_e64 v191, null, v106, v35, vcc_lo
	v_add_co_u32 v192, vcc_lo, v107, v34
	s_wait_alu 0xfffd
	v_add_co_ci_u32_e64 v193, null, v108, v35, vcc_lo
	global_load_b32 v18, v[190:191], off
	global_load_b32 v188, v[192:193], off
.LBB61_40:                              ;   in Loop: Header=BB61_3 Depth=1
	s_wait_alu 0xfffe
	s_or_b32 exec_lo, exec_lo, s3
	v_add_co_u32 v190, vcc_lo, v36, 17
	s_wait_alu 0xfffd
	v_add_co_ci_u32_e64 v191, null, 0, v37, vcc_lo
	s_delay_alu instid0(VALU_DEP_1) | instskip(SKIP_2) | instid1(SALU_CYCLE_1)
	v_cmp_gt_i64_e32 vcc_lo, s[4:5], v[190:191]
	v_dual_mov_b32 v190, 0 :: v_dual_mov_b32 v191, 0
	;; [unrolled: 41-line block ×8, first 2 shown]
	s_and_b32 s18, s2, vcc_lo
	s_and_saveexec_b32 s3, s18
	s_cbranch_execz .LBB61_66
; %bb.65:                               ;   in Loop: Header=BB61_3 Depth=1
	v_add_co_u32 v204, vcc_lo, v54, v34
	s_wait_alu 0xfffd
	v_add_co_ci_u32_e64 v205, null, v55, v35, vcc_lo
	v_add_co_u32 v206, vcc_lo, v56, v34
	s_wait_alu 0xfffd
	v_add_co_ci_u32_e64 v207, null, v57, v35, vcc_lo
	global_load_b32 v31, v[204:205], off
	global_load_b32 v204, v[206:207], off
.LBB61_66:                              ;   in Loop: Header=BB61_3 Depth=1
	s_wait_alu 0xfffe
	s_or_b32 exec_lo, exec_lo, s3
	v_add_co_u32 v205, vcc_lo, v36, 30
	s_wait_alu 0xfffd
	v_add_co_ci_u32_e64 v206, null, 0, v37, vcc_lo
	s_delay_alu instid0(VALU_DEP_1) | instskip(SKIP_1) | instid1(SALU_CYCLE_1)
	v_cmp_gt_i64_e32 vcc_lo, s[4:5], v[205:206]
	s_and_b32 s18, s2, vcc_lo
	s_and_saveexec_b32 s3, s18
	s_cbranch_execz .LBB61_68
; %bb.67:                               ;   in Loop: Header=BB61_3 Depth=1
	v_add_co_u32 v205, vcc_lo, v50, v34
	s_wait_alu 0xfffd
	v_add_co_ci_u32_e64 v206, null, v51, v35, vcc_lo
	v_add_co_u32 v207, vcc_lo, v52, v34
	s_wait_alu 0xfffd
	v_add_co_ci_u32_e64 v208, null, v53, v35, vcc_lo
	global_load_b32 v32, v[205:206], off
	global_load_b32 v203, v[207:208], off
.LBB61_68:                              ;   in Loop: Header=BB61_3 Depth=1
	s_wait_alu 0xfffe
	s_or_b32 exec_lo, exec_lo, s3
	v_add_co_u32 v205, vcc_lo, v36, 31
	s_wait_alu 0xfffd
	v_add_co_ci_u32_e64 v206, null, 0, v37, vcc_lo
	v_mov_b32_e32 v186, 0
	s_delay_alu instid0(VALU_DEP_2) | instskip(SKIP_1) | instid1(SALU_CYCLE_1)
	v_cmp_gt_i64_e32 vcc_lo, s[4:5], v[205:206]
	s_and_b32 s18, s2, vcc_lo
	s_and_saveexec_b32 s3, s18
	s_cbranch_execz .LBB61_70
; %bb.69:                               ;   in Loop: Header=BB61_3 Depth=1
	v_add_co_u32 v205, vcc_lo, v46, v34
	s_wait_alu 0xfffd
	v_add_co_ci_u32_e64 v206, null, v47, v35, vcc_lo
	v_add_co_u32 v207, vcc_lo, v48, v34
	s_wait_alu 0xfffd
	v_add_co_ci_u32_e64 v208, null, v49, v35, vcc_lo
	global_load_b32 v33, v[205:206], off
	global_load_b32 v186, v[207:208], off
.LBB61_70:                              ;   in Loop: Header=BB61_3 Depth=1
	s_wait_alu 0xfffe
	s_or_b32 exec_lo, exec_lo, s3
	s_wait_loadcnt 0x1
	ds_bpermute_b32 v170, v1, v171
	ds_bpermute_b32 v208, v1, v171 offset:4
	ds_bpermute_b32 v210, v1, v171 offset:8
	s_wait_loadcnt 0x0
	ds_bpermute_b32 v205, v1, v172
	ds_bpermute_b32 v207, v1, v172 offset:4
	ds_bpermute_b32 v212, v1, v171 offset:12
	;; [unrolled: 1-line block ×4, first 2 shown]
	v_mov_b32_e32 v228, v223
	ds_bpermute_b32 v211, v1, v172 offset:12
	ds_bpermute_b32 v216, v1, v171 offset:20
	;; [unrolled: 1-line block ×11, first 2 shown]
	s_wait_dscnt 0x11
	v_dual_sub_f32 v165, v165, v170 :: v_dual_sub_f32 v170, v174, v208
	s_wait_dscnt 0x10
	v_sub_f32_e32 v173, v173, v210
	v_add_f32_e32 v206, v223, v2
	ds_bpermute_b32 v226, v1, v171 offset:40
	ds_bpermute_b32 v223, v1, v172 offset:36
	v_dual_mul_f32 v208, v3, v170 :: v_dual_mul_f32 v173, v4, v173
	v_dual_mul_f32 v2, v2, v165 :: v_dual_add_f32 v3, v3, v206
	ds_bpermute_b32 v174, v1, v171 offset:44
	ds_bpermute_b32 v225, v1, v172 offset:40
	;; [unrolled: 1-line block ×3, first 2 shown]
	s_wait_dscnt 0x14
	v_fma_f32 v170, v2, v205, v202
	v_add_f32_e32 v3, v4, v3
	s_wait_dscnt 0x12
	v_sub_f32_e32 v176, v176, v212
	s_wait_dscnt 0x10
	v_sub_f32_e32 v4, v175, v214
	ds_bpermute_b32 v205, v1, v171 offset:48
	ds_bpermute_b32 v2, v1, v172 offset:48
	v_add_f32_e32 v3, v5, v3
	v_dual_fmac_f32 v170, v208, v207 :: v_dual_mul_f32 v175, v5, v176
	s_wait_dscnt 0x10
	v_sub_f32_e32 v5, v178, v216
	v_mul_f32_e32 v4, v6, v4
	s_delay_alu instid0(VALU_DEP_3) | instskip(SKIP_1) | instid1(VALU_DEP_3)
	v_dual_add_f32 v3, v6, v3 :: v_dual_fmac_f32 v170, v173, v209
	s_wait_dscnt 0xe
	v_dual_sub_f32 v6, v177, v218 :: v_dual_mul_f32 v5, v7, v5
	ds_bpermute_b32 v173, v1, v172 offset:52
	v_add_f32_e32 v3, v7, v3
	v_fmac_f32_e32 v170, v175, v211
	s_wait_dscnt 0xd
	v_dual_sub_f32 v7, v179, v222 :: v_dual_sub_f32 v176, v180, v220
	ds_bpermute_b32 v175, v1, v171 offset:52
	s_mov_b32 s3, 0
	v_fmac_f32_e32 v170, v4, v213
	v_add_f32_e32 v3, v8, v3
	v_dual_mul_f32 v7, v10, v7 :: v_dual_mul_f32 v176, v9, v176
	v_mul_f32_e32 v6, v8, v6
	s_wait_dscnt 0xd
	v_fmac_f32_e32 v170, v5, v215
	ds_bpermute_b32 v5, v1, v171 offset:56
	v_add_f32_e32 v3, v9, v3
	ds_bpermute_b32 v9, v1, v171 offset:60
	ds_bpermute_b32 v4, v1, v172 offset:56
	v_add_f32_e32 v3, v10, v3
	s_wait_dscnt 0xf
	s_delay_alu instid0(VALU_DEP_1) | instskip(NEXT) | instid1(VALU_DEP_1)
	v_dual_sub_f32 v8, v182, v224 :: v_dual_add_f32 v3, v11, v3
	v_mul_f32_e32 v8, v11, v8
	s_wait_dscnt 0x6
	v_sub_f32_e32 v11, v183, v205
	v_fmac_f32_e32 v170, v6, v217
	ds_bpermute_b32 v6, v1, v172 offset:60
	v_add_f32_e32 v3, v12, v3
	v_mul_f32_e32 v11, v14, v11
	s_wait_dscnt 0x3
	v_dual_fmac_f32 v170, v176, v219 :: v_dual_sub_f32 v5, v185, v5
	v_sub_f32_e32 v176, v181, v226
	v_dual_add_f32 v3, v13, v3 :: v_dual_sub_f32 v10, v184, v174
	s_delay_alu instid0(VALU_DEP_3) | instskip(SKIP_1) | instid1(VALU_DEP_3)
	v_fmac_f32_e32 v170, v7, v221
	s_wait_dscnt 0x2
	v_dual_sub_f32 v9, v189, v9 :: v_dual_mul_f32 v174, v12, v176
	s_delay_alu instid0(VALU_DEP_3)
	v_dual_add_f32 v3, v14, v3 :: v_dual_mul_f32 v10, v13, v10
	v_mul_f32_e32 v5, v16, v5
	v_fmac_f32_e32 v170, v8, v223
	ds_bpermute_b32 v8, v1, v171 offset:64
	v_add_f32_e32 v3, v15, v3
	v_mul_f32_e32 v9, v17, v9
	ds_bpermute_b32 v12, v1, v171 offset:68
	v_fmac_f32_e32 v170, v174, v225
	v_sub_f32_e32 v174, v187, v175
	v_add_f32_e32 v3, v16, v3
	ds_bpermute_b32 v7, v1, v172 offset:64
	v_dual_mov_b32 v223, v228 :: v_dual_fmac_f32 v170, v10, v165
	v_mul_f32_e32 v13, v15, v174
	ds_bpermute_b32 v10, v1, v171 offset:72
	v_add_f32_e32 v3, v17, v3
	ds_bpermute_b32 v165, v1, v172 offset:124
	v_fmac_f32_e32 v170, v11, v2
	ds_bpermute_b32 v2, v1, v172 offset:68
	ds_bpermute_b32 v11, v1, v172 offset:72
	v_dual_add_f32 v3, v18, v3 :: v_dual_fmac_f32 v170, v13, v173
	ds_bpermute_b32 v13, v1, v171 offset:76
	s_wait_dscnt 0x9
	v_dual_add_f32 v3, v19, v3 :: v_dual_fmac_f32 v170, v5, v4
	ds_bpermute_b32 v5, v1, v171 offset:80
	s_wait_dscnt 0x8
	v_sub_f32_e32 v4, v188, v8
	s_wait_dscnt 0x7
	v_dual_sub_f32 v8, v191, v12 :: v_dual_add_f32 v3, v20, v3
	v_fmac_f32_e32 v170, v9, v6
	ds_bpermute_b32 v6, v1, v172 offset:76
	v_mul_f32_e32 v4, v18, v4
	s_wait_dscnt 0x6
	v_sub_f32_e32 v9, v190, v10
	ds_bpermute_b32 v10, v1, v171 offset:84
	v_add_f32_e32 v3, v21, v3
	v_fmac_f32_e32 v170, v4, v7
	v_mul_f32_e32 v7, v20, v9
	ds_bpermute_b32 v4, v1, v172 offset:80
	ds_bpermute_b32 v9, v1, v172 offset:84
	v_add_f32_e32 v3, v22, v3
	s_wait_dscnt 0x4
	v_dual_sub_f32 v5, v192, v5 :: v_dual_mul_f32 v8, v19, v8
	s_delay_alu instid0(VALU_DEP_2) | instskip(NEXT) | instid1(VALU_DEP_2)
	v_add_f32_e32 v3, v23, v3
	v_dual_mul_f32 v5, v22, v5 :: v_dual_fmac_f32 v170, v8, v2
	v_sub_f32_e32 v2, v193, v13
	ds_bpermute_b32 v8, v1, v171 offset:88
	v_add_f32_e32 v3, v24, v3
	v_fmac_f32_e32 v170, v7, v11
	ds_bpermute_b32 v7, v1, v171 offset:92
	v_mul_f32_e32 v2, v21, v2
	ds_bpermute_b32 v11, v1, v172 offset:116
	s_wait_dscnt 0x6
	v_dual_add_f32 v3, v25, v3 :: v_dual_fmac_f32 v170, v2, v6
	ds_bpermute_b32 v2, v1, v172 offset:88
	s_wait_dscnt 0x6
	v_sub_f32_e32 v6, v195, v10
	ds_bpermute_b32 v10, v1, v171 offset:96
	v_add_f32_e32 v3, v26, v3
	s_delay_alu instid0(VALU_DEP_1)
	v_add_f32_e32 v3, v27, v3
	s_wait_dscnt 0x3
	v_sub_f32_e32 v7, v197, v7
	v_fmac_f32_e32 v170, v5, v4
	ds_bpermute_b32 v4, v1, v172 offset:92
	v_dual_mul_f32 v5, v23, v6 :: v_dual_sub_f32 v6, v194, v8
	ds_bpermute_b32 v8, v1, v171 offset:100
	v_dual_add_f32 v3, v28, v3 :: v_dual_fmac_f32 v170, v5, v9
	ds_bpermute_b32 v5, v1, v172 offset:96
	ds_bpermute_b32 v9, v1, v171 offset:104
	v_dual_mul_f32 v6, v24, v6 :: v_dual_add_f32 v3, v29, v3
	s_wait_dscnt 0x5
	s_delay_alu instid0(VALU_DEP_1)
	v_fmac_f32_e32 v170, v6, v2
	ds_bpermute_b32 v2, v1, v172 offset:100
	s_wait_dscnt 0x5
	v_dual_mul_f32 v6, v25, v7 :: v_dual_sub_f32 v7, v196, v10
	ds_bpermute_b32 v10, v1, v171 offset:108
	v_add_f32_e32 v3, v30, v3
	s_wait_dscnt 0x5
	v_fmac_f32_e32 v170, v6, v4
	v_mul_f32_e32 v4, v26, v7
	ds_bpermute_b32 v6, v1, v172 offset:104
	s_wait_dscnt 0x5
	v_sub_f32_e32 v7, v199, v8
	ds_bpermute_b32 v8, v1, v171 offset:112
	s_wait_dscnt 0x5
	v_dual_add_f32 v3, v31, v3 :: v_dual_fmac_f32 v170, v4, v5
	ds_bpermute_b32 v4, v1, v172 offset:108
	v_mul_f32_e32 v5, v27, v7
	s_wait_dscnt 0x5
	v_sub_f32_e32 v7, v198, v9
	ds_bpermute_b32 v9, v1, v171 offset:116
	s_wait_dscnt 0x5
	v_dual_add_f32 v3, v32, v3 :: v_dual_fmac_f32 v170, v5, v2
	ds_bpermute_b32 v5, v1, v172 offset:112
	v_mul_f32_e32 v2, v28, v7
	ds_bpermute_b32 v7, v1, v171 offset:120
	s_wait_dscnt 0x6
	v_sub_f32_e32 v10, v201, v10
	s_wait_dscnt 0x5
	v_fmac_f32_e32 v170, v2, v6
	s_delay_alu instid0(VALU_DEP_2)
	v_mul_f32_e32 v2, v29, v10
	s_wait_dscnt 0x4
	v_sub_f32_e32 v6, v200, v8
	ds_bpermute_b32 v8, v1, v172 offset:120
	s_wait_dscnt 0x4
	v_fmac_f32_e32 v170, v2, v4
	v_mul_f32_e32 v4, v30, v6
	s_wait_dscnt 0x3
	v_sub_f32_e32 v6, v204, v9
	ds_bpermute_b32 v2, v1, v171 offset:124
	s_wait_dscnt 0x3
	v_fmac_f32_e32 v170, v4, v5
	v_mul_f32_e32 v4, v31, v6
	s_wait_dscnt 0x2
	v_sub_f32_e32 v5, v203, v7
	s_delay_alu instid0(VALU_DEP_2) | instskip(NEXT) | instid1(VALU_DEP_2)
	v_fmac_f32_e32 v170, v4, v11
	v_mul_f32_e32 v4, v32, v5
	s_wait_dscnt 0x1
	s_delay_alu instid0(VALU_DEP_1)
	v_fmac_f32_e32 v170, v4, v8
.LBB61_71:                              ;   in Loop: Header=BB61_3 Depth=1
	s_wait_alu 0xfffe
	s_and_b32 vcc_lo, exec_lo, s3
	s_wait_alu 0xfffe
	s_cbranch_vccz .LBB61_137
; %bb.72:                               ;   in Loop: Header=BB61_3 Depth=1
	s_load_b32 s3, s[20:21], 0x0
	v_mov_b32_e32 v165, 0
	s_wait_kmcnt 0x0
	s_cmp_lt_u32 ttmp9, s3
	s_cselect_b32 s18, 12, 18
	s_delay_alu instid0(SALU_CYCLE_1)
	s_add_nc_u64 s[34:35], s[20:21], s[18:19]
	s_load_u16 s3, s[34:35], 0x0
	s_wait_dscnt 0x0
	s_wait_kmcnt 0x0
	v_mad_u32_u24 v2, v38, s3, v40
	s_mov_b32 s3, exec_lo
	s_delay_alu instid0(VALU_DEP_1) | instskip(NEXT) | instid1(VALU_DEP_1)
	v_and_b32_e32 v2, 31, v2
	v_add_co_u32 v2, vcc_lo, v36, v2
	s_wait_alu 0xfffd
	v_add_co_ci_u32_e64 v3, null, 0, v37, vcc_lo
	v_dual_mov_b32 v37, 0 :: v_dual_mov_b32 v36, 0
	s_delay_alu instid0(VALU_DEP_2)
	v_cmpx_gt_i64_e64 s[4:5], v[2:3]
	s_cbranch_execz .LBB61_74
; %bb.73:                               ;   in Loop: Header=BB61_3 Depth=1
	v_lshlrev_b64_e32 v[2:3], 2, v[2:3]
	s_delay_alu instid0(VALU_DEP_1) | instskip(SKIP_1) | instid1(VALU_DEP_2)
	v_add_co_u32 v4, vcc_lo, s12, v2
	s_wait_alu 0xfffd
	v_add_co_ci_u32_e64 v5, null, s13, v3, vcc_lo
	v_add_co_u32 v2, vcc_lo, s14, v2
	s_wait_alu 0xfffd
	v_add_co_ci_u32_e64 v3, null, s15, v3, vcc_lo
	global_load_b32 v36, v[4:5], off
	global_load_b32 v37, v[2:3], off
.LBB61_74:                              ;   in Loop: Header=BB61_3 Depth=1
	s_wait_alu 0xfffe
	s_or_b32 exec_lo, exec_lo, s3
	v_mov_b32_e32 v32, v1
	v_dual_mov_b32 v2, v1 :: v_dual_mov_b32 v3, v1
	v_dual_mov_b32 v4, v1 :: v_dual_mov_b32 v5, v1
	;; [unrolled: 1-line block ×15, first 2 shown]
	v_mov_b32_e32 v33, v32
	s_delay_alu instid0(VALU_DEP_2) | instskip(NEXT) | instid1(VALU_DEP_3)
	v_mov_b32_e32 v32, v31
	v_mov_b32_e32 v31, v30
	;; [unrolled: 1-line block ×31, first 2 shown]
	s_and_saveexec_b32 s3, s2
	s_cbranch_execz .LBB61_76
; %bb.75:                               ;   in Loop: Header=BB61_3 Depth=1
	v_add_co_u32 v2, vcc_lo, v42, v34
	s_wait_alu 0xfffd
	v_add_co_ci_u32_e64 v3, null, v43, v35, vcc_lo
	v_add_co_u32 v4, vcc_lo, v44, v34
	s_wait_alu 0xfffd
	v_add_co_ci_u32_e64 v5, null, v45, v35, vcc_lo
	global_load_b32 v2, v[2:3], off
	global_load_b32 v165, v[4:5], off
	v_dual_mov_b32 v3, v1 :: v_dual_mov_b32 v4, v1
	v_dual_mov_b32 v5, v1 :: v_dual_mov_b32 v6, v1
	;; [unrolled: 1-line block ×15, first 2 shown]
	v_mov_b32_e32 v33, v1
.LBB61_76:                              ;   in Loop: Header=BB61_3 Depth=1
	s_wait_alu 0xfffe
	s_or_b32 exec_lo, exec_lo, s3
	v_dual_mov_b32 v171, 0 :: v_dual_mov_b32 v172, 0
	s_and_saveexec_b32 s3, s2
	s_cbranch_execz .LBB61_78
; %bb.77:                               ;   in Loop: Header=BB61_3 Depth=1
	v_add_co_u32 v172, vcc_lo, v166, v34
	s_wait_alu 0xfffd
	v_add_co_ci_u32_e64 v173, null, v167, v35, vcc_lo
	v_add_co_u32 v174, vcc_lo, v168, v34
	s_wait_alu 0xfffd
	v_add_co_ci_u32_e64 v175, null, v169, v35, vcc_lo
	global_load_b32 v3, v[172:173], off
	global_load_b32 v172, v[174:175], off
.LBB61_78:                              ;   in Loop: Header=BB61_3 Depth=1
	s_wait_alu 0xfffe
	s_or_b32 exec_lo, exec_lo, s3
	s_and_saveexec_b32 s3, s2
	s_cbranch_execz .LBB61_80
; %bb.79:                               ;   in Loop: Header=BB61_3 Depth=1
	v_add_co_u32 v170, vcc_lo, v161, v34
	s_wait_alu 0xfffd
	v_add_co_ci_u32_e64 v171, null, v162, v35, vcc_lo
	v_add_co_u32 v173, vcc_lo, v163, v34
	s_wait_alu 0xfffd
	v_add_co_ci_u32_e64 v174, null, v164, v35, vcc_lo
	global_load_b32 v4, v[170:171], off
	global_load_b32 v171, v[173:174], off
.LBB61_80:                              ;   in Loop: Header=BB61_3 Depth=1
	s_wait_alu 0xfffe
	s_or_b32 exec_lo, exec_lo, s3
	v_dual_mov_b32 v173, 0 :: v_dual_mov_b32 v174, 0
	s_and_saveexec_b32 s3, s2
	s_cbranch_execz .LBB61_82
; %bb.81:                               ;   in Loop: Header=BB61_3 Depth=1
	v_add_co_u32 v174, vcc_lo, v157, v34
	s_wait_alu 0xfffd
	v_add_co_ci_u32_e64 v175, null, v158, v35, vcc_lo
	v_add_co_u32 v176, vcc_lo, v159, v34
	s_wait_alu 0xfffd
	v_add_co_ci_u32_e64 v177, null, v160, v35, vcc_lo
	global_load_b32 v5, v[174:175], off
	global_load_b32 v174, v[176:177], off
.LBB61_82:                              ;   in Loop: Header=BB61_3 Depth=1
	s_wait_alu 0xfffe
	s_or_b32 exec_lo, exec_lo, s3
	s_and_saveexec_b32 s3, s2
	s_cbranch_execz .LBB61_84
; %bb.83:                               ;   in Loop: Header=BB61_3 Depth=1
	v_add_co_u32 v175, vcc_lo, v153, v34
	s_wait_alu 0xfffd
	v_add_co_ci_u32_e64 v176, null, v154, v35, vcc_lo
	v_add_co_u32 v177, vcc_lo, v155, v34
	s_wait_alu 0xfffd
	v_add_co_ci_u32_e64 v178, null, v156, v35, vcc_lo
	global_load_b32 v6, v[175:176], off
	global_load_b32 v173, v[177:178], off
.LBB61_84:                              ;   in Loop: Header=BB61_3 Depth=1
	;; [unrolled: 29-line block ×5, first 2 shown]
	s_wait_alu 0xfffe
	s_or_b32 exec_lo, exec_lo, s3
	v_dual_mov_b32 v181, 0 :: v_dual_mov_b32 v182, 0
	s_and_saveexec_b32 s3, s2
	s_cbranch_execz .LBB61_98
; %bb.97:                               ;   in Loop: Header=BB61_3 Depth=1
	v_add_co_u32 v182, vcc_lo, v125, v34
	s_wait_alu 0xfffd
	v_add_co_ci_u32_e64 v183, null, v126, v35, vcc_lo
	v_add_co_u32 v184, vcc_lo, v127, v34
	s_wait_alu 0xfffd
	v_add_co_ci_u32_e64 v185, null, v128, v35, vcc_lo
	global_load_b32 v13, v[182:183], off
	global_load_b32 v182, v[184:185], off
.LBB61_98:                              ;   in Loop: Header=BB61_3 Depth=1
	s_wait_alu 0xfffe
	s_or_b32 exec_lo, exec_lo, s3
	s_and_saveexec_b32 s3, s2
	s_cbranch_execz .LBB61_100
; %bb.99:                               ;   in Loop: Header=BB61_3 Depth=1
	v_add_co_u32 v183, vcc_lo, v121, v34
	s_wait_alu 0xfffd
	v_add_co_ci_u32_e64 v184, null, v122, v35, vcc_lo
	v_add_co_u32 v185, vcc_lo, v123, v34
	s_wait_alu 0xfffd
	v_add_co_ci_u32_e64 v186, null, v124, v35, vcc_lo
	global_load_b32 v14, v[183:184], off
	global_load_b32 v181, v[185:186], off
.LBB61_100:                             ;   in Loop: Header=BB61_3 Depth=1
	s_wait_alu 0xfffe
	s_or_b32 exec_lo, exec_lo, s3
	v_dual_mov_b32 v183, 0 :: v_dual_mov_b32 v184, 0
	s_and_saveexec_b32 s3, s2
	s_cbranch_execz .LBB61_102
; %bb.101:                              ;   in Loop: Header=BB61_3 Depth=1
	v_add_co_u32 v184, vcc_lo, v117, v34
	s_wait_alu 0xfffd
	v_add_co_ci_u32_e64 v185, null, v118, v35, vcc_lo
	v_add_co_u32 v186, vcc_lo, v119, v34
	s_wait_alu 0xfffd
	v_add_co_ci_u32_e64 v187, null, v120, v35, vcc_lo
	global_load_b32 v15, v[184:185], off
	global_load_b32 v184, v[186:187], off
.LBB61_102:                             ;   in Loop: Header=BB61_3 Depth=1
	s_wait_alu 0xfffe
	s_or_b32 exec_lo, exec_lo, s3
	s_and_saveexec_b32 s3, s2
	s_cbranch_execz .LBB61_104
; %bb.103:                              ;   in Loop: Header=BB61_3 Depth=1
	v_add_co_u32 v185, vcc_lo, v113, v34
	s_wait_alu 0xfffd
	v_add_co_ci_u32_e64 v186, null, v114, v35, vcc_lo
	v_add_co_u32 v187, vcc_lo, v115, v34
	s_wait_alu 0xfffd
	v_add_co_ci_u32_e64 v188, null, v116, v35, vcc_lo
	global_load_b32 v16, v[185:186], off
	global_load_b32 v183, v[187:188], off
.LBB61_104:                             ;   in Loop: Header=BB61_3 Depth=1
	s_wait_alu 0xfffe
	s_or_b32 exec_lo, exec_lo, s3
	v_mov_b32_e32 v185, 0
	v_mov_b32_e32 v187, 0
	s_and_saveexec_b32 s3, s2
	s_cbranch_execz .LBB61_106
; %bb.105:                              ;   in Loop: Header=BB61_3 Depth=1
	v_add_co_u32 v186, vcc_lo, v109, v34
	s_wait_alu 0xfffd
	v_add_co_ci_u32_e64 v187, null, v110, v35, vcc_lo
	v_add_co_u32 v188, vcc_lo, v111, v34
	s_wait_alu 0xfffd
	v_add_co_ci_u32_e64 v189, null, v112, v35, vcc_lo
	global_load_b32 v17, v[186:187], off
	global_load_b32 v187, v[188:189], off
.LBB61_106:                             ;   in Loop: Header=BB61_3 Depth=1
	s_wait_alu 0xfffe
	s_or_b32 exec_lo, exec_lo, s3
	s_and_saveexec_b32 s3, s2
	s_cbranch_execz .LBB61_108
; %bb.107:                              ;   in Loop: Header=BB61_3 Depth=1
	v_add_co_u32 v185, vcc_lo, v105, v34
	s_wait_alu 0xfffd
	v_add_co_ci_u32_e64 v186, null, v106, v35, vcc_lo
	v_add_co_u32 v188, vcc_lo, v107, v34
	s_wait_alu 0xfffd
	v_add_co_ci_u32_e64 v189, null, v108, v35, vcc_lo
	global_load_b32 v18, v[185:186], off
	global_load_b32 v185, v[188:189], off
.LBB61_108:                             ;   in Loop: Header=BB61_3 Depth=1
	s_wait_alu 0xfffe
	s_or_b32 exec_lo, exec_lo, s3
	v_dual_mov_b32 v188, 0 :: v_dual_mov_b32 v189, 0
	s_and_saveexec_b32 s3, s2
	s_cbranch_execz .LBB61_110
; %bb.109:                              ;   in Loop: Header=BB61_3 Depth=1
	v_add_co_u32 v189, vcc_lo, v101, v34
	s_wait_alu 0xfffd
	v_add_co_ci_u32_e64 v190, null, v102, v35, vcc_lo
	v_add_co_u32 v191, vcc_lo, v103, v34
	s_wait_alu 0xfffd
	v_add_co_ci_u32_e64 v192, null, v104, v35, vcc_lo
	global_load_b32 v19, v[189:190], off
	global_load_b32 v189, v[191:192], off
.LBB61_110:                             ;   in Loop: Header=BB61_3 Depth=1
	s_wait_alu 0xfffe
	s_or_b32 exec_lo, exec_lo, s3
	s_and_saveexec_b32 s3, s2
	s_cbranch_execz .LBB61_112
; %bb.111:                              ;   in Loop: Header=BB61_3 Depth=1
	v_add_co_u32 v190, vcc_lo, v97, v34
	s_wait_alu 0xfffd
	v_add_co_ci_u32_e64 v191, null, v98, v35, vcc_lo
	v_add_co_u32 v192, vcc_lo, v99, v34
	s_wait_alu 0xfffd
	v_add_co_ci_u32_e64 v193, null, v100, v35, vcc_lo
	global_load_b32 v20, v[190:191], off
	global_load_b32 v188, v[192:193], off
.LBB61_112:                             ;   in Loop: Header=BB61_3 Depth=1
	s_wait_alu 0xfffe
	s_or_b32 exec_lo, exec_lo, s3
	v_dual_mov_b32 v190, 0 :: v_dual_mov_b32 v191, 0
	;; [unrolled: 29-line block ×5, first 2 shown]
	s_and_saveexec_b32 s3, s2
	s_cbranch_execz .LBB61_126
; %bb.125:                              ;   in Loop: Header=BB61_3 Depth=1
	v_add_co_u32 v197, vcc_lo, v70, v34
	s_wait_alu 0xfffd
	v_add_co_ci_u32_e64 v198, null, v71, v35, vcc_lo
	v_add_co_u32 v199, vcc_lo, v72, v34
	s_wait_alu 0xfffd
	v_add_co_ci_u32_e64 v200, null, v73, v35, vcc_lo
	global_load_b32 v27, v[197:198], off
	global_load_b32 v197, v[199:200], off
.LBB61_126:                             ;   in Loop: Header=BB61_3 Depth=1
	s_wait_alu 0xfffe
	s_or_b32 exec_lo, exec_lo, s3
	s_and_saveexec_b32 s3, s2
	s_cbranch_execz .LBB61_128
; %bb.127:                              ;   in Loop: Header=BB61_3 Depth=1
	v_add_co_u32 v198, vcc_lo, v66, v34
	s_wait_alu 0xfffd
	v_add_co_ci_u32_e64 v199, null, v67, v35, vcc_lo
	v_add_co_u32 v200, vcc_lo, v68, v34
	s_wait_alu 0xfffd
	v_add_co_ci_u32_e64 v201, null, v69, v35, vcc_lo
	global_load_b32 v28, v[198:199], off
	global_load_b32 v196, v[200:201], off
.LBB61_128:                             ;   in Loop: Header=BB61_3 Depth=1
	s_wait_alu 0xfffe
	s_or_b32 exec_lo, exec_lo, s3
	v_mov_b32_e32 v198, 0
	v_mov_b32_e32 v170, 0
	s_and_saveexec_b32 s3, s2
	s_cbranch_execz .LBB61_130
; %bb.129:                              ;   in Loop: Header=BB61_3 Depth=1
	v_add_co_u32 v199, vcc_lo, v62, v34
	s_wait_alu 0xfffd
	v_add_co_ci_u32_e64 v200, null, v63, v35, vcc_lo
	v_add_co_u32 v203, vcc_lo, v64, v34
	s_wait_alu 0xfffd
	v_add_co_ci_u32_e64 v204, null, v65, v35, vcc_lo
	global_load_b32 v29, v[199:200], off
	global_load_b32 v170, v[203:204], off
.LBB61_130:                             ;   in Loop: Header=BB61_3 Depth=1
	s_wait_alu 0xfffe
	s_or_b32 exec_lo, exec_lo, s3
	s_and_saveexec_b32 s3, s2
	s_cbranch_execz .LBB61_132
; %bb.131:                              ;   in Loop: Header=BB61_3 Depth=1
	v_add_co_u32 v198, vcc_lo, v58, v34
	s_wait_alu 0xfffd
	v_add_co_ci_u32_e64 v199, null, v59, v35, vcc_lo
	v_add_co_u32 v200, vcc_lo, v60, v34
	s_wait_alu 0xfffd
	v_add_co_ci_u32_e64 v201, null, v61, v35, vcc_lo
	global_load_b32 v30, v[198:199], off
	global_load_b32 v198, v[200:201], off
.LBB61_132:                             ;   in Loop: Header=BB61_3 Depth=1
	s_wait_alu 0xfffe
	s_or_b32 exec_lo, exec_lo, s3
	v_dual_mov_b32 v199, 0 :: v_dual_mov_b32 v200, 0
	s_and_saveexec_b32 s3, s2
	s_cbranch_execnz .LBB61_139
; %bb.133:                              ;   in Loop: Header=BB61_3 Depth=1
	s_wait_alu 0xfffe
	s_or_b32 exec_lo, exec_lo, s3
	s_and_saveexec_b32 s3, s2
	s_cbranch_execnz .LBB61_140
.LBB61_134:                             ;   in Loop: Header=BB61_3 Depth=1
	s_wait_alu 0xfffe
	s_or_b32 exec_lo, exec_lo, s3
	v_mov_b32_e32 v186, 0
	s_and_saveexec_b32 s3, s2
	s_cbranch_execz .LBB61_136
.LBB61_135:                             ;   in Loop: Header=BB61_3 Depth=1
	v_add_co_u32 v203, vcc_lo, v46, v34
	s_wait_alu 0xfffd
	v_add_co_ci_u32_e64 v204, null, v47, v35, vcc_lo
	v_add_co_u32 v205, vcc_lo, v48, v34
	s_wait_alu 0xfffd
	v_add_co_ci_u32_e64 v206, null, v49, v35, vcc_lo
	global_load_b32 v33, v[203:204], off
	global_load_b32 v186, v[205:206], off
.LBB61_136:                             ;   in Loop: Header=BB61_3 Depth=1
	s_wait_alu 0xfffe
	s_or_b32 exec_lo, exec_lo, s3
	s_wait_loadcnt 0x1
	ds_bpermute_b32 v201, v1, v36
	ds_bpermute_b32 v206, v1, v36 offset:4
	ds_bpermute_b32 v208, v1, v36 offset:8
	s_wait_loadcnt 0x0
	ds_bpermute_b32 v203, v1, v37
	ds_bpermute_b32 v210, v1, v36 offset:12
	ds_bpermute_b32 v205, v1, v37 offset:4
	;; [unrolled: 1-line block ×3, first 2 shown]
	v_add_f32_e32 v204, v223, v2
	ds_bpermute_b32 v207, v1, v37 offset:8
	ds_bpermute_b32 v214, v1, v36 offset:20
	;; [unrolled: 1-line block ×12, first 2 shown]
	s_wait_dscnt 0x11
	v_dual_sub_f32 v165, v165, v201 :: v_dual_sub_f32 v172, v172, v206
	s_wait_dscnt 0x10
	v_sub_f32_e32 v171, v171, v208
	ds_bpermute_b32 v201, v1, v36 offset:36
	ds_bpermute_b32 v206, v1, v36 offset:44
	v_mul_f32_e32 v2, v2, v165
	v_dual_mul_f32 v172, v3, v172 :: v_dual_mul_f32 v171, v4, v171
	s_wait_dscnt 0x10
	v_dual_add_f32 v3, v3, v204 :: v_dual_sub_f32 v174, v174, v210
	ds_bpermute_b32 v221, v1, v37 offset:36
	ds_bpermute_b32 v222, v1, v37 offset:40
	;; [unrolled: 1-line block ×3, first 2 shown]
	v_add_f32_e32 v3, v4, v3
	v_fmac_f32_e32 v202, v2, v203
	s_wait_dscnt 0x11
	v_sub_f32_e32 v4, v173, v212
	v_mul_f32_e32 v173, v5, v174
	ds_bpermute_b32 v2, v1, v37 offset:48
	v_dual_add_f32 v3, v5, v3 :: v_dual_fmac_f32 v202, v172, v205
	ds_bpermute_b32 v172, v1, v36 offset:48
	s_wait_dscnt 0x11
	v_dual_sub_f32 v5, v176, v214 :: v_dual_mul_f32 v4, v6, v4
	s_wait_dscnt 0x10
	v_dual_add_f32 v3, v6, v3 :: v_dual_sub_f32 v6, v175, v216
	v_fmac_f32_e32 v202, v171, v207
	s_wait_dscnt 0xf
	v_dual_sub_f32 v174, v178, v218 :: v_dual_mul_f32 v5, v7, v5
	s_delay_alu instid0(VALU_DEP_3)
	v_add_f32_e32 v3, v7, v3
	s_wait_dscnt 0xd
	v_sub_f32_e32 v7, v177, v220
	v_fmac_f32_e32 v202, v173, v209
	v_mul_f32_e32 v6, v8, v6
	ds_bpermute_b32 v173, v1, v36 offset:52
	v_add_f32_e32 v3, v8, v3
	s_wait_dscnt 0x7
	v_sub_f32_e32 v8, v180, v201
	v_fmac_f32_e32 v202, v4, v211
	v_mul_f32_e32 v7, v10, v7
	ds_bpermute_b32 v171, v1, v37 offset:52
	v_add_f32_e32 v3, v9, v3
	v_mul_f32_e32 v174, v9, v174
	v_mul_f32_e32 v8, v11, v8
	ds_bpermute_b32 v9, v1, v36 offset:60
	ds_bpermute_b32 v4, v1, v37 offset:56
	v_add_f32_e32 v3, v10, v3
	s_wait_dscnt 0x9
	s_delay_alu instid0(VALU_DEP_1)
	v_dual_sub_f32 v10, v182, v206 :: v_dual_add_f32 v3, v11, v3
	s_wait_dscnt 0x4
	v_sub_f32_e32 v11, v181, v172
	v_fmac_f32_e32 v202, v5, v213
	ds_bpermute_b32 v5, v1, v36 offset:56
	v_dual_mul_f32 v10, v13, v10 :: v_dual_add_f32 v3, v12, v3
	s_wait_dscnt 0x4
	v_sub_f32_e32 v172, v184, v173
	v_fmac_f32_e32 v202, v6, v215
	v_mul_f32_e32 v11, v14, v11
	ds_bpermute_b32 v6, v1, v37 offset:60
	v_add_f32_e32 v3, v13, v3
	v_mul_f32_e32 v13, v15, v172
	s_wait_dscnt 0x3
	v_sub_f32_e32 v9, v187, v9
	s_delay_alu instid0(VALU_DEP_3) | instskip(NEXT) | instid1(VALU_DEP_2)
	v_add_f32_e32 v3, v14, v3
	v_mul_f32_e32 v9, v17, v9
	s_delay_alu instid0(VALU_DEP_2)
	v_add_f32_e32 v3, v15, v3
	s_wait_dscnt 0x1
	v_sub_f32_e32 v5, v183, v5
	v_fmac_f32_e32 v202, v174, v217
	v_sub_f32_e32 v174, v179, v223
	v_add_f32_e32 v3, v16, v3
	s_delay_alu instid0(VALU_DEP_3) | instskip(NEXT) | instid1(VALU_DEP_3)
	v_dual_mul_f32 v5, v16, v5 :: v_dual_fmac_f32 v202, v7, v219
	v_mul_f32_e32 v174, v12, v174
	ds_bpermute_b32 v12, v1, v36 offset:68
	ds_bpermute_b32 v7, v1, v37 offset:64
	v_dual_add_f32 v3, v17, v3 :: v_dual_fmac_f32 v202, v8, v221
	ds_bpermute_b32 v8, v1, v36 offset:64
	v_add_f32_e32 v3, v18, v3
	s_delay_alu instid0(VALU_DEP_1) | instskip(NEXT) | instid1(VALU_DEP_1)
	v_dual_fmac_f32 v202, v174, v222 :: v_dual_add_f32 v3, v19, v3
	v_fmac_f32_e32 v202, v10, v165
	ds_bpermute_b32 v10, v1, v36 offset:72
	ds_bpermute_b32 v165, v1, v37 offset:124
	v_dual_add_f32 v3, v20, v3 :: v_dual_fmac_f32 v202, v11, v2
	ds_bpermute_b32 v2, v1, v37 offset:68
	ds_bpermute_b32 v11, v1, v37 offset:72
	v_fmac_f32_e32 v202, v13, v171
	ds_bpermute_b32 v13, v1, v36 offset:76
	v_fmac_f32_e32 v202, v5, v4
	s_wait_dscnt 0x7
	v_sub_f32_e32 v5, v189, v12
	s_delay_alu instid0(VALU_DEP_2)
	v_fmac_f32_e32 v202, v9, v6
	s_wait_dscnt 0x4
	v_dual_sub_f32 v9, v188, v10 :: v_dual_sub_f32 v4, v185, v8
	ds_bpermute_b32 v8, v1, v36 offset:80
	v_mul_f32_e32 v5, v19, v5
	ds_bpermute_b32 v6, v1, v37 offset:76
	ds_bpermute_b32 v10, v1, v36 offset:84
	v_mul_f32_e32 v4, v18, v4
	s_delay_alu instid0(VALU_DEP_1)
	v_fmac_f32_e32 v202, v4, v7
	v_mul_f32_e32 v7, v20, v9
	ds_bpermute_b32 v4, v1, v37 offset:80
	ds_bpermute_b32 v9, v1, v37 offset:84
	v_add_f32_e32 v3, v21, v3
	s_wait_dscnt 0x7
	v_fmac_f32_e32 v202, v5, v2
	ds_bpermute_b32 v2, v1, v36 offset:88
	s_wait_dscnt 0x6
	v_sub_f32_e32 v5, v191, v13
	v_add_f32_e32 v3, v22, v3
	v_fmac_f32_e32 v202, v7, v11
	ds_bpermute_b32 v7, v1, v36 offset:92
	s_wait_dscnt 0x6
	v_dual_sub_f32 v8, v190, v8 :: v_dual_mul_f32 v5, v21, v5
	s_wait_dscnt 0x5
	s_delay_alu instid0(VALU_DEP_1)
	v_dual_add_f32 v3, v23, v3 :: v_dual_fmac_f32 v202, v5, v6
	ds_bpermute_b32 v5, v1, v37 offset:88
	v_mul_f32_e32 v6, v22, v8
	s_wait_dscnt 0x5
	v_sub_f32_e32 v8, v193, v10
	ds_bpermute_b32 v10, v1, v36 offset:96
	v_add_f32_e32 v3, v24, v3
	s_delay_alu instid0(VALU_DEP_1)
	v_add_f32_e32 v3, v25, v3
	s_wait_dscnt 0x2
	v_dual_sub_f32 v7, v195, v7 :: v_dual_fmac_f32 v202, v6, v4
	ds_bpermute_b32 v4, v1, v37 offset:92
	v_mul_f32_e32 v6, v23, v8
	ds_bpermute_b32 v8, v1, v36 offset:100
	v_dual_sub_f32 v2, v192, v2 :: v_dual_add_f32 v3, v26, v3
	v_fmac_f32_e32 v202, v6, v9
	ds_bpermute_b32 v6, v1, v37 offset:96
	v_mul_f32_e32 v2, v24, v2
	ds_bpermute_b32 v9, v1, v36 offset:104
	s_wait_dscnt 0x5
	v_dual_add_f32 v3, v27, v3 :: v_dual_fmac_f32 v202, v2, v5
	ds_bpermute_b32 v2, v1, v37 offset:100
	v_mul_f32_e32 v5, v25, v7
	s_wait_dscnt 0x5
	v_sub_f32_e32 v7, v194, v10
	ds_bpermute_b32 v10, v1, v36 offset:108
	s_wait_dscnt 0x5
	v_dual_add_f32 v3, v28, v3 :: v_dual_fmac_f32 v202, v5, v4
	v_mul_f32_e32 v4, v26, v7
	ds_bpermute_b32 v5, v1, v37 offset:104
	s_wait_dscnt 0x5
	v_sub_f32_e32 v7, v197, v8
	ds_bpermute_b32 v8, v1, v36 offset:112
	s_wait_dscnt 0x5
	v_dual_add_f32 v3, v29, v3 :: v_dual_fmac_f32 v202, v4, v6
	ds_bpermute_b32 v6, v1, v37 offset:108
	s_wait_dscnt 0x5
	v_dual_mul_f32 v4, v27, v7 :: v_dual_sub_f32 v7, v196, v9
	ds_bpermute_b32 v9, v1, v36 offset:116
	s_wait_dscnt 0x5
	v_fmac_f32_e32 v202, v4, v2
	v_mul_f32_e32 v2, v28, v7
	ds_bpermute_b32 v4, v1, v37 offset:112
	s_wait_dscnt 0x5
	v_sub_f32_e32 v7, v170, v10
	ds_bpermute_b32 v10, v1, v36 offset:120
	s_wait_dscnt 0x5
	v_fmac_f32_e32 v202, v2, v5
	v_mul_f32_e32 v2, v29, v7
	ds_bpermute_b32 v5, v1, v37 offset:116
	s_wait_dscnt 0x5
	v_sub_f32_e32 v7, v198, v8
	v_add_f32_e32 v3, v30, v3
	s_wait_dscnt 0x4
	v_fmac_f32_e32 v202, v2, v6
	ds_bpermute_b32 v6, v1, v37 offset:120
	s_wait_dscnt 0x4
	v_dual_mul_f32 v2, v30, v7 :: v_dual_sub_f32 v7, v200, v9
	s_wait_dscnt 0x3
	s_delay_alu instid0(VALU_DEP_1) | instskip(NEXT) | instid1(VALU_DEP_2)
	v_dual_add_f32 v3, v31, v3 :: v_dual_fmac_f32 v202, v2, v4
	v_mul_f32_e32 v4, v31, v7
	s_wait_dscnt 0x2
	v_sub_f32_e32 v7, v199, v10
	ds_bpermute_b32 v2, v1, v36 offset:124
	s_wait_dscnt 0x2
	v_fmac_f32_e32 v202, v4, v5
	v_mul_f32_e32 v4, v32, v7
	s_wait_dscnt 0x1
	s_delay_alu instid0(VALU_DEP_1) | instskip(NEXT) | instid1(VALU_DEP_1)
	v_fmac_f32_e32 v202, v4, v6
	v_dual_add_f32 v3, v32, v3 :: v_dual_mov_b32 v170, v202
.LBB61_137:                             ;   in Loop: Header=BB61_3 Depth=1
	v_add_co_u32 v42, vcc_lo, v42, s24
	s_wait_alu 0xfffd
	v_add_co_ci_u32_e64 v43, null, s25, v43, vcc_lo
	v_add_co_u32 v44, vcc_lo, v44, s24
	s_wait_alu 0xfffd
	v_add_co_ci_u32_e64 v45, null, s25, v45, vcc_lo
	;; [unrolled: 3-line block ×59, first 2 shown]
	v_add_co_u32 v159, vcc_lo, v159, s24
	s_wait_dscnt 0x0
	v_dual_sub_f32 v2, v186, v2 :: v_dual_add_f32 v223, v3, v33
	s_wait_alu 0xfffd
	v_add_co_ci_u32_e64 v160, null, s25, v160, vcc_lo
	v_add_co_u32 v161, vcc_lo, v161, s24
	s_wait_alu 0xfffd
	v_add_co_ci_u32_e64 v162, null, s25, v162, vcc_lo
	v_add_co_u32 v163, vcc_lo, v163, s24
	;; [unrolled: 3-line block ×3, first 2 shown]
	s_add_nc_u64 s[28:29], s[28:29], s[22:23]
	v_mul_f32_e32 v2, v33, v2
	s_wait_alu 0xfffd
	v_add_co_ci_u32_e64 v167, null, s25, v167, vcc_lo
	v_add_co_u32 v168, vcc_lo, v168, s24
	s_wait_alu 0xfffe
	v_cmp_lt_i64_e64 s3, s[28:29], s[4:5]
	s_wait_alu 0xfffd
	v_add_co_ci_u32_e64 v169, null, s25, v169, vcc_lo
	v_add_co_u32 v39, vcc_lo, v39, s22
	v_fmac_f32_e32 v170, v2, v165
	s_wait_alu 0xfffd
	v_add_co_ci_u32_e64 v41, null, 0, v41, vcc_lo
	s_and_b32 vcc_lo, exec_lo, s3
	s_add_nc_u64 s[26:27], s[26:27], s[22:23]
	s_wait_alu 0xfffe
	s_cbranch_vccz .LBB61_142
; %bb.138:                              ;   in Loop: Header=BB61_3 Depth=1
	v_mov_b32_e32 v202, v170
	s_branch .LBB61_3
.LBB61_139:                             ;   in Loop: Header=BB61_3 Depth=1
	v_add_co_u32 v200, vcc_lo, v54, v34
	s_wait_alu 0xfffd
	v_add_co_ci_u32_e64 v201, null, v55, v35, vcc_lo
	v_add_co_u32 v203, vcc_lo, v56, v34
	s_wait_alu 0xfffd
	v_add_co_ci_u32_e64 v204, null, v57, v35, vcc_lo
	global_load_b32 v31, v[200:201], off
	global_load_b32 v200, v[203:204], off
	s_wait_alu 0xfffe
	s_or_b32 exec_lo, exec_lo, s3
	s_and_saveexec_b32 s3, s2
	s_cbranch_execz .LBB61_134
.LBB61_140:                             ;   in Loop: Header=BB61_3 Depth=1
	v_add_co_u32 v203, vcc_lo, v50, v34
	s_wait_alu 0xfffd
	v_add_co_ci_u32_e64 v204, null, v51, v35, vcc_lo
	v_add_co_u32 v205, vcc_lo, v52, v34
	s_wait_alu 0xfffd
	v_add_co_ci_u32_e64 v206, null, v53, v35, vcc_lo
	global_load_b32 v32, v[203:204], off
	global_load_b32 v199, v[205:206], off
	s_wait_alu 0xfffe
	s_or_b32 exec_lo, exec_lo, s3
	v_mov_b32_e32 v186, 0
	s_and_saveexec_b32 s3, s2
	s_cbranch_execnz .LBB61_135
	s_branch .LBB61_136
.LBB61_141:
                                        ; implicit-def: $vgpr223
                                        ; implicit-def: $vgpr170
	s_branch .LBB61_143
.LBB61_142:
	s_cbranch_execnz .LBB61_219
.LBB61_143:
	v_dual_mov_b32 v223, 0 :: v_dual_mov_b32 v170, 0
	s_and_not1_b32 vcc_lo, exec_lo, s31
	s_wait_alu 0xfffe
	s_cbranch_vccnz .LBB61_219
; %bb.144:
	v_bfe_u32 v224, v227, 10, 10
	s_lshl_b64 s[2:3], s[16:17], 2
	v_mov_b32_e32 v223, 0
	s_mov_b64 s[20:21], 31
	s_mov_b64 s[22:23], s[16:17]
	v_lshlrev_b32_e32 v205, 5, v224
	v_lshlrev_b32_e32 v1, 7, v224
	scratch_store_b32 off, v224, off offset:308 ; 4-byte Folded Spill
	v_add_co_u32 v0, s18, v205, s16
	s_delay_alu instid0(VALU_DEP_1) | instskip(SKIP_2) | instid1(VALU_DEP_3)
	v_add_co_ci_u32_e64 v9, null, 0, 0, s18
	s_wait_alu 0xfffe
	v_add_co_u32 v3, s2, v1, s2
	v_mul_lo_u32 v5, s7, v0
	s_delay_alu instid0(VALU_DEP_3)
	v_mul_lo_u32 v6, s6, v9
	v_mad_co_u64_u32 v[1:2], null, s6, v0, 0
	s_wait_alu 0xf1ff
	v_add_co_ci_u32_e64 v4, null, 0, s3, s2
	v_add_co_u32 v7, vcc_lo, v3, 4
	s_load_b32 s2, s[0:1], 0x44
	v_add_co_ci_u32_e64 v8, null, 0, v4, vcc_lo
	v_add_co_u32 v11, vcc_lo, v3, 8
	s_wait_alu 0xfffd
	v_add_co_ci_u32_e64 v12, null, 0, v4, vcc_lo
	v_add3_u32 v2, v2, v6, v5
	v_add_co_u32 v5, vcc_lo, v3, 12
	s_wait_alu 0xfffd
	v_add_co_ci_u32_e64 v6, null, 0, v4, vcc_lo
	v_add_co_u32 v14, vcc_lo, v3, 16
	s_wait_alu 0xfffd
	v_add_co_ci_u32_e64 v16, null, 0, v4, vcc_lo
	v_mad_co_u64_u32 v[34:35], null, s6, v7, s[8:9]
	v_mul_lo_u32 v10, s7, v7
	v_mul_lo_u32 v8, s6, v8
	v_mad_co_u64_u32 v[42:43], null, s6, v7, s[10:11]
	v_mad_co_u64_u32 v[40:41], null, s6, v14, s[8:9]
	v_mul_lo_u32 v16, s6, v16
	v_mul_lo_u32 v7, s7, v14
	v_mad_co_u64_u32 v[50:51], null, s6, v14, s[10:11]
	v_add_co_u32 v17, vcc_lo, v3, 20
	v_mad_co_u64_u32 v[38:39], null, s6, v5, s[8:9]
	v_mul_lo_u32 v15, s7, v5
	s_wait_alu 0xfffd
	v_add_co_ci_u32_e64 v18, null, 0, v4, vcc_lo
	v_mad_co_u64_u32 v[48:49], null, s6, v5, s[10:11]
	v_add_co_u32 v5, vcc_lo, v3, 24
	v_mul_lo_u32 v6, s6, v6
	v_add3_u32 v35, v10, v35, v8
	v_add3_u32 v43, v10, v43, v8
	s_wait_alu 0xfffd
	v_add_co_ci_u32_e64 v8, null, 0, v4, vcc_lo
	v_mad_co_u64_u32 v[52:53], null, s6, v5, s[8:9]
	v_add3_u32 v41, v7, v41, v16
	v_add3_u32 v51, v7, v51, v16
	v_mul_lo_u32 v7, s7, v5
	v_mad_co_u64_u32 v[56:57], null, s6, v5, s[10:11]
	v_add_co_u32 v5, vcc_lo, v3, 28
	v_add3_u32 v39, v15, v39, v6
	v_add3_u32 v49, v15, v49, v6
	v_mul_lo_u32 v6, s6, v8
	s_wait_alu 0xfffd
	v_add_co_ci_u32_e64 v8, null, 0, v4, vcc_lo
	v_mad_co_u64_u32 v[58:59], null, s6, v5, s[8:9]
	v_mul_lo_u32 v10, s7, v5
	v_mad_co_u64_u32 v[60:61], null, s6, v5, s[10:11]
	v_add_co_u32 v5, vcc_lo, v3, 32
	v_mad_co_u64_u32 v[36:37], null, s6, v11, s[8:9]
	v_mul_lo_u32 v13, s7, v11
	v_mad_co_u64_u32 v[46:47], null, s6, v11, s[10:11]
	s_wait_alu 0xfffd
	v_add_co_ci_u32_e64 v11, null, 0, v4, vcc_lo
	v_add3_u32 v53, v7, v53, v6
	v_add3_u32 v57, v7, v57, v6
	v_mul_lo_u32 v7, s7, v5
	s_delay_alu instid0(VALU_DEP_4)
	v_mul_lo_u32 v6, s6, v11
	v_mad_co_u64_u32 v[62:63], null, s6, v5, s[8:9]
	v_mad_co_u64_u32 v[64:65], null, s6, v5, s[10:11]
	v_add_co_u32 v5, vcc_lo, v3, 36
	v_mul_lo_u32 v8, s6, v8
	v_mul_lo_u32 v12, s6, v12
	v_add3_u32 v63, v7, v63, v6
	s_delay_alu instid0(VALU_DEP_4)
	v_mad_co_u64_u32 v[66:67], null, s6, v5, s[8:9]
	v_add3_u32 v65, v7, v65, v6
	s_wait_alu 0xfffd
	v_add_co_ci_u32_e64 v6, null, 0, v4, vcc_lo
	v_mul_lo_u32 v7, s7, v5
	v_mad_co_u64_u32 v[68:69], null, s6, v5, s[10:11]
	s_delay_alu instid0(VALU_DEP_3) | instskip(SKIP_4) | instid1(VALU_DEP_4)
	v_mul_lo_u32 v6, s6, v6
	v_add_co_u32 v5, vcc_lo, v3, 40
	v_add3_u32 v59, v10, v59, v8
	v_add3_u32 v61, v10, v61, v8
	;; [unrolled: 1-line block ×3, first 2 shown]
	v_mad_co_u64_u32 v[70:71], null, s6, v5, s[8:9]
	v_add3_u32 v67, v7, v67, v6
	v_add3_u32 v69, v7, v69, v6
	s_wait_alu 0xfffd
	v_add_co_ci_u32_e64 v6, null, 0, v4, vcc_lo
	v_mul_lo_u32 v7, s7, v5
	v_mad_co_u64_u32 v[72:73], null, s6, v5, s[10:11]
	s_delay_alu instid0(VALU_DEP_3) | instskip(SKIP_3) | instid1(VALU_DEP_3)
	v_mul_lo_u32 v6, s6, v6
	v_add_co_u32 v5, vcc_lo, v3, 44
	v_add3_u32 v47, v13, v47, v12
	v_mad_co_u64_u32 v[44:45], null, s6, v17, s[8:9]
	v_mad_co_u64_u32 v[74:75], null, s6, v5, s[8:9]
	v_add3_u32 v71, v7, v71, v6
	v_add3_u32 v73, v7, v73, v6
	s_wait_alu 0xfffd
	v_add_co_ci_u32_e64 v6, null, 0, v4, vcc_lo
	v_mul_lo_u32 v7, s7, v5
	v_mad_co_u64_u32 v[76:77], null, s6, v5, s[10:11]
	s_delay_alu instid0(VALU_DEP_3) | instskip(SKIP_3) | instid1(VALU_DEP_3)
	v_mul_lo_u32 v6, s6, v6
	v_add_co_u32 v5, vcc_lo, v3, 48
	v_mul_lo_u32 v19, s7, v17
	v_mad_co_u64_u32 v[54:55], null, s6, v17, s[10:11]
	v_mad_co_u64_u32 v[78:79], null, s6, v5, s[8:9]
	v_add3_u32 v75, v7, v75, v6
	v_add3_u32 v77, v7, v77, v6
	s_wait_alu 0xfffd
	v_add_co_ci_u32_e64 v6, null, 0, v4, vcc_lo
	v_mul_lo_u32 v7, s7, v5
	v_mad_co_u64_u32 v[80:81], null, s6, v5, s[10:11]
	s_delay_alu instid0(VALU_DEP_3) | instskip(SKIP_3) | instid1(VALU_DEP_2)
	v_mul_lo_u32 v6, s6, v6
	v_add_co_u32 v5, vcc_lo, v3, 52
	v_mul_lo_u32 v18, s6, v18
	s_mov_b32 s3, 0
	v_mad_co_u64_u32 v[82:83], null, s6, v5, s[8:9]
	s_delay_alu instid0(VALU_DEP_4)
	v_add3_u32 v79, v7, v79, v6
	v_add3_u32 v81, v7, v81, v6
	s_wait_alu 0xfffd
	v_add_co_ci_u32_e64 v6, null, 0, v4, vcc_lo
	v_mul_lo_u32 v7, s7, v5
	v_mad_co_u64_u32 v[84:85], null, s6, v5, s[10:11]
	s_delay_alu instid0(VALU_DEP_3) | instskip(SKIP_3) | instid1(VALU_DEP_3)
	v_mul_lo_u32 v6, s6, v6
	v_add_co_u32 v5, vcc_lo, v3, 56
	v_add3_u32 v45, v19, v45, v18
	v_add3_u32 v55, v19, v55, v18
	v_mad_co_u64_u32 v[86:87], null, s6, v5, s[8:9]
	v_add3_u32 v83, v7, v83, v6
	v_add3_u32 v85, v7, v85, v6
	s_wait_alu 0xfffd
	v_add_co_ci_u32_e64 v6, null, 0, v4, vcc_lo
	v_mul_lo_u32 v7, s7, v5
	v_mad_co_u64_u32 v[88:89], null, s6, v5, s[10:11]
	s_delay_alu instid0(VALU_DEP_3) | instskip(SKIP_1) | instid1(VALU_DEP_1)
	v_mul_lo_u32 v6, s6, v6
	v_add_co_u32 v5, vcc_lo, v3, 60
	v_mad_co_u64_u32 v[90:91], null, s6, v5, s[8:9]
	s_delay_alu instid0(VALU_DEP_3)
	v_add3_u32 v87, v7, v87, v6
	v_add3_u32 v89, v7, v89, v6
	s_wait_alu 0xfffd
	v_add_co_ci_u32_e64 v6, null, 0, v4, vcc_lo
	v_mul_lo_u32 v7, s7, v5
	v_mad_co_u64_u32 v[92:93], null, s6, v5, s[10:11]
	s_delay_alu instid0(VALU_DEP_3) | instskip(SKIP_1) | instid1(VALU_DEP_1)
	v_mul_lo_u32 v6, s6, v6
	v_add_co_u32 v5, vcc_lo, v3, 64
	v_mad_co_u64_u32 v[94:95], null, s6, v5, s[8:9]
	s_delay_alu instid0(VALU_DEP_3)
	;; [unrolled: 11-line block ×16, first 2 shown]
	v_add3_u32 v147, v7, v147, v6
	v_add3_u32 v149, v7, v149, v6
	s_wait_alu 0xfffd
	v_add_co_ci_u32_e64 v6, null, 0, v4, vcc_lo
	v_add_co_u32 v3, vcc_lo, 0x7c, v3
	s_wait_alu 0xfffd
	v_add_co_ci_u32_e64 v4, null, 0, v4, vcc_lo
	v_mul_lo_u32 v7, s7, v5
	v_mad_co_u64_u32 v[152:153], null, s6, v5, s[10:11]
	s_delay_alu instid0(VALU_DEP_3)
	v_mul_lo_u32 v4, s6, v4
	v_mul_lo_u32 v5, s7, v3
	v_mad_co_u64_u32 v[154:155], null, s6, v3, s[8:9]
	v_mad_co_u64_u32 v[156:157], null, s6, v3, s[10:11]
	v_mul_lo_u32 v6, s6, v6
	v_add_co_u32 v3, vcc_lo, v0, 31
	s_delay_alu instid0(VALU_DEP_4) | instskip(NEXT) | instid1(VALU_DEP_4)
	v_add3_u32 v155, v5, v155, v4
	v_add3_u32 v157, v5, v157, v4
	s_wait_alu 0xfffd
	v_add_co_ci_u32_e64 v4, null, 0, v9, vcc_lo
	v_add3_u32 v151, v7, v151, v6
	v_add3_u32 v153, v7, v153, v6
	v_mul_lo_u32 v6, s7, v3
	s_delay_alu instid0(VALU_DEP_4) | instskip(SKIP_1) | instid1(VALU_DEP_1)
	v_mul_lo_u32 v5, s6, v4
	v_mad_co_u64_u32 v[3:4], null, s6, v3, 0
	v_add3_u32 v4, v4, v5, v6
	v_add_co_u32 v5, vcc_lo, v0, 30
	s_wait_alu 0xfffd
	v_add_co_ci_u32_e64 v6, null, 0, v9, vcc_lo
	s_delay_alu instid0(VALU_DEP_2) | instskip(NEXT) | instid1(VALU_DEP_2)
	v_mul_lo_u32 v8, s7, v5
	v_mul_lo_u32 v7, s6, v6
	v_mad_co_u64_u32 v[5:6], null, s6, v5, 0
	s_delay_alu instid0(VALU_DEP_1) | instskip(SKIP_3) | instid1(VALU_DEP_2)
	v_add3_u32 v6, v6, v7, v8
	v_add_co_u32 v7, vcc_lo, v0, 29
	s_wait_alu 0xfffd
	v_add_co_ci_u32_e64 v8, null, 0, v9, vcc_lo
	v_mul_lo_u32 v11, s7, v7
	s_delay_alu instid0(VALU_DEP_2) | instskip(SKIP_1) | instid1(VALU_DEP_1)
	v_mul_lo_u32 v10, s6, v8
	v_mad_co_u64_u32 v[7:8], null, s6, v7, 0
	v_add3_u32 v8, v8, v10, v11
	v_add_co_u32 v10, vcc_lo, v0, 28
	s_wait_alu 0xfffd
	v_add_co_ci_u32_e64 v11, null, 0, v9, vcc_lo
	s_delay_alu instid0(VALU_DEP_2) | instskip(NEXT) | instid1(VALU_DEP_2)
	v_mul_lo_u32 v13, s7, v10
	v_mul_lo_u32 v12, s6, v11
	v_mad_co_u64_u32 v[10:11], null, s6, v10, 0
	s_delay_alu instid0(VALU_DEP_1) | instskip(SKIP_3) | instid1(VALU_DEP_2)
	v_add3_u32 v11, v11, v12, v13
	v_add_co_u32 v12, vcc_lo, v0, 27
	s_wait_alu 0xfffd
	v_add_co_ci_u32_e64 v13, null, 0, v9, vcc_lo
	v_mul_lo_u32 v15, s7, v12
	s_delay_alu instid0(VALU_DEP_2) | instskip(SKIP_1) | instid1(VALU_DEP_1)
	;; [unrolled: 17-line block ×9, first 2 shown]
	v_mul_lo_u32 v166, s6, v165
	v_mad_co_u64_u32 v[164:165], null, s6, v164, 0
	v_add3_u32 v165, v165, v166, v167
	v_add_co_u32 v166, vcc_lo, v0, 12
	s_wait_alu 0xfffd
	v_add_co_ci_u32_e64 v167, null, 0, v9, vcc_lo
	s_delay_alu instid0(VALU_DEP_2) | instskip(SKIP_1) | instid1(VALU_DEP_3)
	v_mul_lo_u32 v168, s7, v166
	v_mad_co_u64_u32 v[170:171], null, s6, v166, 0
	v_mul_lo_u32 v167, s6, v167
	v_add_co_u32 v166, vcc_lo, v0, 11
	s_delay_alu instid0(VALU_DEP_1) | instskip(NEXT) | instid1(VALU_DEP_3)
	v_mad_co_u64_u32 v[172:173], null, s6, v166, 0
	v_add3_u32 v171, v171, v167, v168
	s_wait_alu 0xfffd
	v_add_co_ci_u32_e64 v167, null, 0, v9, vcc_lo
	v_mul_lo_u32 v168, s7, v166
	v_add_co_u32 v166, vcc_lo, v0, 10
	s_delay_alu instid0(VALU_DEP_3) | instskip(NEXT) | instid1(VALU_DEP_2)
	v_mul_lo_u32 v167, s6, v167
	v_mad_co_u64_u32 v[174:175], null, s6, v166, 0
	s_delay_alu instid0(VALU_DEP_2) | instskip(SKIP_4) | instid1(VALU_DEP_3)
	v_add3_u32 v173, v173, v167, v168
	s_wait_alu 0xfffd
	v_add_co_ci_u32_e64 v167, null, 0, v9, vcc_lo
	v_mul_lo_u32 v168, s7, v166
	v_add_co_u32 v166, vcc_lo, v0, 9
	v_mul_lo_u32 v167, s6, v167
	s_delay_alu instid0(VALU_DEP_2) | instskip(NEXT) | instid1(VALU_DEP_2)
	v_mad_co_u64_u32 v[176:177], null, s6, v166, 0
	v_add3_u32 v175, v175, v167, v168
	s_wait_alu 0xfffd
	v_add_co_ci_u32_e64 v167, null, 0, v9, vcc_lo
	v_mul_lo_u32 v168, s7, v166
	v_add_co_u32 v166, vcc_lo, v0, 8
	s_delay_alu instid0(VALU_DEP_3) | instskip(NEXT) | instid1(VALU_DEP_2)
	v_mul_lo_u32 v167, s6, v167
	v_mad_co_u64_u32 v[178:179], null, s6, v166, 0
	s_delay_alu instid0(VALU_DEP_2) | instskip(SKIP_4) | instid1(VALU_DEP_3)
	v_add3_u32 v177, v177, v167, v168
	s_wait_alu 0xfffd
	v_add_co_ci_u32_e64 v167, null, 0, v9, vcc_lo
	v_mul_lo_u32 v168, s7, v166
	v_add_co_u32 v166, vcc_lo, v0, 7
	v_mul_lo_u32 v167, s6, v167
	s_delay_alu instid0(VALU_DEP_2) | instskip(NEXT) | instid1(VALU_DEP_2)
	;; [unrolled: 17-line block ×4, first 2 shown]
	v_mad_co_u64_u32 v[192:193], null, s6, v166, 0
	v_add3_u32 v189, v189, v167, v168
	s_wait_alu 0xfffd
	v_add_co_ci_u32_e64 v167, null, 0, v9, vcc_lo
	v_add_co_u32 v0, vcc_lo, v0, 2
	s_wait_alu 0xfffd
	v_add_co_ci_u32_e64 v9, null, 0, v9, vcc_lo
	v_mul_lo_u32 v168, s7, v166
	s_delay_alu instid0(VALU_DEP_3) | instskip(SKIP_1) | instid1(VALU_DEP_4)
	v_mul_lo_u32 v166, s7, v0
	v_mad_co_u64_u32 v[196:197], null, s6, v0, 0
	v_mul_lo_u32 v9, s6, v9
	v_mul_lo_u32 v167, s6, v167
	v_add_co_u32 v200, vcc_lo, v1, s6
	v_lshlrev_b64_e32 v[0:1], 2, v[1:2]
	s_wait_alu 0xfffd
	v_add_co_ci_u32_e64 v201, null, s7, v2, vcc_lo
	v_add3_u32 v197, v197, v9, v166
	v_add3_u32 v193, v193, v167, v168
	s_delay_alu instid0(VALU_DEP_4)
	v_add_co_u32 v166, vcc_lo, s8, v0
	s_wait_alu 0xfffd
	v_add_co_ci_u32_e64 v167, null, s9, v1, vcc_lo
	v_add_co_u32 v168, vcc_lo, s10, v0
	s_wait_alu 0xfffd
	v_add_co_ci_u32_e64 v169, null, s11, v1, vcc_lo
	v_lshlrev_b64_e32 v[0:1], 2, v[3:4]
	v_mov_b32_e32 v3, v227
	s_delay_alu instid0(VALU_DEP_2)
	v_add_co_u32 v2, vcc_lo, s8, v0
	scratch_store_b32 off, v2, off          ; 4-byte Folded Spill
	s_wait_alu 0xfffd
	v_add_co_ci_u32_e64 v2, null, s9, v1, vcc_lo
	v_add_co_u32 v0, vcc_lo, s10, v0
	s_clause 0x1
	scratch_store_b32 off, v2, off offset:4
	scratch_store_b32 off, v0, off offset:8
	s_wait_alu 0xfffd
	v_add_co_ci_u32_e64 v0, null, s11, v1, vcc_lo
	scratch_store_b32 off, v0, off offset:12 ; 4-byte Folded Spill
	v_lshlrev_b64_e32 v[0:1], 2, v[5:6]
	s_delay_alu instid0(VALU_DEP_1)
	v_add_co_u32 v2, vcc_lo, s8, v0
	scratch_store_b32 off, v2, off offset:16 ; 4-byte Folded Spill
	s_wait_alu 0xfffd
	v_add_co_ci_u32_e64 v2, null, s9, v1, vcc_lo
	v_add_co_u32 v0, vcc_lo, s10, v0
	s_clause 0x1
	scratch_store_b32 off, v2, off offset:20
	scratch_store_b32 off, v0, off offset:24
	s_wait_alu 0xfffd
	v_add_co_ci_u32_e64 v0, null, s11, v1, vcc_lo
	scratch_store_b32 off, v0, off offset:28 ; 4-byte Folded Spill
	v_lshlrev_b64_e32 v[0:1], 2, v[7:8]
	s_delay_alu instid0(VALU_DEP_1)
	v_add_co_u32 v2, vcc_lo, s8, v0
	scratch_store_b32 off, v2, off offset:32 ; 4-byte Folded Spill
	;; [unrolled: 13-line block ×13, first 2 shown]
	s_wait_alu 0xfffd
	v_add_co_ci_u32_e64 v2, null, s9, v1, vcc_lo
	v_add_co_u32 v0, vcc_lo, s10, v0
	s_clause 0x1
	scratch_store_b32 off, v2, off offset:212
	scratch_store_b32 off, v0, off offset:216
	s_wait_alu 0xfffd
	v_add_co_ci_u32_e64 v0, null, s11, v1, vcc_lo
	scratch_store_b32 off, v0, off offset:220 ; 4-byte Folded Spill
	v_lshlrev_b64_e32 v[0:1], 2, v[32:33]
	s_delay_alu instid0(VALU_DEP_1) | instskip(SKIP_1) | instid1(VALU_DEP_2)
	v_add_co_u32 v2, vcc_lo, s8, v0
	s_wait_alu 0xfffd
	v_add_co_ci_u32_e64 v227, null, s9, v1, vcc_lo
	v_add_co_u32 v228, vcc_lo, s10, v0
	s_wait_alu 0xfffd
	v_add_co_ci_u32_e64 v229, null, s11, v1, vcc_lo
	v_lshlrev_b64_e32 v[0:1], 2, v[158:159]
	scratch_store_b32 off, v2, off offset:224 ; 4-byte Folded Spill
	v_add_co_u32 v230, vcc_lo, s8, v0
	s_wait_alu 0xfffd
	v_add_co_ci_u32_e64 v231, null, s9, v1, vcc_lo
	v_add_co_u32 v232, vcc_lo, s10, v0
	s_wait_alu 0xfffd
	v_add_co_ci_u32_e64 v233, null, s11, v1, vcc_lo
	v_lshlrev_b64_e32 v[0:1], 2, v[160:161]
	s_delay_alu instid0(VALU_DEP_1) | instskip(SKIP_1) | instid1(VALU_DEP_2)
	v_add_co_u32 v234, vcc_lo, s8, v0
	s_wait_alu 0xfffd
	v_add_co_ci_u32_e64 v235, null, s9, v1, vcc_lo
	v_add_co_u32 v236, vcc_lo, s10, v0
	s_wait_alu 0xfffd
	v_add_co_ci_u32_e64 v237, null, s11, v1, vcc_lo
	v_lshlrev_b64_e32 v[0:1], 2, v[162:163]
	s_delay_alu instid0(VALU_DEP_1) | instskip(SKIP_1) | instid1(VALU_DEP_2)
	;; [unrolled: 8-line block ×3, first 2 shown]
	v_add_co_u32 v242, vcc_lo, s8, v0
	s_wait_alu 0xfffd
	v_add_co_ci_u32_e64 v243, null, s9, v1, vcc_lo
	v_add_co_u32 v244, vcc_lo, s10, v0
	s_wait_alu 0xfffd
	v_add_co_ci_u32_e64 v245, null, s11, v1, vcc_lo
	v_lshlrev_b64_e32 v[0:1], 2, v[170:171]
	v_mov_b32_e32 v170, 0
	s_delay_alu instid0(VALU_DEP_2) | instskip(SKIP_1) | instid1(VALU_DEP_3)
	v_add_co_u32 v246, vcc_lo, s8, v0
	s_wait_alu 0xfffd
	v_add_co_ci_u32_e64 v247, null, s9, v1, vcc_lo
	v_add_co_u32 v248, vcc_lo, s10, v0
	s_wait_alu 0xfffd
	v_add_co_ci_u32_e64 v249, null, s11, v1, vcc_lo
	v_lshlrev_b64_e32 v[0:1], 2, v[172:173]
	s_delay_alu instid0(VALU_DEP_1) | instskip(SKIP_1) | instid1(VALU_DEP_2)
	v_add_co_u32 v250, vcc_lo, s8, v0
	s_wait_alu 0xfffd
	v_add_co_ci_u32_e64 v251, null, s9, v1, vcc_lo
	v_add_co_u32 v252, vcc_lo, s10, v0
	s_wait_alu 0xfffd
	v_add_co_ci_u32_e64 v253, null, s11, v1, vcc_lo
	v_lshlrev_b64_e32 v[0:1], 2, v[174:175]
	s_delay_alu instid0(VALU_DEP_1) | instskip(SKIP_1) | instid1(VALU_DEP_2)
	;; [unrolled: 8-line block ×11, first 2 shown]
	v_add_co_u32 v200, vcc_lo, s8, v1
	s_wait_alu 0xfffd
	v_add_co_ci_u32_e64 v201, null, s9, v2, vcc_lo
	v_add_co_u32 v202, vcc_lo, s10, v1
	v_and_b32_e32 v1, 0x3ff, v3
	s_wait_alu 0xfffd
	v_add_co_ci_u32_e64 v203, null, s11, v2, vcc_lo
	s_wait_kmcnt 0x0
	s_lshl_b32 s8, s2, 5
	s_wait_alu 0xfffe
	s_mov_b32 s9, s3
	scratch_store_b32 off, v1, off offset:304 ; 4-byte Folded Spill
	v_dual_mov_b32 v1, 0 :: v_dual_add_nc_u32 v2, s30, v1
	scratch_store_b32 off, v3, off offset:312 ; 4-byte Folded Spill
	s_wait_alu 0xfffe
	s_mul_u64 s[18:19], s[6:7], s[8:9]
	s_add_nc_u64 s[10:11], s[0:1], 64
	s_wait_alu 0xfffe
	s_lshl_b64 s[18:19], s[18:19], 2
	v_dual_mov_b32 v3, v1 :: v_dual_mov_b32 v204, v1
	s_delay_alu instid0(VALU_DEP_1)
	v_lshlrev_b64_e32 v[158:159], 2, v[2:3]
	s_branch .LBB61_147
.LBB61_145:                             ;   in Loop: Header=BB61_147 Depth=1
	s_wait_alu 0xfffe
	s_or_b32 exec_lo, exec_lo, s2
	v_add_co_u32 v2, vcc_lo, v168, v158
	s_wait_alu 0xfffd
	v_add_co_ci_u32_e64 v3, null, v169, v159, vcc_lo
	global_load_b32 v6, v[2:3], off
	v_add_co_u32 v2, vcc_lo, v166, v158
	s_wait_alu 0xfffd
	v_add_co_ci_u32_e64 v3, null, v167, v159, vcc_lo
	global_load_b32 v2, v[2:3], off
	s_wait_loadcnt 0x3
	ds_bpermute_b32 v3, v1, v5
	s_wait_loadcnt_dscnt 0x100
	v_sub_f32_e32 v3, v6, v3
	ds_bpermute_b32 v6, v1, v4
	s_wait_loadcnt 0x0
	v_dual_mul_f32 v3, v2, v3 :: v_dual_add_f32 v2, v223, v2
	s_wait_dscnt 0x0
	s_delay_alu instid0(VALU_DEP_1)
	v_fmac_f32_e32 v170, v3, v6
	v_add_co_u32 v6, vcc_lo, v42, v158
	s_wait_alu 0xfffd
	v_add_co_ci_u32_e64 v7, null, v43, v159, vcc_lo
	global_load_b32 v8, v[6:7], off
	v_add_co_u32 v6, vcc_lo, v34, v158
	s_wait_alu 0xfffd
	v_add_co_ci_u32_e64 v7, null, v35, v159, vcc_lo
	global_load_b32 v3, v[6:7], off
	ds_bpermute_b32 v6, v1, v5 offset:4
	ds_bpermute_b32 v7, v1, v4 offset:4
	s_wait_loadcnt_dscnt 0x101
	v_sub_f32_e32 v6, v8, v6
	s_wait_loadcnt 0x0
	s_delay_alu instid0(VALU_DEP_1)
	v_mul_f32_e32 v6, v3, v6
	v_add_f32_e32 v2, v2, v3
	ds_bpermute_b32 v3, v1, v5 offset:124
	s_wait_dscnt 0x1
	v_fmac_f32_e32 v170, v6, v7
	v_add_co_u32 v6, vcc_lo, v46, v158
	s_wait_alu 0xfffd
	v_add_co_ci_u32_e64 v7, null, v47, v159, vcc_lo
	global_load_b32 v8, v[6:7], off
	v_add_co_u32 v6, vcc_lo, v36, v158
	s_wait_alu 0xfffd
	v_add_co_ci_u32_e64 v7, null, v37, v159, vcc_lo
	global_load_b32 v6, v[6:7], off
	ds_bpermute_b32 v7, v1, v5 offset:8
	s_wait_loadcnt_dscnt 0x100
	v_sub_f32_e32 v7, v8, v7
	ds_bpermute_b32 v8, v1, v4 offset:8
	s_wait_loadcnt 0x0
	v_mul_f32_e32 v7, v6, v7
	v_add_f32_e32 v2, v2, v6
	s_wait_dscnt 0x0
	s_delay_alu instid0(VALU_DEP_2)
	v_fmac_f32_e32 v170, v7, v8
	v_add_co_u32 v7, vcc_lo, v48, v158
	s_wait_alu 0xfffd
	v_add_co_ci_u32_e64 v8, null, v49, v159, vcc_lo
	global_load_b32 v9, v[7:8], off
	v_add_co_u32 v7, vcc_lo, v38, v158
	s_wait_alu 0xfffd
	v_add_co_ci_u32_e64 v8, null, v39, v159, vcc_lo
	global_load_b32 v7, v[7:8], off
	ds_bpermute_b32 v8, v1, v5 offset:12
	s_wait_loadcnt_dscnt 0x100
	v_sub_f32_e32 v8, v9, v8
	ds_bpermute_b32 v9, v1, v4 offset:12
	s_wait_loadcnt 0x0
	v_mul_f32_e32 v8, v7, v8
	v_add_f32_e32 v2, v2, v7
	s_wait_dscnt 0x0
	s_delay_alu instid0(VALU_DEP_2)
	v_fmac_f32_e32 v170, v8, v9
	v_add_co_u32 v8, vcc_lo, v50, v158
	s_wait_alu 0xfffd
	v_add_co_ci_u32_e64 v9, null, v51, v159, vcc_lo
	global_load_b32 v10, v[8:9], off
	v_add_co_u32 v8, vcc_lo, v40, v158
	s_wait_alu 0xfffd
	v_add_co_ci_u32_e64 v9, null, v41, v159, vcc_lo
	global_load_b32 v8, v[8:9], off
	ds_bpermute_b32 v9, v1, v5 offset:16
	s_wait_loadcnt_dscnt 0x100
	v_sub_f32_e32 v9, v10, v9
	ds_bpermute_b32 v10, v1, v4 offset:16
	s_wait_loadcnt 0x0
	v_dual_mul_f32 v9, v8, v9 :: v_dual_add_f32 v2, v2, v8
	s_wait_dscnt 0x0
	s_delay_alu instid0(VALU_DEP_1)
	v_fmac_f32_e32 v170, v9, v10
	v_add_co_u32 v9, vcc_lo, v54, v158
	s_wait_alu 0xfffd
	v_add_co_ci_u32_e64 v10, null, v55, v159, vcc_lo
	global_load_b32 v11, v[9:10], off
	v_add_co_u32 v9, vcc_lo, v44, v158
	s_wait_alu 0xfffd
	v_add_co_ci_u32_e64 v10, null, v45, v159, vcc_lo
	global_load_b32 v9, v[9:10], off
	ds_bpermute_b32 v10, v1, v5 offset:20
	s_wait_loadcnt_dscnt 0x100
	v_sub_f32_e32 v10, v11, v10
	ds_bpermute_b32 v11, v1, v4 offset:20
	s_wait_loadcnt 0x0
	v_mul_f32_e32 v10, v9, v10
	v_add_f32_e32 v2, v2, v9
	s_wait_dscnt 0x0
	s_delay_alu instid0(VALU_DEP_2)
	v_fmac_f32_e32 v170, v10, v11
	v_add_co_u32 v10, vcc_lo, v56, v158
	s_wait_alu 0xfffd
	v_add_co_ci_u32_e64 v11, null, v57, v159, vcc_lo
	global_load_b32 v12, v[10:11], off
	v_add_co_u32 v10, vcc_lo, v52, v158
	s_wait_alu 0xfffd
	v_add_co_ci_u32_e64 v11, null, v53, v159, vcc_lo
	global_load_b32 v10, v[10:11], off
	ds_bpermute_b32 v11, v1, v5 offset:24
	s_wait_loadcnt_dscnt 0x100
	v_sub_f32_e32 v11, v12, v11
	ds_bpermute_b32 v12, v1, v4 offset:24
	s_wait_loadcnt 0x0
	v_mul_f32_e32 v11, v10, v11
	v_add_f32_e32 v2, v2, v10
	s_wait_dscnt 0x0
	s_delay_alu instid0(VALU_DEP_2)
	;; [unrolled: 18-line block ×3, first 2 shown]
	v_fmac_f32_e32 v170, v12, v13
	v_add_co_u32 v12, vcc_lo, v64, v158
	s_wait_alu 0xfffd
	v_add_co_ci_u32_e64 v13, null, v65, v159, vcc_lo
	global_load_b32 v14, v[12:13], off
	v_add_co_u32 v12, vcc_lo, v62, v158
	s_wait_alu 0xfffd
	v_add_co_ci_u32_e64 v13, null, v63, v159, vcc_lo
	global_load_b32 v15, v[12:13], off
	ds_bpermute_b32 v12, v1, v5 offset:32
	ds_bpermute_b32 v13, v1, v4 offset:32
	s_wait_loadcnt_dscnt 0x101
	v_sub_f32_e32 v12, v14, v12
	s_wait_loadcnt 0x0
	s_delay_alu instid0(VALU_DEP_1) | instskip(SKIP_2) | instid1(VALU_DEP_2)
	v_mul_f32_e32 v12, v15, v12
	v_add_f32_e32 v2, v2, v15
	s_wait_dscnt 0x0
	v_fmac_f32_e32 v170, v12, v13
	v_add_co_u32 v12, vcc_lo, v68, v158
	s_wait_alu 0xfffd
	v_add_co_ci_u32_e64 v13, null, v69, v159, vcc_lo
	global_load_b32 v14, v[12:13], off
	v_add_co_u32 v12, vcc_lo, v66, v158
	s_wait_alu 0xfffd
	v_add_co_ci_u32_e64 v13, null, v67, v159, vcc_lo
	global_load_b32 v16, v[12:13], off
	ds_bpermute_b32 v12, v1, v5 offset:36
	ds_bpermute_b32 v13, v1, v4 offset:36
	s_wait_loadcnt_dscnt 0x101
	v_sub_f32_e32 v12, v14, v12
	s_wait_loadcnt 0x0
	s_delay_alu instid0(VALU_DEP_1) | instskip(SKIP_2) | instid1(VALU_DEP_2)
	v_mul_f32_e32 v12, v16, v12
	v_add_f32_e32 v2, v2, v16
	s_wait_dscnt 0x0
	v_fmac_f32_e32 v170, v12, v13
	v_add_co_u32 v12, vcc_lo, v72, v158
	s_wait_alu 0xfffd
	v_add_co_ci_u32_e64 v13, null, v73, v159, vcc_lo
	global_load_b32 v14, v[12:13], off
	v_add_co_u32 v12, vcc_lo, v70, v158
	s_wait_alu 0xfffd
	v_add_co_ci_u32_e64 v13, null, v71, v159, vcc_lo
	global_load_b32 v17, v[12:13], off
	ds_bpermute_b32 v12, v1, v5 offset:40
	ds_bpermute_b32 v13, v1, v4 offset:40
	s_wait_loadcnt_dscnt 0x101
	v_sub_f32_e32 v12, v14, v12
	s_wait_loadcnt 0x0
	s_delay_alu instid0(VALU_DEP_1) | instskip(SKIP_2) | instid1(VALU_DEP_2)
	v_mul_f32_e32 v12, v17, v12
	v_add_f32_e32 v2, v2, v17
	s_wait_dscnt 0x0
	v_fmac_f32_e32 v170, v12, v13
	v_add_co_u32 v12, vcc_lo, v76, v158
	s_wait_alu 0xfffd
	v_add_co_ci_u32_e64 v13, null, v77, v159, vcc_lo
	global_load_b32 v14, v[12:13], off
	v_add_co_u32 v12, vcc_lo, v74, v158
	s_wait_alu 0xfffd
	v_add_co_ci_u32_e64 v13, null, v75, v159, vcc_lo
	global_load_b32 v18, v[12:13], off
	ds_bpermute_b32 v12, v1, v5 offset:44
	ds_bpermute_b32 v13, v1, v4 offset:44
	s_wait_loadcnt_dscnt 0x101
	v_sub_f32_e32 v12, v14, v12
	s_wait_loadcnt 0x0
	s_delay_alu instid0(VALU_DEP_1) | instskip(SKIP_2) | instid1(VALU_DEP_2)
	v_mul_f32_e32 v12, v18, v12
	v_add_f32_e32 v2, v2, v18
	s_wait_dscnt 0x0
	v_fmac_f32_e32 v170, v12, v13
	v_add_co_u32 v12, vcc_lo, v80, v158
	s_wait_alu 0xfffd
	v_add_co_ci_u32_e64 v13, null, v81, v159, vcc_lo
	global_load_b32 v14, v[12:13], off
	v_add_co_u32 v12, vcc_lo, v78, v158
	s_wait_alu 0xfffd
	v_add_co_ci_u32_e64 v13, null, v79, v159, vcc_lo
	global_load_b32 v19, v[12:13], off
	ds_bpermute_b32 v12, v1, v5 offset:48
	ds_bpermute_b32 v13, v1, v4 offset:48
	s_wait_loadcnt_dscnt 0x101
	v_sub_f32_e32 v12, v14, v12
	s_wait_loadcnt 0x0
	s_delay_alu instid0(VALU_DEP_1) | instskip(SKIP_2) | instid1(VALU_DEP_2)
	v_mul_f32_e32 v12, v19, v12
	v_add_f32_e32 v2, v2, v19
	s_wait_dscnt 0x0
	v_fmac_f32_e32 v170, v12, v13
	v_add_co_u32 v12, vcc_lo, v84, v158
	s_wait_alu 0xfffd
	v_add_co_ci_u32_e64 v13, null, v85, v159, vcc_lo
	global_load_b32 v14, v[12:13], off
	v_add_co_u32 v12, vcc_lo, v82, v158
	s_wait_alu 0xfffd
	v_add_co_ci_u32_e64 v13, null, v83, v159, vcc_lo
	global_load_b32 v20, v[12:13], off
	ds_bpermute_b32 v12, v1, v5 offset:52
	ds_bpermute_b32 v13, v1, v4 offset:52
	s_wait_loadcnt_dscnt 0x101
	v_sub_f32_e32 v12, v14, v12
	s_wait_loadcnt 0x0
	s_delay_alu instid0(VALU_DEP_1) | instskip(SKIP_2) | instid1(VALU_DEP_2)
	v_mul_f32_e32 v12, v20, v12
	v_add_f32_e32 v2, v2, v20
	s_wait_dscnt 0x0
	v_fmac_f32_e32 v170, v12, v13
	v_add_co_u32 v12, vcc_lo, v88, v158
	s_wait_alu 0xfffd
	v_add_co_ci_u32_e64 v13, null, v89, v159, vcc_lo
	global_load_b32 v14, v[12:13], off
	v_add_co_u32 v12, vcc_lo, v86, v158
	s_wait_alu 0xfffd
	v_add_co_ci_u32_e64 v13, null, v87, v159, vcc_lo
	global_load_b32 v21, v[12:13], off
	ds_bpermute_b32 v12, v1, v5 offset:56
	ds_bpermute_b32 v13, v1, v4 offset:56
	s_wait_loadcnt_dscnt 0x101
	v_sub_f32_e32 v12, v14, v12
	s_wait_loadcnt 0x0
	s_delay_alu instid0(VALU_DEP_1) | instskip(SKIP_2) | instid1(VALU_DEP_2)
	v_mul_f32_e32 v12, v21, v12
	v_add_f32_e32 v2, v2, v21
	s_wait_dscnt 0x0
	v_fmac_f32_e32 v170, v12, v13
	v_add_co_u32 v12, vcc_lo, v92, v158
	s_wait_alu 0xfffd
	v_add_co_ci_u32_e64 v13, null, v93, v159, vcc_lo
	global_load_b32 v14, v[12:13], off
	v_add_co_u32 v12, vcc_lo, v90, v158
	s_wait_alu 0xfffd
	v_add_co_ci_u32_e64 v13, null, v91, v159, vcc_lo
	global_load_b32 v22, v[12:13], off
	ds_bpermute_b32 v12, v1, v5 offset:60
	ds_bpermute_b32 v13, v1, v4 offset:60
	s_wait_loadcnt_dscnt 0x101
	v_sub_f32_e32 v12, v14, v12
	s_wait_loadcnt 0x0
	s_delay_alu instid0(VALU_DEP_1) | instskip(SKIP_2) | instid1(VALU_DEP_2)
	v_mul_f32_e32 v12, v22, v12
	v_add_f32_e32 v2, v2, v22
	s_wait_dscnt 0x0
	v_fmac_f32_e32 v170, v12, v13
	v_add_co_u32 v12, vcc_lo, v96, v158
	s_wait_alu 0xfffd
	v_add_co_ci_u32_e64 v13, null, v97, v159, vcc_lo
	global_load_b32 v14, v[12:13], off
	v_add_co_u32 v12, vcc_lo, v94, v158
	s_wait_alu 0xfffd
	v_add_co_ci_u32_e64 v13, null, v95, v159, vcc_lo
	global_load_b32 v23, v[12:13], off
	ds_bpermute_b32 v12, v1, v5 offset:64
	ds_bpermute_b32 v13, v1, v4 offset:64
	s_wait_loadcnt_dscnt 0x101
	v_sub_f32_e32 v12, v14, v12
	s_wait_loadcnt 0x0
	s_delay_alu instid0(VALU_DEP_1) | instskip(SKIP_2) | instid1(VALU_DEP_2)
	v_mul_f32_e32 v12, v23, v12
	v_add_f32_e32 v2, v2, v23
	s_wait_dscnt 0x0
	v_fmac_f32_e32 v170, v12, v13
	v_add_co_u32 v12, vcc_lo, v100, v158
	s_wait_alu 0xfffd
	v_add_co_ci_u32_e64 v13, null, v101, v159, vcc_lo
	global_load_b32 v14, v[12:13], off
	v_add_co_u32 v12, vcc_lo, v98, v158
	s_wait_alu 0xfffd
	v_add_co_ci_u32_e64 v13, null, v99, v159, vcc_lo
	global_load_b32 v24, v[12:13], off
	ds_bpermute_b32 v12, v1, v5 offset:68
	ds_bpermute_b32 v13, v1, v4 offset:68
	s_wait_loadcnt_dscnt 0x101
	v_sub_f32_e32 v12, v14, v12
	s_wait_loadcnt 0x0
	s_delay_alu instid0(VALU_DEP_1) | instskip(SKIP_2) | instid1(VALU_DEP_2)
	v_mul_f32_e32 v12, v24, v12
	v_add_f32_e32 v2, v2, v24
	s_wait_dscnt 0x0
	v_fmac_f32_e32 v170, v12, v13
	v_add_co_u32 v12, vcc_lo, v104, v158
	s_wait_alu 0xfffd
	v_add_co_ci_u32_e64 v13, null, v105, v159, vcc_lo
	global_load_b32 v14, v[12:13], off
	v_add_co_u32 v12, vcc_lo, v102, v158
	s_wait_alu 0xfffd
	v_add_co_ci_u32_e64 v13, null, v103, v159, vcc_lo
	global_load_b32 v25, v[12:13], off
	ds_bpermute_b32 v12, v1, v5 offset:72
	ds_bpermute_b32 v13, v1, v4 offset:72
	s_wait_loadcnt_dscnt 0x101
	v_sub_f32_e32 v12, v14, v12
	s_wait_loadcnt 0x0
	s_delay_alu instid0(VALU_DEP_1) | instskip(SKIP_2) | instid1(VALU_DEP_2)
	v_mul_f32_e32 v12, v25, v12
	v_add_f32_e32 v2, v2, v25
	s_wait_dscnt 0x0
	v_fmac_f32_e32 v170, v12, v13
	v_add_co_u32 v12, vcc_lo, v108, v158
	s_wait_alu 0xfffd
	v_add_co_ci_u32_e64 v13, null, v109, v159, vcc_lo
	global_load_b32 v14, v[12:13], off
	v_add_co_u32 v12, vcc_lo, v106, v158
	s_wait_alu 0xfffd
	v_add_co_ci_u32_e64 v13, null, v107, v159, vcc_lo
	global_load_b32 v26, v[12:13], off
	ds_bpermute_b32 v12, v1, v5 offset:76
	ds_bpermute_b32 v13, v1, v4 offset:76
	s_wait_loadcnt_dscnt 0x101
	v_sub_f32_e32 v12, v14, v12
	s_wait_loadcnt 0x0
	s_delay_alu instid0(VALU_DEP_1) | instskip(SKIP_2) | instid1(VALU_DEP_2)
	v_mul_f32_e32 v12, v26, v12
	v_add_f32_e32 v2, v2, v26
	s_wait_dscnt 0x0
	v_fmac_f32_e32 v170, v12, v13
	v_add_co_u32 v12, vcc_lo, v112, v158
	s_wait_alu 0xfffd
	v_add_co_ci_u32_e64 v13, null, v113, v159, vcc_lo
	global_load_b32 v14, v[12:13], off
	v_add_co_u32 v12, vcc_lo, v110, v158
	s_wait_alu 0xfffd
	v_add_co_ci_u32_e64 v13, null, v111, v159, vcc_lo
	global_load_b32 v27, v[12:13], off
	ds_bpermute_b32 v12, v1, v5 offset:80
	ds_bpermute_b32 v13, v1, v4 offset:80
	s_wait_loadcnt_dscnt 0x101
	v_sub_f32_e32 v12, v14, v12
	s_wait_loadcnt 0x0
	s_delay_alu instid0(VALU_DEP_1) | instskip(SKIP_2) | instid1(VALU_DEP_2)
	v_mul_f32_e32 v12, v27, v12
	v_add_f32_e32 v2, v2, v27
	s_wait_dscnt 0x0
	v_fmac_f32_e32 v170, v12, v13
	v_add_co_u32 v12, vcc_lo, v116, v158
	s_wait_alu 0xfffd
	v_add_co_ci_u32_e64 v13, null, v117, v159, vcc_lo
	global_load_b32 v14, v[12:13], off
	v_add_co_u32 v12, vcc_lo, v114, v158
	s_wait_alu 0xfffd
	v_add_co_ci_u32_e64 v13, null, v115, v159, vcc_lo
	global_load_b32 v28, v[12:13], off
	ds_bpermute_b32 v12, v1, v5 offset:84
	ds_bpermute_b32 v13, v1, v4 offset:84
	s_wait_loadcnt_dscnt 0x101
	v_sub_f32_e32 v12, v14, v12
	s_wait_loadcnt 0x0
	s_delay_alu instid0(VALU_DEP_1) | instskip(SKIP_2) | instid1(VALU_DEP_2)
	v_mul_f32_e32 v12, v28, v12
	v_add_f32_e32 v2, v2, v28
	s_wait_dscnt 0x0
	v_fmac_f32_e32 v170, v12, v13
	v_add_co_u32 v12, vcc_lo, v120, v158
	s_wait_alu 0xfffd
	v_add_co_ci_u32_e64 v13, null, v121, v159, vcc_lo
	global_load_b32 v14, v[12:13], off
	v_add_co_u32 v12, vcc_lo, v118, v158
	s_wait_alu 0xfffd
	v_add_co_ci_u32_e64 v13, null, v119, v159, vcc_lo
	global_load_b32 v29, v[12:13], off
	ds_bpermute_b32 v12, v1, v5 offset:88
	ds_bpermute_b32 v13, v1, v4 offset:88
	s_wait_loadcnt_dscnt 0x101
	v_sub_f32_e32 v12, v14, v12
	s_wait_loadcnt 0x0
	s_delay_alu instid0(VALU_DEP_1) | instskip(SKIP_2) | instid1(VALU_DEP_2)
	v_mul_f32_e32 v12, v29, v12
	v_add_f32_e32 v2, v2, v29
	s_wait_dscnt 0x0
	v_fmac_f32_e32 v170, v12, v13
	v_add_co_u32 v12, vcc_lo, v124, v158
	s_wait_alu 0xfffd
	v_add_co_ci_u32_e64 v13, null, v125, v159, vcc_lo
	global_load_b32 v14, v[12:13], off
	v_add_co_u32 v12, vcc_lo, v122, v158
	s_wait_alu 0xfffd
	v_add_co_ci_u32_e64 v13, null, v123, v159, vcc_lo
	global_load_b32 v30, v[12:13], off
	ds_bpermute_b32 v12, v1, v5 offset:92
	ds_bpermute_b32 v13, v1, v4 offset:92
	s_wait_loadcnt_dscnt 0x101
	v_sub_f32_e32 v12, v14, v12
	s_wait_loadcnt 0x0
	s_delay_alu instid0(VALU_DEP_1) | instskip(SKIP_2) | instid1(VALU_DEP_2)
	v_mul_f32_e32 v12, v30, v12
	v_add_f32_e32 v2, v2, v30
	s_wait_dscnt 0x0
	v_fmac_f32_e32 v170, v12, v13
	v_add_co_u32 v12, vcc_lo, v128, v158
	s_wait_alu 0xfffd
	v_add_co_ci_u32_e64 v13, null, v129, v159, vcc_lo
	global_load_b32 v14, v[12:13], off
	v_add_co_u32 v12, vcc_lo, v126, v158
	s_wait_alu 0xfffd
	v_add_co_ci_u32_e64 v13, null, v127, v159, vcc_lo
	global_load_b32 v31, v[12:13], off
	ds_bpermute_b32 v12, v1, v5 offset:96
	ds_bpermute_b32 v13, v1, v4 offset:96
	s_wait_loadcnt_dscnt 0x101
	v_sub_f32_e32 v12, v14, v12
	s_wait_loadcnt 0x0
	s_delay_alu instid0(VALU_DEP_1) | instskip(SKIP_2) | instid1(VALU_DEP_2)
	v_mul_f32_e32 v12, v31, v12
	v_add_f32_e32 v2, v2, v31
	s_wait_dscnt 0x0
	v_fmac_f32_e32 v170, v12, v13
	v_add_co_u32 v12, vcc_lo, v132, v158
	s_wait_alu 0xfffd
	v_add_co_ci_u32_e64 v13, null, v133, v159, vcc_lo
	global_load_b32 v14, v[12:13], off
	v_add_co_u32 v12, vcc_lo, v130, v158
	s_wait_alu 0xfffd
	v_add_co_ci_u32_e64 v13, null, v131, v159, vcc_lo
	global_load_b32 v32, v[12:13], off
	ds_bpermute_b32 v12, v1, v5 offset:100
	ds_bpermute_b32 v13, v1, v4 offset:100
	s_wait_loadcnt_dscnt 0x101
	v_sub_f32_e32 v12, v14, v12
	s_wait_loadcnt 0x0
	s_delay_alu instid0(VALU_DEP_1) | instskip(SKIP_2) | instid1(VALU_DEP_2)
	v_mul_f32_e32 v12, v32, v12
	v_add_f32_e32 v2, v2, v32
	s_wait_dscnt 0x0
	v_fmac_f32_e32 v170, v12, v13
	v_add_co_u32 v12, vcc_lo, v136, v158
	s_wait_alu 0xfffd
	v_add_co_ci_u32_e64 v13, null, v137, v159, vcc_lo
	global_load_b32 v14, v[12:13], off
	v_add_co_u32 v12, vcc_lo, v134, v158
	s_wait_alu 0xfffd
	v_add_co_ci_u32_e64 v13, null, v135, v159, vcc_lo
	global_load_b32 v33, v[12:13], off
	ds_bpermute_b32 v12, v1, v5 offset:104
	ds_bpermute_b32 v13, v1, v4 offset:104
	s_wait_loadcnt_dscnt 0x101
	v_sub_f32_e32 v12, v14, v12
	s_wait_loadcnt 0x0
	s_delay_alu instid0(VALU_DEP_1) | instskip(SKIP_2) | instid1(VALU_DEP_2)
	v_mul_f32_e32 v12, v33, v12
	v_add_f32_e32 v2, v2, v33
	s_wait_dscnt 0x0
	v_fmac_f32_e32 v170, v12, v13
	v_add_co_u32 v12, vcc_lo, v140, v158
	s_wait_alu 0xfffd
	v_add_co_ci_u32_e64 v13, null, v141, v159, vcc_lo
	global_load_b32 v14, v[12:13], off
	v_add_co_u32 v12, vcc_lo, v138, v158
	s_wait_alu 0xfffd
	v_add_co_ci_u32_e64 v13, null, v139, v159, vcc_lo
	global_load_b32 v160, v[12:13], off
	ds_bpermute_b32 v12, v1, v5 offset:108
	ds_bpermute_b32 v13, v1, v4 offset:108
	s_wait_loadcnt_dscnt 0x101
	v_sub_f32_e32 v12, v14, v12
	s_wait_loadcnt 0x0
	s_delay_alu instid0(VALU_DEP_1) | instskip(SKIP_2) | instid1(VALU_DEP_2)
	v_mul_f32_e32 v12, v160, v12
	v_add_f32_e32 v2, v2, v160
	s_wait_dscnt 0x0
	v_fmac_f32_e32 v170, v12, v13
	v_add_co_u32 v12, vcc_lo, v144, v158
	s_wait_alu 0xfffd
	v_add_co_ci_u32_e64 v13, null, v145, v159, vcc_lo
	global_load_b32 v14, v[12:13], off
	v_add_co_u32 v12, vcc_lo, v142, v158
	s_wait_alu 0xfffd
	v_add_co_ci_u32_e64 v13, null, v143, v159, vcc_lo
	global_load_b32 v161, v[12:13], off
	ds_bpermute_b32 v12, v1, v5 offset:112
	ds_bpermute_b32 v13, v1, v4 offset:112
	s_wait_loadcnt_dscnt 0x101
	v_sub_f32_e32 v12, v14, v12
	s_wait_loadcnt 0x0
	s_delay_alu instid0(VALU_DEP_1) | instskip(SKIP_2) | instid1(VALU_DEP_2)
	v_mul_f32_e32 v12, v161, v12
	v_add_f32_e32 v2, v2, v161
	s_wait_dscnt 0x0
	v_fmac_f32_e32 v170, v12, v13
	v_add_co_u32 v12, vcc_lo, v148, v158
	s_wait_alu 0xfffd
	v_add_co_ci_u32_e64 v13, null, v149, v159, vcc_lo
	global_load_b32 v14, v[12:13], off
	v_add_co_u32 v12, vcc_lo, v146, v158
	s_wait_alu 0xfffd
	v_add_co_ci_u32_e64 v13, null, v147, v159, vcc_lo
	global_load_b32 v165, v[12:13], off
	ds_bpermute_b32 v12, v1, v5 offset:116
	ds_bpermute_b32 v13, v1, v4 offset:116
	s_wait_loadcnt_dscnt 0x101
	v_sub_f32_e32 v12, v14, v12
	s_wait_loadcnt 0x0
	s_delay_alu instid0(VALU_DEP_1) | instskip(SKIP_2) | instid1(VALU_DEP_2)
	v_mul_f32_e32 v12, v165, v12
	v_add_f32_e32 v2, v2, v165
	s_wait_dscnt 0x0
	v_fmac_f32_e32 v170, v12, v13
	v_add_co_u32 v12, vcc_lo, v152, v158
	s_wait_alu 0xfffd
	v_add_co_ci_u32_e64 v13, null, v153, v159, vcc_lo
	global_load_b32 v14, v[12:13], off
	v_add_co_u32 v12, vcc_lo, v150, v158
	s_wait_alu 0xfffd
	v_add_co_ci_u32_e64 v13, null, v151, v159, vcc_lo
	global_load_b32 v205, v[12:13], off
	ds_bpermute_b32 v12, v1, v5 offset:120
	ds_bpermute_b32 v13, v1, v4 offset:120
	;; [unrolled: 1-line block ×3, first 2 shown]
	s_wait_loadcnt_dscnt 0x102
	v_sub_f32_e32 v12, v14, v12
	s_wait_loadcnt 0x0
	s_delay_alu instid0(VALU_DEP_1) | instskip(SKIP_2) | instid1(VALU_DEP_2)
	v_mul_f32_e32 v12, v205, v12
	v_add_f32_e32 v2, v2, v205
	s_wait_dscnt 0x1
	v_fmac_f32_e32 v170, v12, v13
	v_add_co_u32 v12, vcc_lo, v156, v158
	s_wait_alu 0xfffd
	v_add_co_ci_u32_e64 v13, null, v157, v159, vcc_lo
	v_add_co_u32 v5, vcc_lo, v154, v158
	s_wait_alu 0xfffd
	v_add_co_ci_u32_e64 v6, null, v155, v159, vcc_lo
	global_load_b32 v12, v[12:13], off
	v_mov_b32_e32 v165, v170
	global_load_b32 v33, v[5:6], off
	s_wait_loadcnt 0x1
	v_sub_f32_e32 v3, v12, v3
	s_wait_loadcnt 0x0
	s_delay_alu instid0(VALU_DEP_1) | instskip(SKIP_1) | instid1(VALU_DEP_1)
	v_mul_f32_e32 v3, v33, v3
	s_wait_dscnt 0x0
	v_mul_f32_e32 v205, v3, v4
.LBB61_146:                             ;   in Loop: Header=BB61_147 Depth=1
	s_delay_alu instid0(VALU_DEP_1)
	v_add_f32_e32 v170, v165, v205
	scratch_load_b32 v205, off, off offset:228 th:TH_LOAD_LU ; 4-byte Folded Reload
	v_add_f32_e32 v223, v2, v33
	scratch_load_b32 v2, off, off           ; 4-byte Folded Reload
	v_add_co_u32 v166, vcc_lo, v166, s18
	s_wait_alu 0xfffd
	v_add_co_ci_u32_e64 v167, null, s19, v167, vcc_lo
	v_add_co_u32 v168, vcc_lo, v168, s18
	s_wait_alu 0xfffd
	v_add_co_ci_u32_e64 v169, null, s19, v169, vcc_lo
	;; [unrolled: 3-line block ×64, first 2 shown]
	s_add_nc_u64 s[22:23], s[22:23], s[8:9]
	s_add_nc_u64 s[20:21], s[20:21], s[8:9]
	s_wait_alu 0xfffe
	v_cmp_ge_i64_e64 s2, s[22:23], s[4:5]
	s_wait_loadcnt 0x1
	v_add_co_u32 v205, vcc_lo, v205, s8
	s_wait_alu 0xfffd
	v_add_co_ci_u32_e64 v204, null, 0, v204, vcc_lo
	s_wait_loadcnt 0x0
	v_add_co_u32 v2, vcc_lo, v2, s18
	scratch_store_b32 off, v2, off          ; 4-byte Folded Spill
	scratch_load_b32 v2, off, off offset:4  ; 4-byte Folded Reload
	s_wait_loadcnt 0x0
	s_wait_alu 0xfffd
	v_add_co_ci_u32_e64 v2, null, s19, v2, vcc_lo
	scratch_store_b32 off, v2, off offset:4 ; 4-byte Folded Spill
	scratch_load_b32 v2, off, off offset:8  ; 4-byte Folded Reload
	s_wait_loadcnt 0x0
	v_add_co_u32 v2, vcc_lo, v2, s18
	scratch_store_b32 off, v2, off offset:8 ; 4-byte Folded Spill
	scratch_load_b32 v2, off, off offset:12 ; 4-byte Folded Reload
	s_wait_loadcnt 0x0
	s_wait_alu 0xfffd
	v_add_co_ci_u32_e64 v2, null, s19, v2, vcc_lo
	scratch_store_b32 off, v2, off offset:12 ; 4-byte Folded Spill
	scratch_load_b32 v2, off, off offset:16 ; 4-byte Folded Reload
	s_wait_loadcnt 0x0
	v_add_co_u32 v2, vcc_lo, v2, s18
	scratch_store_b32 off, v2, off offset:16 ; 4-byte Folded Spill
	scratch_load_b32 v2, off, off offset:20 ; 4-byte Folded Reload
	s_wait_loadcnt 0x0
	s_wait_alu 0xfffd
	v_add_co_ci_u32_e64 v2, null, s19, v2, vcc_lo
	scratch_store_b32 off, v2, off offset:20 ; 4-byte Folded Spill
	scratch_load_b32 v2, off, off offset:24 ; 4-byte Folded Reload
	;; [unrolled: 9-line block ×27, first 2 shown]
	s_wait_loadcnt 0x0
	v_add_co_u32 v2, vcc_lo, v2, s18
	s_wait_alu 0xfffd
	v_add_co_ci_u32_e64 v227, null, s19, v227, vcc_lo
	v_add_co_u32 v228, vcc_lo, v228, s18
	s_wait_alu 0xfffd
	v_add_co_ci_u32_e64 v229, null, s19, v229, vcc_lo
	;; [unrolled: 3-line block ×34, first 2 shown]
	s_and_b32 vcc_lo, exec_lo, s2
	scratch_store_b32 off, v2, off offset:224 ; 4-byte Folded Spill
	s_wait_alu 0xfffe
	s_cbranch_vccnz .LBB61_218
.LBB61_147:                             ; =>This Inner Loop Header: Depth=1
	s_add_nc_u64 s[24:25], s[16:17], s[20:21]
	v_add_co_u32 v160, vcc_lo, s16, v205
	s_wait_alu 0xfffe
	v_cmp_ge_i64_e64 s2, s[24:25], s[4:5]
	s_wait_alu 0xfffd
	v_add_co_ci_u32_e64 v161, null, 0, v204, vcc_lo
	scratch_store_b32 off, v205, off offset:228 ; 4-byte Folded Spill
                                        ; implicit-def: $vgpr205
                                        ; implicit-def: $vgpr2
                                        ; implicit-def: $vgpr165
                                        ; implicit-def: $vgpr33
	s_and_b32 vcc_lo, exec_lo, s2
	s_mov_b32 s2, -1
	s_wait_alu 0xfffe
	s_cbranch_vccz .LBB61_215
; %bb.148:                              ;   in Loop: Header=BB61_147 Depth=1
	scratch_load_b32 v2, off, off offset:304 ; 4-byte Folded Reload
	s_load_b32 s2, s[10:11], 0xc
	v_mov_b32_e32 v226, 0
	v_dual_mov_b32 v206, 0 :: v_dual_mov_b32 v205, 0
	s_wait_kmcnt 0x0
	s_and_b32 s2, s2, 0xffff
	s_wait_loadcnt 0x0
	s_wait_alu 0xfffe
	v_mad_u32_u24 v2, v224, s2, v2
	s_mov_b32 s2, exec_lo
	s_delay_alu instid0(VALU_DEP_1) | instskip(NEXT) | instid1(VALU_DEP_1)
	v_and_b32_e32 v2, 31, v2
	v_add_co_u32 v2, vcc_lo, v160, v2
	s_wait_alu 0xfffd
	v_add_co_ci_u32_e64 v3, null, 0, v161, vcc_lo
	s_delay_alu instid0(VALU_DEP_1)
	v_cmpx_gt_i64_e64 s[4:5], v[2:3]
	s_cbranch_execz .LBB61_150
; %bb.149:                              ;   in Loop: Header=BB61_147 Depth=1
	v_lshlrev_b64_e32 v[2:3], 2, v[2:3]
	s_delay_alu instid0(VALU_DEP_1) | instskip(SKIP_1) | instid1(VALU_DEP_2)
	v_add_co_u32 v4, vcc_lo, s12, v2
	s_wait_alu 0xfffd
	v_add_co_ci_u32_e64 v5, null, s13, v3, vcc_lo
	v_add_co_u32 v2, vcc_lo, s14, v2
	s_wait_alu 0xfffd
	v_add_co_ci_u32_e64 v3, null, s15, v3, vcc_lo
	global_load_b32 v206, v[4:5], off
	global_load_b32 v205, v[2:3], off
.LBB61_150:                             ;   in Loop: Header=BB61_147 Depth=1
	s_wait_alu 0xfffe
	s_or_b32 exec_lo, exec_lo, s2
	v_mov_b32_e32 v32, v1
	v_dual_mov_b32 v2, v1 :: v_dual_mov_b32 v3, v1
	v_dual_mov_b32 v4, v1 :: v_dual_mov_b32 v5, v1
	;; [unrolled: 1-line block ×15, first 2 shown]
	v_mov_b32_e32 v33, v32
	s_delay_alu instid0(VALU_DEP_2) | instskip(NEXT) | instid1(VALU_DEP_3)
	v_mov_b32_e32 v32, v31
	v_mov_b32_e32 v31, v30
	;; [unrolled: 1-line block ×31, first 2 shown]
	s_mov_b32 s2, exec_lo
	v_cmpx_gt_i64_e64 s[4:5], v[160:161]
	s_cbranch_execz .LBB61_152
; %bb.151:                              ;   in Loop: Header=BB61_147 Depth=1
	v_add_co_u32 v2, vcc_lo, v168, v158
	s_wait_alu 0xfffd
	v_add_co_ci_u32_e64 v3, null, v169, v159, vcc_lo
	v_add_co_u32 v4, vcc_lo, v166, v158
	s_wait_alu 0xfffd
	v_add_co_ci_u32_e64 v5, null, v167, v159, vcc_lo
	global_load_b32 v226, v[2:3], off
	global_load_b32 v2, v[4:5], off
	v_dual_mov_b32 v3, v1 :: v_dual_mov_b32 v4, v1
	v_dual_mov_b32 v5, v1 :: v_dual_mov_b32 v6, v1
	;; [unrolled: 1-line block ×15, first 2 shown]
	v_mov_b32_e32 v33, v1
.LBB61_152:                             ;   in Loop: Header=BB61_147 Depth=1
	s_wait_alu 0xfffe
	s_or_b32 exec_lo, exec_lo, s2
	v_add_co_u32 v207, vcc_lo, v160, 1
	s_wait_alu 0xfffd
	v_add_co_ci_u32_e64 v208, null, 0, v161, vcc_lo
	s_delay_alu instid0(VALU_DEP_1)
	v_cmp_gt_i64_e32 vcc_lo, s[4:5], v[207:208]
	v_mov_b32_e32 v207, 0
	scratch_store_b32 off, v207, off offset:232 ; 4-byte Folded Spill
	v_mov_b32_e32 v207, 0
	scratch_store_b32 off, v207, off offset:236 ; 4-byte Folded Spill
	s_and_saveexec_b32 s2, vcc_lo
	s_cbranch_execz .LBB61_154
; %bb.153:                              ;   in Loop: Header=BB61_147 Depth=1
	v_add_co_u32 v207, vcc_lo, v202, v158
	s_wait_alu 0xfffd
	v_add_co_ci_u32_e64 v208, null, v203, v159, vcc_lo
	v_add_co_u32 v209, vcc_lo, v200, v158
	s_wait_alu 0xfffd
	v_add_co_ci_u32_e64 v210, null, v201, v159, vcc_lo
	global_load_b32 v3, v[207:208], off
	s_wait_loadcnt 0x0
	scratch_store_b32 off, v3, off offset:236 ; 4-byte Folded Spill
	global_load_b32 v3, v[209:210], off
.LBB61_154:                             ;   in Loop: Header=BB61_147 Depth=1
	s_wait_alu 0xfffe
	s_or_b32 exec_lo, exec_lo, s2
	v_add_co_u32 v207, vcc_lo, v160, 2
	s_wait_alu 0xfffd
	v_add_co_ci_u32_e64 v208, null, 0, v161, vcc_lo
	s_mov_b32 s2, exec_lo
	v_cmpx_gt_i64_e64 s[4:5], v[207:208]
	s_cbranch_execz .LBB61_156
; %bb.155:                              ;   in Loop: Header=BB61_147 Depth=1
	v_add_co_u32 v207, vcc_lo, v198, v158
	s_wait_alu 0xfffd
	v_add_co_ci_u32_e64 v208, null, v199, v159, vcc_lo
	v_add_co_u32 v209, vcc_lo, v196, v158
	s_wait_alu 0xfffd
	v_add_co_ci_u32_e64 v210, null, v197, v159, vcc_lo
	global_load_b32 v4, v[207:208], off
	s_wait_loadcnt 0x0
	scratch_store_b32 off, v4, off offset:232 ; 4-byte Folded Spill
	global_load_b32 v4, v[209:210], off
.LBB61_156:                             ;   in Loop: Header=BB61_147 Depth=1
	s_wait_alu 0xfffe
	s_or_b32 exec_lo, exec_lo, s2
	v_add_co_u32 v207, vcc_lo, v160, 3
	s_wait_alu 0xfffd
	v_add_co_ci_u32_e64 v208, null, 0, v161, vcc_lo
	s_delay_alu instid0(VALU_DEP_1)
	v_cmp_gt_i64_e32 vcc_lo, s[4:5], v[207:208]
	v_mov_b32_e32 v207, 0
	scratch_store_b32 off, v207, off offset:240 ; 4-byte Folded Spill
	v_mov_b32_e32 v207, 0
	scratch_store_b32 off, v207, off offset:244 ; 4-byte Folded Spill
	s_and_saveexec_b32 s2, vcc_lo
	s_cbranch_execz .LBB61_158
; %bb.157:                              ;   in Loop: Header=BB61_147 Depth=1
	v_add_co_u32 v207, vcc_lo, v194, v158
	s_wait_alu 0xfffd
	v_add_co_ci_u32_e64 v208, null, v195, v159, vcc_lo
	v_add_co_u32 v209, vcc_lo, v192, v158
	s_wait_alu 0xfffd
	v_add_co_ci_u32_e64 v210, null, v193, v159, vcc_lo
	global_load_b32 v5, v[207:208], off
	s_wait_loadcnt 0x0
	scratch_store_b32 off, v5, off offset:244 ; 4-byte Folded Spill
	global_load_b32 v5, v[209:210], off
.LBB61_158:                             ;   in Loop: Header=BB61_147 Depth=1
	s_wait_alu 0xfffe
	s_or_b32 exec_lo, exec_lo, s2
	v_add_co_u32 v207, vcc_lo, v160, 4
	s_wait_alu 0xfffd
	v_add_co_ci_u32_e64 v208, null, 0, v161, vcc_lo
	s_mov_b32 s2, exec_lo
	v_cmpx_gt_i64_e64 s[4:5], v[207:208]
	s_cbranch_execz .LBB61_160
; %bb.159:                              ;   in Loop: Header=BB61_147 Depth=1
	v_add_co_u32 v207, vcc_lo, v190, v158
	s_wait_alu 0xfffd
	v_add_co_ci_u32_e64 v208, null, v191, v159, vcc_lo
	v_add_co_u32 v209, vcc_lo, v188, v158
	s_wait_alu 0xfffd
	v_add_co_ci_u32_e64 v210, null, v189, v159, vcc_lo
	global_load_b32 v6, v[207:208], off
	s_wait_loadcnt 0x0
	scratch_store_b32 off, v6, off offset:240 ; 4-byte Folded Spill
	global_load_b32 v6, v[209:210], off
.LBB61_160:                             ;   in Loop: Header=BB61_147 Depth=1
	;; [unrolled: 45-line block ×8, first 2 shown]
	s_wait_alu 0xfffe
	s_or_b32 exec_lo, exec_lo, s2
	v_add_co_u32 v207, vcc_lo, v160, 17
	s_wait_alu 0xfffd
	v_add_co_ci_u32_e64 v208, null, 0, v161, vcc_lo
	s_delay_alu instid0(VALU_DEP_1)
	v_cmp_gt_i64_e32 vcc_lo, s[4:5], v[207:208]
	v_mov_b32_e32 v207, 0
	scratch_store_b32 off, v207, off offset:296 ; 4-byte Folded Spill
	v_mov_b32_e32 v207, 0
	scratch_store_b32 off, v207, off offset:300 ; 4-byte Folded Spill
	s_and_saveexec_b32 s2, vcc_lo
	s_cbranch_execz .LBB61_186
; %bb.185:                              ;   in Loop: Header=BB61_147 Depth=1
	scratch_load_b32 v19, off, off offset:224 ; 4-byte Folded Reload
	v_add_co_u32 v207, vcc_lo, v228, v158
	s_wait_alu 0xfffd
	v_add_co_ci_u32_e64 v208, null, v229, v159, vcc_lo
	s_wait_loadcnt 0x0
	v_add_co_u32 v209, vcc_lo, v19, v158
	global_load_b32 v19, v[207:208], off
	s_wait_alu 0xfffd
	v_add_co_ci_u32_e64 v210, null, v227, v159, vcc_lo
	s_wait_loadcnt 0x0
	scratch_store_b32 off, v19, off offset:300 ; 4-byte Folded Spill
	global_load_b32 v19, v[209:210], off
.LBB61_186:                             ;   in Loop: Header=BB61_147 Depth=1
	s_wait_alu 0xfffe
	s_or_b32 exec_lo, exec_lo, s2
	v_add_co_u32 v207, vcc_lo, v160, 18
	s_wait_alu 0xfffd
	v_add_co_ci_u32_e64 v208, null, 0, v161, vcc_lo
	s_mov_b32 s2, exec_lo
	v_cmpx_gt_i64_e64 s[4:5], v[207:208]
	s_cbranch_execz .LBB61_188
; %bb.187:                              ;   in Loop: Header=BB61_147 Depth=1
	scratch_load_b32 v20, off, off offset:216 ; 4-byte Folded Reload
	s_wait_loadcnt 0x0
	v_add_co_u32 v207, vcc_lo, v20, v158
	scratch_load_b32 v20, off, off offset:220 ; 4-byte Folded Reload
	s_wait_loadcnt 0x0
	s_wait_alu 0xfffd
	v_add_co_ci_u32_e64 v208, null, v20, v159, vcc_lo
	scratch_load_b32 v20, off, off offset:208 ; 4-byte Folded Reload
	s_wait_loadcnt 0x0
	v_add_co_u32 v209, vcc_lo, v20, v158
	scratch_load_b32 v20, off, off offset:212 ; 4-byte Folded Reload
	s_wait_loadcnt 0x0
	s_wait_alu 0xfffd
	v_add_co_ci_u32_e64 v210, null, v20, v159, vcc_lo
	global_load_b32 v20, v[207:208], off
	s_wait_loadcnt 0x0
	scratch_store_b32 off, v20, off offset:296 ; 4-byte Folded Spill
	global_load_b32 v20, v[209:210], off
.LBB61_188:                             ;   in Loop: Header=BB61_147 Depth=1
	s_wait_alu 0xfffe
	s_or_b32 exec_lo, exec_lo, s2
	v_add_co_u32 v207, vcc_lo, v160, 19
	s_wait_alu 0xfffd
	v_add_co_ci_u32_e64 v208, null, 0, v161, vcc_lo
	s_delay_alu instid0(VALU_DEP_1)
	v_cmp_gt_i64_e32 vcc_lo, s[4:5], v[207:208]
	v_dual_mov_b32 v207, 0 :: v_dual_mov_b32 v208, 0
	s_and_saveexec_b32 s2, vcc_lo
	s_cbranch_execz .LBB61_190
; %bb.189:                              ;   in Loop: Header=BB61_147 Depth=1
	scratch_load_b32 v21, off, off offset:200 ; 4-byte Folded Reload
	s_wait_loadcnt 0x0
	v_add_co_u32 v208, vcc_lo, v21, v158
	scratch_load_b32 v21, off, off offset:204 ; 4-byte Folded Reload
	s_wait_loadcnt 0x0
	s_wait_alu 0xfffd
	v_add_co_ci_u32_e64 v209, null, v21, v159, vcc_lo
	scratch_load_b32 v21, off, off offset:192 ; 4-byte Folded Reload
	s_wait_loadcnt 0x0
	v_add_co_u32 v210, vcc_lo, v21, v158
	scratch_load_b32 v21, off, off offset:196 ; 4-byte Folded Reload
	s_wait_loadcnt 0x0
	s_wait_alu 0xfffd
	v_add_co_ci_u32_e64 v211, null, v21, v159, vcc_lo
	global_load_b32 v208, v[208:209], off
	global_load_b32 v21, v[210:211], off
.LBB61_190:                             ;   in Loop: Header=BB61_147 Depth=1
	s_wait_alu 0xfffe
	s_or_b32 exec_lo, exec_lo, s2
	v_add_co_u32 v209, vcc_lo, v160, 20
	s_wait_alu 0xfffd
	v_add_co_ci_u32_e64 v210, null, 0, v161, vcc_lo
	s_mov_b32 s2, exec_lo
	v_cmpx_gt_i64_e64 s[4:5], v[209:210]
	s_cbranch_execz .LBB61_192
; %bb.191:                              ;   in Loop: Header=BB61_147 Depth=1
	scratch_load_b32 v22, off, off offset:184 ; 4-byte Folded Reload
	s_wait_loadcnt 0x0
	v_add_co_u32 v209, vcc_lo, v22, v158
	scratch_load_b32 v22, off, off offset:188 ; 4-byte Folded Reload
	s_wait_loadcnt 0x0
	s_wait_alu 0xfffd
	v_add_co_ci_u32_e64 v210, null, v22, v159, vcc_lo
	scratch_load_b32 v22, off, off offset:176 ; 4-byte Folded Reload
	s_wait_loadcnt 0x0
	v_add_co_u32 v211, vcc_lo, v22, v158
	scratch_load_b32 v22, off, off offset:180 ; 4-byte Folded Reload
	s_wait_loadcnt 0x0
	s_wait_alu 0xfffd
	v_add_co_ci_u32_e64 v212, null, v22, v159, vcc_lo
	global_load_b32 v207, v[209:210], off
	global_load_b32 v22, v[211:212], off
.LBB61_192:                             ;   in Loop: Header=BB61_147 Depth=1
	s_wait_alu 0xfffe
	s_or_b32 exec_lo, exec_lo, s2
	v_add_co_u32 v209, vcc_lo, v160, 21
	s_wait_alu 0xfffd
	v_add_co_ci_u32_e64 v210, null, 0, v161, vcc_lo
	s_delay_alu instid0(VALU_DEP_1)
	v_cmp_gt_i64_e32 vcc_lo, s[4:5], v[209:210]
	v_dual_mov_b32 v209, 0 :: v_dual_mov_b32 v210, 0
	s_and_saveexec_b32 s2, vcc_lo
	s_cbranch_execz .LBB61_194
; %bb.193:                              ;   in Loop: Header=BB61_147 Depth=1
	scratch_load_b32 v23, off, off offset:168 ; 4-byte Folded Reload
	s_wait_loadcnt 0x0
	v_add_co_u32 v210, vcc_lo, v23, v158
	scratch_load_b32 v23, off, off offset:172 ; 4-byte Folded Reload
	s_wait_loadcnt 0x0
	s_wait_alu 0xfffd
	v_add_co_ci_u32_e64 v211, null, v23, v159, vcc_lo
	scratch_load_b32 v23, off, off offset:160 ; 4-byte Folded Reload
	s_wait_loadcnt 0x0
	v_add_co_u32 v212, vcc_lo, v23, v158
	scratch_load_b32 v23, off, off offset:164 ; 4-byte Folded Reload
	s_wait_loadcnt 0x0
	s_wait_alu 0xfffd
	v_add_co_ci_u32_e64 v213, null, v23, v159, vcc_lo
	global_load_b32 v210, v[210:211], off
	global_load_b32 v23, v[212:213], off
.LBB61_194:                             ;   in Loop: Header=BB61_147 Depth=1
	s_wait_alu 0xfffe
	s_or_b32 exec_lo, exec_lo, s2
	v_add_co_u32 v211, vcc_lo, v160, 22
	s_wait_alu 0xfffd
	v_add_co_ci_u32_e64 v212, null, 0, v161, vcc_lo
	s_mov_b32 s2, exec_lo
	v_cmpx_gt_i64_e64 s[4:5], v[211:212]
	s_cbranch_execz .LBB61_196
; %bb.195:                              ;   in Loop: Header=BB61_147 Depth=1
	scratch_load_b32 v24, off, off offset:152 ; 4-byte Folded Reload
	s_wait_loadcnt 0x0
	v_add_co_u32 v211, vcc_lo, v24, v158
	scratch_load_b32 v24, off, off offset:156 ; 4-byte Folded Reload
	s_wait_loadcnt 0x0
	s_wait_alu 0xfffd
	v_add_co_ci_u32_e64 v212, null, v24, v159, vcc_lo
	scratch_load_b32 v24, off, off offset:144 ; 4-byte Folded Reload
	s_wait_loadcnt 0x0
	v_add_co_u32 v213, vcc_lo, v24, v158
	scratch_load_b32 v24, off, off offset:148 ; 4-byte Folded Reload
	s_wait_loadcnt 0x0
	s_wait_alu 0xfffd
	v_add_co_ci_u32_e64 v214, null, v24, v159, vcc_lo
	global_load_b32 v209, v[211:212], off
	global_load_b32 v24, v[213:214], off
.LBB61_196:                             ;   in Loop: Header=BB61_147 Depth=1
	;; [unrolled: 54-line block ×5, first 2 shown]
	s_wait_alu 0xfffe
	s_or_b32 exec_lo, exec_lo, s2
	v_add_co_u32 v217, vcc_lo, v160, 29
	s_wait_alu 0xfffd
	v_add_co_ci_u32_e64 v218, null, 0, v161, vcc_lo
	s_delay_alu instid0(VALU_DEP_1)
	v_cmp_gt_i64_e32 vcc_lo, s[4:5], v[217:218]
	v_dual_mov_b32 v217, 0 :: v_dual_mov_b32 v218, 0
	s_and_saveexec_b32 s2, vcc_lo
	s_cbranch_execz .LBB61_210
; %bb.209:                              ;   in Loop: Header=BB61_147 Depth=1
	scratch_load_b32 v31, off, off offset:40 ; 4-byte Folded Reload
	s_wait_loadcnt 0x0
	v_add_co_u32 v218, vcc_lo, v31, v158
	scratch_load_b32 v31, off, off offset:44 ; 4-byte Folded Reload
	s_wait_loadcnt 0x0
	s_wait_alu 0xfffd
	v_add_co_ci_u32_e64 v219, null, v31, v159, vcc_lo
	scratch_load_b32 v31, off, off offset:32 ; 4-byte Folded Reload
	s_wait_loadcnt 0x0
	v_add_co_u32 v221, vcc_lo, v31, v158
	scratch_load_b32 v31, off, off offset:36 ; 4-byte Folded Reload
	s_wait_loadcnt 0x0
	s_wait_alu 0xfffd
	v_add_co_ci_u32_e64 v222, null, v31, v159, vcc_lo
	global_load_b32 v218, v[218:219], off
	global_load_b32 v31, v[221:222], off
.LBB61_210:                             ;   in Loop: Header=BB61_147 Depth=1
	s_wait_alu 0xfffe
	s_or_b32 exec_lo, exec_lo, s2
	v_add_co_u32 v221, vcc_lo, v160, 30
	v_mov_b32_e32 v225, v223
	s_wait_alu 0xfffd
	v_add_co_ci_u32_e64 v222, null, 0, v161, vcc_lo
	s_mov_b32 s2, exec_lo
	v_cmpx_gt_i64_e64 s[4:5], v[221:222]
	s_cbranch_execz .LBB61_212
; %bb.211:                              ;   in Loop: Header=BB61_147 Depth=1
	scratch_load_b32 v32, off, off offset:24 ; 4-byte Folded Reload
	s_wait_loadcnt 0x0
	v_add_co_u32 v221, vcc_lo, v32, v158
	scratch_load_b32 v32, off, off offset:28 ; 4-byte Folded Reload
	s_wait_loadcnt 0x0
	s_wait_alu 0xfffd
	v_add_co_ci_u32_e64 v222, null, v32, v159, vcc_lo
	scratch_load_b32 v32, off, off offset:16 ; 4-byte Folded Reload
	s_wait_loadcnt 0x0
	v_add_co_u32 v223, vcc_lo, v32, v158
	scratch_load_b32 v32, off, off offset:20 ; 4-byte Folded Reload
	s_wait_loadcnt 0x0
	s_wait_alu 0xfffd
	v_add_co_ci_u32_e64 v224, null, v32, v159, vcc_lo
	global_load_b32 v217, v[221:222], off
	global_load_b32 v32, v[223:224], off
	scratch_load_b32 v224, off, off offset:308 ; 4-byte Folded Reload
.LBB61_212:                             ;   in Loop: Header=BB61_147 Depth=1
	s_wait_alu 0xfffe
	s_or_b32 exec_lo, exec_lo, s2
	v_add_co_u32 v221, vcc_lo, v160, 31
	s_wait_alu 0xfffd
	v_add_co_ci_u32_e64 v222, null, 0, v161, vcc_lo
	v_mov_b32_e32 v219, 0
	s_mov_b32 s2, exec_lo
	s_delay_alu instid0(VALU_DEP_2)
	v_cmpx_gt_i64_e64 s[4:5], v[221:222]
	s_cbranch_execz .LBB61_214
; %bb.213:                              ;   in Loop: Header=BB61_147 Depth=1
	scratch_load_b32 v33, off, off offset:8 ; 4-byte Folded Reload
	s_wait_loadcnt 0x0
	v_add_co_u32 v221, vcc_lo, v33, v158
	scratch_load_b32 v33, off, off offset:12 ; 4-byte Folded Reload
	s_wait_loadcnt 0x0
	s_wait_alu 0xfffd
	v_add_co_ci_u32_e64 v222, null, v33, v159, vcc_lo
	scratch_load_b32 v33, off, off          ; 4-byte Folded Reload
	s_wait_loadcnt 0x0
	v_add_co_u32 v223, vcc_lo, v33, v158
	scratch_load_b32 v33, off, off offset:4 ; 4-byte Folded Reload
	s_wait_loadcnt 0x0
	s_wait_alu 0xfffd
	v_add_co_ci_u32_e64 v224, null, v33, v159, vcc_lo
	global_load_b32 v219, v[221:222], off
	global_load_b32 v33, v[223:224], off
	scratch_load_b32 v224, off, off offset:308 ; 4-byte Folded Reload
.LBB61_214:                             ;   in Loop: Header=BB61_147 Depth=1
	s_wait_alu 0xfffe
	s_or_b32 exec_lo, exec_lo, s2
	scratch_load_b32 v222, off, off offset:236 th:TH_LOAD_LU ; 4-byte Folded Reload
	s_wait_loadcnt 0x2
	ds_bpermute_b32 v221, v1, v206 offset:4
	ds_bpermute_b32 v165, v1, v206
	v_mov_b32_e32 v223, v225
	s_mov_b32 s2, 0
	s_wait_dscnt 0x0
	v_sub_f32_e32 v165, v226, v165
	s_wait_loadcnt 0x1
	s_delay_alu instid0(VALU_DEP_1) | instskip(NEXT) | instid1(VALU_DEP_1)
	v_dual_mul_f32 v165, v2, v165 :: v_dual_add_f32 v2, v223, v2
	v_add_f32_e32 v2, v3, v2
	s_delay_alu instid0(VALU_DEP_1) | instskip(NEXT) | instid1(VALU_DEP_1)
	v_add_f32_e32 v2, v4, v2
	v_add_f32_e32 v2, v5, v2
	s_delay_alu instid0(VALU_DEP_1) | instskip(NEXT) | instid1(VALU_DEP_1)
	v_add_f32_e32 v2, v6, v2
	;; [unrolled: 3-line block ×14, first 2 shown]
	v_add_f32_e32 v2, v31, v2
	s_wait_loadcnt 0x0
	s_delay_alu instid0(VALU_DEP_1)
	v_dual_add_f32 v2, v32, v2 :: v_dual_sub_f32 v221, v222, v221
	ds_bpermute_b32 v222, v1, v205
	v_mul_f32_e32 v221, v3, v221
	s_wait_dscnt 0x0
	v_fma_f32 v165, v165, v222, v170
	ds_bpermute_b32 v222, v1, v205 offset:4
	s_wait_dscnt 0x0
	v_fmac_f32_e32 v165, v221, v222
	scratch_load_b32 v222, off, off offset:232 th:TH_LOAD_LU ; 4-byte Folded Reload
	ds_bpermute_b32 v221, v1, v206 offset:8
	s_wait_loadcnt_dscnt 0x0
	v_sub_f32_e32 v221, v222, v221
	ds_bpermute_b32 v222, v1, v205 offset:8
	v_mul_f32_e32 v221, v4, v221
	s_wait_dscnt 0x0
	s_delay_alu instid0(VALU_DEP_1)
	v_fmac_f32_e32 v165, v221, v222
	scratch_load_b32 v222, off, off offset:244 th:TH_LOAD_LU ; 4-byte Folded Reload
	ds_bpermute_b32 v221, v1, v206 offset:12
	s_wait_loadcnt_dscnt 0x0
	v_sub_f32_e32 v221, v222, v221
	ds_bpermute_b32 v222, v1, v205 offset:12
	v_mul_f32_e32 v221, v5, v221
	s_wait_dscnt 0x0
	s_delay_alu instid0(VALU_DEP_1)
	;; [unrolled: 9-line block ×17, first 2 shown]
	v_fmac_f32_e32 v165, v221, v222
	ds_bpermute_b32 v221, v1, v206 offset:76
	s_wait_dscnt 0x0
	v_sub_f32_e32 v208, v208, v221
	ds_bpermute_b32 v221, v1, v205 offset:76
	v_mul_f32_e32 v208, v21, v208
	s_wait_dscnt 0x0
	s_delay_alu instid0(VALU_DEP_1)
	v_fmac_f32_e32 v165, v208, v221
	ds_bpermute_b32 v208, v1, v206 offset:80
	s_wait_dscnt 0x0
	v_sub_f32_e32 v207, v207, v208
	ds_bpermute_b32 v208, v1, v205 offset:80
	v_mul_f32_e32 v207, v22, v207
	s_wait_dscnt 0x0
	s_delay_alu instid0(VALU_DEP_1) | instskip(SKIP_4) | instid1(VALU_DEP_1)
	v_fmac_f32_e32 v165, v207, v208
	ds_bpermute_b32 v207, v1, v206 offset:84
	ds_bpermute_b32 v208, v1, v205 offset:84
	s_wait_dscnt 0x1
	v_sub_f32_e32 v207, v210, v207
	v_mul_f32_e32 v207, v23, v207
	s_wait_dscnt 0x0
	s_delay_alu instid0(VALU_DEP_1) | instskip(SKIP_4) | instid1(VALU_DEP_1)
	v_fmac_f32_e32 v165, v207, v208
	ds_bpermute_b32 v207, v1, v206 offset:88
	ds_bpermute_b32 v208, v1, v205 offset:88
	s_wait_dscnt 0x1
	v_sub_f32_e32 v207, v209, v207
	v_mul_f32_e32 v207, v24, v207
	s_wait_dscnt 0x0
	s_delay_alu instid0(VALU_DEP_1) | instskip(SKIP_4) | instid1(VALU_DEP_1)
	v_fmac_f32_e32 v165, v207, v208
	ds_bpermute_b32 v207, v1, v206 offset:92
	ds_bpermute_b32 v208, v1, v205 offset:92
	s_wait_dscnt 0x1
	v_sub_f32_e32 v207, v212, v207
	v_mul_f32_e32 v207, v25, v207
	s_wait_dscnt 0x0
	s_delay_alu instid0(VALU_DEP_1) | instskip(SKIP_4) | instid1(VALU_DEP_1)
	v_fmac_f32_e32 v165, v207, v208
	ds_bpermute_b32 v207, v1, v206 offset:96
	ds_bpermute_b32 v208, v1, v205 offset:96
	s_wait_dscnt 0x1
	v_sub_f32_e32 v207, v211, v207
	v_mul_f32_e32 v207, v26, v207
	s_wait_dscnt 0x0
	s_delay_alu instid0(VALU_DEP_1) | instskip(SKIP_4) | instid1(VALU_DEP_1)
	v_fmac_f32_e32 v165, v207, v208
	ds_bpermute_b32 v207, v1, v206 offset:100
	ds_bpermute_b32 v208, v1, v205 offset:100
	s_wait_dscnt 0x1
	v_sub_f32_e32 v207, v214, v207
	v_mul_f32_e32 v207, v27, v207
	s_wait_dscnt 0x0
	s_delay_alu instid0(VALU_DEP_1) | instskip(SKIP_4) | instid1(VALU_DEP_1)
	v_fmac_f32_e32 v165, v207, v208
	ds_bpermute_b32 v207, v1, v206 offset:104
	ds_bpermute_b32 v208, v1, v205 offset:104
	s_wait_dscnt 0x1
	v_sub_f32_e32 v207, v213, v207
	v_mul_f32_e32 v207, v28, v207
	s_wait_dscnt 0x0
	s_delay_alu instid0(VALU_DEP_1) | instskip(SKIP_4) | instid1(VALU_DEP_1)
	v_fmac_f32_e32 v165, v207, v208
	ds_bpermute_b32 v207, v1, v206 offset:108
	ds_bpermute_b32 v208, v1, v205 offset:108
	s_wait_dscnt 0x1
	v_sub_f32_e32 v207, v216, v207
	v_mul_f32_e32 v207, v29, v207
	s_wait_dscnt 0x0
	s_delay_alu instid0(VALU_DEP_1) | instskip(SKIP_4) | instid1(VALU_DEP_1)
	v_fmac_f32_e32 v165, v207, v208
	ds_bpermute_b32 v207, v1, v206 offset:112
	ds_bpermute_b32 v208, v1, v205 offset:112
	s_wait_dscnt 0x1
	v_sub_f32_e32 v207, v215, v207
	v_mul_f32_e32 v207, v30, v207
	s_wait_dscnt 0x0
	s_delay_alu instid0(VALU_DEP_1) | instskip(SKIP_4) | instid1(VALU_DEP_1)
	v_fmac_f32_e32 v165, v207, v208
	ds_bpermute_b32 v207, v1, v206 offset:116
	ds_bpermute_b32 v208, v1, v205 offset:116
	s_wait_dscnt 0x1
	v_sub_f32_e32 v207, v218, v207
	v_mul_f32_e32 v207, v31, v207
	s_wait_dscnt 0x0
	s_delay_alu instid0(VALU_DEP_1)
	v_fmac_f32_e32 v165, v207, v208
	ds_bpermute_b32 v207, v1, v206 offset:120
	ds_bpermute_b32 v206, v1, v206 offset:124
	;; [unrolled: 1-line block ×4, first 2 shown]
	s_wait_dscnt 0x2
	v_dual_sub_f32 v207, v217, v207 :: v_dual_sub_f32 v206, v219, v206
	s_delay_alu instid0(VALU_DEP_1) | instskip(SKIP_1) | instid1(VALU_DEP_1)
	v_dual_mul_f32 v207, v32, v207 :: v_dual_mul_f32 v206, v33, v206
	s_wait_dscnt 0x1
	v_fmac_f32_e32 v165, v207, v208
	s_wait_dscnt 0x0
	s_delay_alu instid0(VALU_DEP_2)
	v_mul_f32_e32 v205, v206, v205
.LBB61_215:                             ;   in Loop: Header=BB61_147 Depth=1
	s_wait_alu 0xfffe
	s_and_b32 vcc_lo, exec_lo, s2
	s_wait_alu 0xfffe
	s_cbranch_vccz .LBB61_146
; %bb.216:                              ;   in Loop: Header=BB61_147 Depth=1
	scratch_load_b32 v2, off, off offset:304 ; 4-byte Folded Reload
	s_load_b32 s2, s[10:11], 0x0
	v_dual_mov_b32 v4, 0 :: v_dual_mov_b32 v5, 0
	s_wait_kmcnt 0x0
	s_cmp_lt_u32 ttmp9, s2
	s_cselect_b32 s2, 12, 18
	s_wait_alu 0xfffe
	s_add_nc_u64 s[24:25], s[10:11], s[2:3]
	s_load_u16 s2, s[24:25], 0x0
	s_wait_loadcnt 0x0
	s_wait_kmcnt 0x0
	v_mad_u32_u24 v2, v224, s2, v2
	s_mov_b32 s2, exec_lo
	s_delay_alu instid0(VALU_DEP_1) | instskip(NEXT) | instid1(VALU_DEP_1)
	v_and_b32_e32 v2, 31, v2
	v_add_co_u32 v2, vcc_lo, v160, v2
	s_wait_alu 0xfffd
	v_add_co_ci_u32_e64 v3, null, 0, v161, vcc_lo
	s_delay_alu instid0(VALU_DEP_1)
	v_cmpx_gt_i64_e64 s[4:5], v[2:3]
	s_cbranch_execz .LBB61_145
; %bb.217:                              ;   in Loop: Header=BB61_147 Depth=1
	v_lshlrev_b64_e32 v[2:3], 2, v[2:3]
	s_delay_alu instid0(VALU_DEP_1) | instskip(SKIP_1) | instid1(VALU_DEP_2)
	v_add_co_u32 v4, vcc_lo, s12, v2
	s_wait_alu 0xfffd
	v_add_co_ci_u32_e64 v5, null, s13, v3, vcc_lo
	v_add_co_u32 v2, vcc_lo, s14, v2
	s_wait_alu 0xfffd
	v_add_co_ci_u32_e64 v3, null, s15, v3, vcc_lo
	global_load_b32 v5, v[4:5], off
	global_load_b32 v4, v[2:3], off
	s_branch .LBB61_145
.LBB61_218:
	scratch_load_b32 v227, off, off offset:312 ; 4-byte Folded Reload
.LBB61_219:
	s_mov_b32 s2, ttmp9
	s_mov_b32 s3, 0
	s_wait_alu 0xfffe
	s_lshl_b64 s[2:3], s[2:3], 5
	s_wait_loadcnt 0x0
	s_wait_alu 0xfffe
	v_and_or_b32 v4, 0x3ff, v227, s2
	v_mov_b32_e32 v5, s3
	s_mov_b32 s2, exec_lo
	s_delay_alu instid0(VALU_DEP_1)
	v_cmpx_gt_i64_e64 s[6:7], v[4:5]
	s_cbranch_execz .LBB61_224
; %bb.220:
	s_clause 0x1
	s_load_u16 s4, s[0:1], 0x4e
	s_load_b128 s[0:3], s[0:1], 0x30
	v_bfe_u32 v0, v227, 10, 10
	v_mov_b32_e32 v1, 0
	s_wait_kmcnt 0x0
	s_delay_alu instid0(VALU_DEP_1) | instskip(SKIP_2) | instid1(VALU_DEP_2)
	v_mad_co_u64_u32 v[2:3], null, s4, ttmp7, v[0:1]
	v_lshlrev_b64_e32 v[0:1], 2, v[4:5]
	s_cmp_eq_u64 s[0:1], 0
	v_mul_lo_u32 v3, v3, s6
	s_delay_alu instid0(VALU_DEP_3)
	v_mul_lo_u32 v6, v2, s7
	s_cbranch_scc1 .LBB61_222
; %bb.221:
	v_mad_co_u64_u32 v[4:5], null, v2, s6, 0
	s_delay_alu instid0(VALU_DEP_1) | instskip(NEXT) | instid1(VALU_DEP_1)
	v_add3_u32 v5, v5, v6, v3
	v_lshlrev_b64_e32 v[4:5], 2, v[4:5]
	s_delay_alu instid0(VALU_DEP_1) | instskip(SKIP_1) | instid1(VALU_DEP_2)
	v_add_co_u32 v4, vcc_lo, s0, v4
	s_wait_alu 0xfffd
	v_add_co_ci_u32_e64 v5, null, s1, v5, vcc_lo
	s_delay_alu instid0(VALU_DEP_2) | instskip(SKIP_1) | instid1(VALU_DEP_2)
	v_add_co_u32 v4, vcc_lo, v4, v0
	s_wait_alu 0xfffd
	v_add_co_ci_u32_e64 v5, null, v5, v1, vcc_lo
	global_store_b32 v[4:5], v170, off
.LBB61_222:
	s_cmp_eq_u64 s[2:3], 0
	s_cbranch_scc1 .LBB61_224
; %bb.223:
	v_mad_co_u64_u32 v[4:5], null, v2, s6, 0
	s_delay_alu instid0(VALU_DEP_1) | instskip(NEXT) | instid1(VALU_DEP_1)
	v_add3_u32 v5, v5, v6, v3
	v_lshlrev_b64_e32 v[2:3], 2, v[4:5]
	s_delay_alu instid0(VALU_DEP_1) | instskip(SKIP_1) | instid1(VALU_DEP_2)
	v_add_co_u32 v2, vcc_lo, s2, v2
	s_wait_alu 0xfffd
	v_add_co_ci_u32_e64 v3, null, s3, v3, vcc_lo
	s_delay_alu instid0(VALU_DEP_2) | instskip(SKIP_1) | instid1(VALU_DEP_2)
	v_add_co_u32 v0, vcc_lo, v2, v0
	s_wait_alu 0xfffd
	v_add_co_ci_u32_e64 v1, null, v3, v1, vcc_lo
	global_store_b32 v[0:1], v223, off
.LBB61_224:
	s_nop 0
	s_sendmsg sendmsg(MSG_DEALLOC_VGPRS)
	s_endpgm
	.section	.rodata,"a",@progbits
	.p2align	6, 0x0
	.amdhsa_kernel _ZN2at6native12_GLOBAL__N_135GammaBetaBackwardCUDAKernelTemplateIffLj32ELj1ELj32ELb1ELb0ELb0EEEvllPKT_S5_PKT0_S8_PS3_S9_
		.amdhsa_group_segment_fixed_size 0
		.amdhsa_private_segment_fixed_size 320
		.amdhsa_kernarg_size 320
		.amdhsa_user_sgpr_count 2
		.amdhsa_user_sgpr_dispatch_ptr 0
		.amdhsa_user_sgpr_queue_ptr 0
		.amdhsa_user_sgpr_kernarg_segment_ptr 1
		.amdhsa_user_sgpr_dispatch_id 0
		.amdhsa_user_sgpr_private_segment_size 0
		.amdhsa_wavefront_size32 1
		.amdhsa_uses_dynamic_stack 0
		.amdhsa_enable_private_segment 1
		.amdhsa_system_sgpr_workgroup_id_x 1
		.amdhsa_system_sgpr_workgroup_id_y 1
		.amdhsa_system_sgpr_workgroup_id_z 0
		.amdhsa_system_sgpr_workgroup_info 0
		.amdhsa_system_vgpr_workitem_id 1
		.amdhsa_next_free_vgpr 256
		.amdhsa_next_free_sgpr 36
		.amdhsa_reserve_vcc 1
		.amdhsa_float_round_mode_32 0
		.amdhsa_float_round_mode_16_64 0
		.amdhsa_float_denorm_mode_32 3
		.amdhsa_float_denorm_mode_16_64 3
		.amdhsa_fp16_overflow 0
		.amdhsa_workgroup_processor_mode 1
		.amdhsa_memory_ordered 1
		.amdhsa_forward_progress 1
		.amdhsa_inst_pref_size 255
		.amdhsa_round_robin_scheduling 0
		.amdhsa_exception_fp_ieee_invalid_op 0
		.amdhsa_exception_fp_denorm_src 0
		.amdhsa_exception_fp_ieee_div_zero 0
		.amdhsa_exception_fp_ieee_overflow 0
		.amdhsa_exception_fp_ieee_underflow 0
		.amdhsa_exception_fp_ieee_inexact 0
		.amdhsa_exception_int_div_zero 0
	.end_amdhsa_kernel
	.section	.text._ZN2at6native12_GLOBAL__N_135GammaBetaBackwardCUDAKernelTemplateIffLj32ELj1ELj32ELb1ELb0ELb0EEEvllPKT_S5_PKT0_S8_PS3_S9_,"axG",@progbits,_ZN2at6native12_GLOBAL__N_135GammaBetaBackwardCUDAKernelTemplateIffLj32ELj1ELj32ELb1ELb0ELb0EEEvllPKT_S5_PKT0_S8_PS3_S9_,comdat
.Lfunc_end61:
	.size	_ZN2at6native12_GLOBAL__N_135GammaBetaBackwardCUDAKernelTemplateIffLj32ELj1ELj32ELb1ELb0ELb0EEEvllPKT_S5_PKT0_S8_PS3_S9_, .Lfunc_end61-_ZN2at6native12_GLOBAL__N_135GammaBetaBackwardCUDAKernelTemplateIffLj32ELj1ELj32ELb1ELb0ELb0EEEvllPKT_S5_PKT0_S8_PS3_S9_
                                        ; -- End function
	.set _ZN2at6native12_GLOBAL__N_135GammaBetaBackwardCUDAKernelTemplateIffLj32ELj1ELj32ELb1ELb0ELb0EEEvllPKT_S5_PKT0_S8_PS3_S9_.num_vgpr, 256
	.set _ZN2at6native12_GLOBAL__N_135GammaBetaBackwardCUDAKernelTemplateIffLj32ELj1ELj32ELb1ELb0ELb0EEEvllPKT_S5_PKT0_S8_PS3_S9_.num_agpr, 0
	.set _ZN2at6native12_GLOBAL__N_135GammaBetaBackwardCUDAKernelTemplateIffLj32ELj1ELj32ELb1ELb0ELb0EEEvllPKT_S5_PKT0_S8_PS3_S9_.numbered_sgpr, 36
	.set _ZN2at6native12_GLOBAL__N_135GammaBetaBackwardCUDAKernelTemplateIffLj32ELj1ELj32ELb1ELb0ELb0EEEvllPKT_S5_PKT0_S8_PS3_S9_.num_named_barrier, 0
	.set _ZN2at6native12_GLOBAL__N_135GammaBetaBackwardCUDAKernelTemplateIffLj32ELj1ELj32ELb1ELb0ELb0EEEvllPKT_S5_PKT0_S8_PS3_S9_.private_seg_size, 320
	.set _ZN2at6native12_GLOBAL__N_135GammaBetaBackwardCUDAKernelTemplateIffLj32ELj1ELj32ELb1ELb0ELb0EEEvllPKT_S5_PKT0_S8_PS3_S9_.uses_vcc, 1
	.set _ZN2at6native12_GLOBAL__N_135GammaBetaBackwardCUDAKernelTemplateIffLj32ELj1ELj32ELb1ELb0ELb0EEEvllPKT_S5_PKT0_S8_PS3_S9_.uses_flat_scratch, 1
	.set _ZN2at6native12_GLOBAL__N_135GammaBetaBackwardCUDAKernelTemplateIffLj32ELj1ELj32ELb1ELb0ELb0EEEvllPKT_S5_PKT0_S8_PS3_S9_.has_dyn_sized_stack, 0
	.set _ZN2at6native12_GLOBAL__N_135GammaBetaBackwardCUDAKernelTemplateIffLj32ELj1ELj32ELb1ELb0ELb0EEEvllPKT_S5_PKT0_S8_PS3_S9_.has_recursion, 0
	.set _ZN2at6native12_GLOBAL__N_135GammaBetaBackwardCUDAKernelTemplateIffLj32ELj1ELj32ELb1ELb0ELb0EEEvllPKT_S5_PKT0_S8_PS3_S9_.has_indirect_call, 0
	.section	.AMDGPU.csdata,"",@progbits
; Kernel info:
; codeLenInByte = 37068
; TotalNumSgprs: 38
; NumVgprs: 256
; ScratchSize: 320
; MemoryBound: 0
; FloatMode: 240
; IeeeMode: 1
; LDSByteSize: 0 bytes/workgroup (compile time only)
; SGPRBlocks: 0
; VGPRBlocks: 31
; NumSGPRsForWavesPerEU: 38
; NumVGPRsForWavesPerEU: 256
; Occupancy: 5
; WaveLimiterHint : 0
; COMPUTE_PGM_RSRC2:SCRATCH_EN: 1
; COMPUTE_PGM_RSRC2:USER_SGPR: 2
; COMPUTE_PGM_RSRC2:TRAP_HANDLER: 0
; COMPUTE_PGM_RSRC2:TGID_X_EN: 1
; COMPUTE_PGM_RSRC2:TGID_Y_EN: 1
; COMPUTE_PGM_RSRC2:TGID_Z_EN: 0
; COMPUTE_PGM_RSRC2:TIDIG_COMP_CNT: 1
	.section	.text._ZN2at6native12_GLOBAL__N_135GammaBetaBackwardCUDAKernelTemplateIffLj32ELj1ELj8ELb1ELb1ELb0EEEvllPKT_S5_PKT0_S8_PS3_S9_,"axG",@progbits,_ZN2at6native12_GLOBAL__N_135GammaBetaBackwardCUDAKernelTemplateIffLj32ELj1ELj8ELb1ELb1ELb0EEEvllPKT_S5_PKT0_S8_PS3_S9_,comdat
	.globl	_ZN2at6native12_GLOBAL__N_135GammaBetaBackwardCUDAKernelTemplateIffLj32ELj1ELj8ELb1ELb1ELb0EEEvllPKT_S5_PKT0_S8_PS3_S9_ ; -- Begin function _ZN2at6native12_GLOBAL__N_135GammaBetaBackwardCUDAKernelTemplateIffLj32ELj1ELj8ELb1ELb1ELb0EEEvllPKT_S5_PKT0_S8_PS3_S9_
	.p2align	8
	.type	_ZN2at6native12_GLOBAL__N_135GammaBetaBackwardCUDAKernelTemplateIffLj32ELj1ELj8ELb1ELb1ELb0EEEvllPKT_S5_PKT0_S8_PS3_S9_,@function
_ZN2at6native12_GLOBAL__N_135GammaBetaBackwardCUDAKernelTemplateIffLj32ELj1ELj8ELb1ELb1ELb0EEEvllPKT_S5_PKT0_S8_PS3_S9_: ; @_ZN2at6native12_GLOBAL__N_135GammaBetaBackwardCUDAKernelTemplateIffLj32ELj1ELj8ELb1ELb1ELb0EEEvllPKT_S5_PKT0_S8_PS3_S9_
; %bb.0:
	s_load_b128 s[12:15], s[0:1], 0x0
	s_lshl_b32 s2, ttmp7, 3
	s_mov_b32 s3, 0
	v_bfe_u32 v6, v0, 10, 10
	s_add_nc_u64 s[20:21], s[0:1], 64
	s_wait_kmcnt 0x0
	v_cmp_gt_i64_e64 s4, s[12:13], s[2:3]
	s_and_b32 vcc_lo, exec_lo, s4
	s_cbranch_vccnz .LBB62_2
; %bb.1:
	v_bfe_u32 v1, v0, 10, 10
	s_add_nc_u64 s[4:5], s[0:1], 64
	s_mov_b32 s6, s3
	s_branch .LBB62_3
.LBB62_2:
	s_mov_b32 s6, -1
                                        ; implicit-def: $sgpr4_sgpr5
                                        ; implicit-def: $vgpr1
.LBB62_3:
	s_load_b128 s[16:19], s[0:1], 0x30
	v_and_b32_e32 v7, 0x3ff, v0
	v_mov_b32_e32 v15, 0
	v_mov_b32_e32 v9, 0
	s_and_not1_b32 vcc_lo, exec_lo, s6
	s_cbranch_vccnz .LBB62_11
; %bb.4:
	s_load_b32 s22, s[0:1], 0x4c
	v_dual_mov_b32 v1, 0 :: v_dual_lshlrev_b32 v0, 3, v6
	s_clause 0x1
	s_load_b32 s24, s[0:1], 0x44
	s_load_b256 s[4:11], s[0:1], 0x10
	s_mov_b32 s23, 0
	v_dual_mov_b32 v8, 8 :: v_dual_mov_b32 v11, 12
	v_add_co_u32 v2, s0, v0, s2
	s_delay_alu instid0(VALU_DEP_1) | instskip(SKIP_1) | instid1(VALU_DEP_3)
	v_add_co_ci_u32_e64 v3, null, 0, 0, s0
	v_lshl_add_u32 v0, ttmp9, 5, v7
	v_mul_lo_u32 v9, s15, v2
	v_mad_co_u64_u32 v[4:5], null, s14, v2, 0
	s_delay_alu instid0(VALU_DEP_4) | instskip(NEXT) | instid1(VALU_DEP_4)
	v_mul_lo_u32 v15, s14, v3
	v_lshlrev_b64_e32 v[16:17], 2, v[0:1]
	v_dual_mov_b32 v10, 4 :: v_dual_mov_b32 v13, 20
	v_mov_b32_e32 v12, 16
	s_wait_kmcnt 0x0
	s_and_b32 s0, s22, 0xffff
	v_mov_b32_e32 v0, 28
	s_wait_alu 0xfffe
	v_mad_u32_u24 v14, v6, s0, v7
	v_add3_u32 v5, v5, v15, v9
	s_lshl_b32 s22, s24, 3
	v_mov_b32_e32 v9, 0
	s_mul_u64 s[26:27], s[14:15], s[22:23]
	v_dual_mov_b32 v15, 0 :: v_dual_and_b32 v20, 31, v14
	v_lshlrev_b64_e32 v[18:19], 2, v[4:5]
	v_mov_b32_e32 v14, 24
	s_lshl_b64 s[24:25], s[22:23], 2
	s_delay_alu instid0(VALU_DEP_3) | instskip(NEXT) | instid1(VALU_DEP_1)
	v_add_co_u32 v2, vcc_lo, v2, v20
	v_add_co_ci_u32_e64 v3, null, 0, v3, vcc_lo
	s_delay_alu instid0(VALU_DEP_4) | instskip(SKIP_1) | instid1(VALU_DEP_3)
	v_add_co_u32 v16, vcc_lo, v18, v16
	v_cmp_gt_u32_e64 s0, 8, v20
	v_lshlrev_b64_e32 v[4:5], 2, v[2:3]
	s_wait_alu 0xfffd
	v_add_co_ci_u32_e64 v17, null, v19, v17, vcc_lo
	s_lshl_b64 s[26:27], s[26:27], 2
	s_lshl_b64 s[28:29], s[14:15], 2
	s_branch .LBB62_7
.LBB62_5:                               ;   in Loop: Header=BB62_7 Depth=1
	s_or_b32 exec_lo, exec_lo, s30
.LBB62_6:                               ;   in Loop: Header=BB62_7 Depth=1
	s_wait_alu 0xfffe
	s_or_b32 exec_lo, exec_lo, s1
	v_add_co_u32 v20, vcc_lo, s4, v16
	s_wait_alu 0xfffd
	v_add_co_ci_u32_e64 v21, null, s5, v17, vcc_lo
	v_add_co_u32 v22, vcc_lo, s6, v16
	s_wait_alu 0xfffd
	v_add_co_ci_u32_e64 v23, null, s7, v17, vcc_lo
	global_load_b32 v30, v[20:21], off
	v_add_co_u32 v20, vcc_lo, v20, s28
	s_wait_alu 0xfffd
	v_add_co_ci_u32_e64 v21, null, s29, v21, vcc_lo
	v_add_co_u32 v24, vcc_lo, v22, s28
	s_wait_alu 0xfffd
	v_add_co_ci_u32_e64 v25, null, s29, v23, vcc_lo
	;; [unrolled: 3-line block ×4, first 2 shown]
	global_load_b32 v31, v[22:23], off
	global_load_b32 v32, v[20:21], off
	;; [unrolled: 1-line block ×5, first 2 shown]
	v_add_co_u32 v20, vcc_lo, v28, s28
	s_wait_alu 0xfffd
	v_add_co_ci_u32_e64 v21, null, s29, v29, vcc_lo
	v_add_co_u32 v22, vcc_lo, v26, s28
	s_wait_alu 0xfffd
	v_add_co_ci_u32_e64 v23, null, s29, v27, vcc_lo
	global_load_b32 v36, v[20:21], off
	v_add_co_u32 v24, vcc_lo, v22, s28
	s_wait_alu 0xfffd
	v_add_co_ci_u32_e64 v25, null, s29, v23, vcc_lo
	v_add_co_u32 v20, vcc_lo, v20, s28
	s_wait_alu 0xfffd
	v_add_co_ci_u32_e64 v21, null, s29, v21, vcc_lo
	;; [unrolled: 3-line block ×4, first 2 shown]
	s_clause 0x1
	global_load_b32 v37, v[22:23], off
	global_load_b32 v24, v[24:25], off
	;; [unrolled: 1-line block ×5, first 2 shown]
	v_add_co_u32 v20, vcc_lo, v28, s28
	s_wait_alu 0xfffd
	v_add_co_ci_u32_e64 v21, null, s29, v29, vcc_lo
	v_add_co_u32 v22, vcc_lo, v26, s28
	s_wait_alu 0xfffd
	v_add_co_ci_u32_e64 v23, null, s29, v27, vcc_lo
	global_load_b32 v26, v[20:21], off
	v_add_co_u32 v20, vcc_lo, v20, s28
	s_wait_alu 0xfffd
	v_add_co_ci_u32_e64 v21, null, s29, v21, vcc_lo
	global_load_b32 v27, v[22:23], off
	global_load_b32 v28, v[20:21], off
	v_add_co_u32 v20, vcc_lo, v22, s28
	s_wait_alu 0xfffd
	v_add_co_ci_u32_e64 v21, null, s29, v23, vcc_lo
	s_wait_loadcnt 0x10
	ds_bpermute_b32 v22, v10, v19
	s_wait_loadcnt 0xf
	ds_bpermute_b32 v23, v1, v18
	ds_bpermute_b32 v29, v8, v19
	global_load_b32 v20, v[20:21], off
	ds_bpermute_b32 v21, v1, v19
	ds_bpermute_b32 v40, v10, v18
	;; [unrolled: 1-line block ×5, first 2 shown]
	v_add_co_u32 v4, vcc_lo, v4, s24
	s_add_nc_u64 s[2:3], s[2:3], s[22:23]
	s_wait_alu 0xfffd
	v_add_co_ci_u32_e64 v5, null, s25, v5, vcc_lo
	v_add_co_u32 v2, vcc_lo, v2, s22
	s_wait_alu 0xfffe
	v_cmp_lt_i64_e64 s1, s[2:3], s[12:13]
	s_wait_alu 0xfffd
	v_add_co_ci_u32_e64 v3, null, 0, v3, vcc_lo
	v_add_co_u32 v16, vcc_lo, v16, s26
	s_wait_alu 0xfffd
	v_add_co_ci_u32_e64 v17, null, s27, v17, vcc_lo
	s_and_b32 vcc_lo, exec_lo, s1
	s_wait_loadcnt 0xf
	v_add_f32_e32 v15, v15, v30
	s_wait_loadcnt_dscnt 0xe04
	v_sub_f32_e32 v21, v31, v21
	ds_bpermute_b32 v31, v8, v18
	s_wait_loadcnt 0xc
	v_sub_f32_e32 v22, v33, v22
	ds_bpermute_b32 v33, v11, v18
	v_mul_f32_e32 v21, v30, v21
	ds_bpermute_b32 v30, v13, v18
	v_fmac_f32_e32 v9, v21, v23
	s_wait_loadcnt 0xa
	v_dual_mul_f32 v21, v32, v22 :: v_dual_sub_f32 v22, v35, v29
	ds_bpermute_b32 v23, v12, v18
	ds_bpermute_b32 v29, v14, v19
	ds_bpermute_b32 v19, v0, v19
	s_wait_dscnt 0x9
	v_fmac_f32_e32 v9, v21, v40
	s_wait_loadcnt_dscnt 0x908
	v_dual_mul_f32 v21, v34, v22 :: v_dual_sub_f32 v22, v36, v41
	v_add_f32_e32 v15, v15, v32
	s_wait_dscnt 0x5
	s_delay_alu instid0(VALU_DEP_2)
	v_fmac_f32_e32 v9, v21, v31
	s_wait_loadcnt 0x8
	v_mul_f32_e32 v21, v37, v22
	s_wait_loadcnt 0x6
	v_sub_f32_e32 v22, v25, v42
	ds_bpermute_b32 v25, v14, v18
	ds_bpermute_b32 v18, v0, v18
	s_wait_dscnt 0x6
	v_fmac_f32_e32 v9, v21, v33
	s_wait_loadcnt 0x4
	v_dual_mul_f32 v21, v24, v22 :: v_dual_sub_f32 v22, v39, v43
	s_wait_dscnt 0x4
	s_delay_alu instid0(VALU_DEP_1) | instskip(NEXT) | instid1(VALU_DEP_2)
	v_fmac_f32_e32 v9, v21, v23
	v_mul_f32_e32 v21, v38, v22
	s_wait_loadcnt_dscnt 0x303
	v_dual_sub_f32 v22, v26, v29 :: v_dual_add_f32 v15, v15, v34
	s_delay_alu instid0(VALU_DEP_2) | instskip(SKIP_1) | instid1(VALU_DEP_2)
	v_fmac_f32_e32 v9, v21, v30
	s_wait_loadcnt 0x2
	v_mul_f32_e32 v21, v27, v22
	s_delay_alu instid0(VALU_DEP_3)
	v_add_f32_e32 v15, v15, v37
	s_wait_loadcnt_dscnt 0x102
	v_sub_f32_e32 v19, v28, v19
	s_wait_dscnt 0x1
	v_fmac_f32_e32 v9, v21, v25
	v_add_f32_e32 v15, v15, v24
	s_wait_loadcnt 0x0
	v_mul_f32_e32 v19, v20, v19
	s_delay_alu instid0(VALU_DEP_2) | instskip(SKIP_1) | instid1(VALU_DEP_2)
	v_add_f32_e32 v15, v15, v38
	s_wait_dscnt 0x0
	v_fmac_f32_e32 v9, v19, v18
	s_delay_alu instid0(VALU_DEP_2) | instskip(NEXT) | instid1(VALU_DEP_1)
	v_add_f32_e32 v15, v15, v27
	v_add_f32_e32 v15, v15, v20
	s_wait_alu 0xfffe
	s_cbranch_vccz .LBB62_10
.LBB62_7:                               ; =>This Inner Loop Header: Depth=1
	v_dual_mov_b32 v18, 0 :: v_dual_mov_b32 v19, 0
	s_and_saveexec_b32 s1, s0
	s_cbranch_execz .LBB62_6
; %bb.8:                                ;   in Loop: Header=BB62_7 Depth=1
	v_dual_mov_b32 v19, 0 :: v_dual_mov_b32 v18, 0
	s_mov_b32 s30, exec_lo
	v_cmpx_gt_i64_e64 s[12:13], v[2:3]
	s_cbranch_execz .LBB62_5
; %bb.9:                                ;   in Loop: Header=BB62_7 Depth=1
	v_add_co_u32 v18, vcc_lo, s8, v4
	s_wait_alu 0xfffd
	v_add_co_ci_u32_e64 v19, null, s9, v5, vcc_lo
	v_add_co_u32 v20, vcc_lo, s10, v4
	s_wait_alu 0xfffd
	v_add_co_ci_u32_e64 v21, null, s11, v5, vcc_lo
	global_load_b32 v19, v[18:19], off
	global_load_b32 v18, v[20:21], off
	s_branch .LBB62_5
.LBB62_10:
	v_mov_b32_e32 v1, v6
	s_mov_b64 s[4:5], s[20:21]
.LBB62_11:
	s_load_u16 s2, s[4:5], 0xe
	v_mov_b32_e32 v2, 0
	s_mov_b32 s0, ttmp9
	s_mov_b32 s1, 0
	s_wait_alu 0xfffe
	s_lshl_b64 s[0:1], s[0:1], 5
	s_wait_kmcnt 0x0
	s_cmp_eq_u64 s[16:17], 0
	s_wait_alu 0xfffe
	v_add_co_u32 v0, s0, s0, v7
	s_wait_alu 0xf1ff
	v_mad_co_u64_u32 v[2:3], null, s2, ttmp7, v[1:2]
	v_add_co_ci_u32_e64 v1, null, s1, 0, s0
	s_delay_alu instid0(VALU_DEP_1) | instskip(NEXT) | instid1(VALU_DEP_3)
	v_lshlrev_b64_e32 v[0:1], 2, v[0:1]
	v_mul_lo_u32 v3, v3, s14
	s_delay_alu instid0(VALU_DEP_4)
	v_mul_lo_u32 v4, v2, s15
	s_cbranch_scc1 .LBB62_13
; %bb.12:
	v_mad_co_u64_u32 v[5:6], null, v2, s14, 0
	s_delay_alu instid0(VALU_DEP_1) | instskip(NEXT) | instid1(VALU_DEP_1)
	v_add3_u32 v6, v6, v4, v3
	v_lshlrev_b64_e32 v[5:6], 2, v[5:6]
	s_delay_alu instid0(VALU_DEP_1) | instskip(SKIP_1) | instid1(VALU_DEP_2)
	v_add_co_u32 v5, vcc_lo, s16, v5
	s_wait_alu 0xfffd
	v_add_co_ci_u32_e64 v6, null, s17, v6, vcc_lo
	s_delay_alu instid0(VALU_DEP_2) | instskip(SKIP_1) | instid1(VALU_DEP_2)
	v_add_co_u32 v5, vcc_lo, v5, v0
	s_wait_alu 0xfffd
	v_add_co_ci_u32_e64 v6, null, v6, v1, vcc_lo
	global_store_b32 v[5:6], v9, off
.LBB62_13:
	s_cmp_eq_u64 s[18:19], 0
	s_cbranch_scc1 .LBB62_15
; %bb.14:
	v_mad_co_u64_u32 v[5:6], null, v2, s14, 0
	s_delay_alu instid0(VALU_DEP_1) | instskip(NEXT) | instid1(VALU_DEP_1)
	v_add3_u32 v6, v6, v4, v3
	v_lshlrev_b64_e32 v[2:3], 2, v[5:6]
	s_delay_alu instid0(VALU_DEP_1) | instskip(SKIP_1) | instid1(VALU_DEP_2)
	v_add_co_u32 v2, vcc_lo, s18, v2
	s_wait_alu 0xfffd
	v_add_co_ci_u32_e64 v3, null, s19, v3, vcc_lo
	s_delay_alu instid0(VALU_DEP_2) | instskip(SKIP_1) | instid1(VALU_DEP_2)
	v_add_co_u32 v0, vcc_lo, v2, v0
	s_wait_alu 0xfffd
	v_add_co_ci_u32_e64 v1, null, v3, v1, vcc_lo
	global_store_b32 v[0:1], v15, off
.LBB62_15:
	s_endpgm
	.section	.rodata,"a",@progbits
	.p2align	6, 0x0
	.amdhsa_kernel _ZN2at6native12_GLOBAL__N_135GammaBetaBackwardCUDAKernelTemplateIffLj32ELj1ELj8ELb1ELb1ELb0EEEvllPKT_S5_PKT0_S8_PS3_S9_
		.amdhsa_group_segment_fixed_size 0
		.amdhsa_private_segment_fixed_size 0
		.amdhsa_kernarg_size 320
		.amdhsa_user_sgpr_count 2
		.amdhsa_user_sgpr_dispatch_ptr 0
		.amdhsa_user_sgpr_queue_ptr 0
		.amdhsa_user_sgpr_kernarg_segment_ptr 1
		.amdhsa_user_sgpr_dispatch_id 0
		.amdhsa_user_sgpr_private_segment_size 0
		.amdhsa_wavefront_size32 1
		.amdhsa_uses_dynamic_stack 0
		.amdhsa_enable_private_segment 0
		.amdhsa_system_sgpr_workgroup_id_x 1
		.amdhsa_system_sgpr_workgroup_id_y 1
		.amdhsa_system_sgpr_workgroup_id_z 0
		.amdhsa_system_sgpr_workgroup_info 0
		.amdhsa_system_vgpr_workitem_id 1
		.amdhsa_next_free_vgpr 44
		.amdhsa_next_free_sgpr 31
		.amdhsa_reserve_vcc 1
		.amdhsa_float_round_mode_32 0
		.amdhsa_float_round_mode_16_64 0
		.amdhsa_float_denorm_mode_32 3
		.amdhsa_float_denorm_mode_16_64 3
		.amdhsa_fp16_overflow 0
		.amdhsa_workgroup_processor_mode 1
		.amdhsa_memory_ordered 1
		.amdhsa_forward_progress 1
		.amdhsa_inst_pref_size 14
		.amdhsa_round_robin_scheduling 0
		.amdhsa_exception_fp_ieee_invalid_op 0
		.amdhsa_exception_fp_denorm_src 0
		.amdhsa_exception_fp_ieee_div_zero 0
		.amdhsa_exception_fp_ieee_overflow 0
		.amdhsa_exception_fp_ieee_underflow 0
		.amdhsa_exception_fp_ieee_inexact 0
		.amdhsa_exception_int_div_zero 0
	.end_amdhsa_kernel
	.section	.text._ZN2at6native12_GLOBAL__N_135GammaBetaBackwardCUDAKernelTemplateIffLj32ELj1ELj8ELb1ELb1ELb0EEEvllPKT_S5_PKT0_S8_PS3_S9_,"axG",@progbits,_ZN2at6native12_GLOBAL__N_135GammaBetaBackwardCUDAKernelTemplateIffLj32ELj1ELj8ELb1ELb1ELb0EEEvllPKT_S5_PKT0_S8_PS3_S9_,comdat
.Lfunc_end62:
	.size	_ZN2at6native12_GLOBAL__N_135GammaBetaBackwardCUDAKernelTemplateIffLj32ELj1ELj8ELb1ELb1ELb0EEEvllPKT_S5_PKT0_S8_PS3_S9_, .Lfunc_end62-_ZN2at6native12_GLOBAL__N_135GammaBetaBackwardCUDAKernelTemplateIffLj32ELj1ELj8ELb1ELb1ELb0EEEvllPKT_S5_PKT0_S8_PS3_S9_
                                        ; -- End function
	.set _ZN2at6native12_GLOBAL__N_135GammaBetaBackwardCUDAKernelTemplateIffLj32ELj1ELj8ELb1ELb1ELb0EEEvllPKT_S5_PKT0_S8_PS3_S9_.num_vgpr, 44
	.set _ZN2at6native12_GLOBAL__N_135GammaBetaBackwardCUDAKernelTemplateIffLj32ELj1ELj8ELb1ELb1ELb0EEEvllPKT_S5_PKT0_S8_PS3_S9_.num_agpr, 0
	.set _ZN2at6native12_GLOBAL__N_135GammaBetaBackwardCUDAKernelTemplateIffLj32ELj1ELj8ELb1ELb1ELb0EEEvllPKT_S5_PKT0_S8_PS3_S9_.numbered_sgpr, 31
	.set _ZN2at6native12_GLOBAL__N_135GammaBetaBackwardCUDAKernelTemplateIffLj32ELj1ELj8ELb1ELb1ELb0EEEvllPKT_S5_PKT0_S8_PS3_S9_.num_named_barrier, 0
	.set _ZN2at6native12_GLOBAL__N_135GammaBetaBackwardCUDAKernelTemplateIffLj32ELj1ELj8ELb1ELb1ELb0EEEvllPKT_S5_PKT0_S8_PS3_S9_.private_seg_size, 0
	.set _ZN2at6native12_GLOBAL__N_135GammaBetaBackwardCUDAKernelTemplateIffLj32ELj1ELj8ELb1ELb1ELb0EEEvllPKT_S5_PKT0_S8_PS3_S9_.uses_vcc, 1
	.set _ZN2at6native12_GLOBAL__N_135GammaBetaBackwardCUDAKernelTemplateIffLj32ELj1ELj8ELb1ELb1ELb0EEEvllPKT_S5_PKT0_S8_PS3_S9_.uses_flat_scratch, 0
	.set _ZN2at6native12_GLOBAL__N_135GammaBetaBackwardCUDAKernelTemplateIffLj32ELj1ELj8ELb1ELb1ELb0EEEvllPKT_S5_PKT0_S8_PS3_S9_.has_dyn_sized_stack, 0
	.set _ZN2at6native12_GLOBAL__N_135GammaBetaBackwardCUDAKernelTemplateIffLj32ELj1ELj8ELb1ELb1ELb0EEEvllPKT_S5_PKT0_S8_PS3_S9_.has_recursion, 0
	.set _ZN2at6native12_GLOBAL__N_135GammaBetaBackwardCUDAKernelTemplateIffLj32ELj1ELj8ELb1ELb1ELb0EEEvllPKT_S5_PKT0_S8_PS3_S9_.has_indirect_call, 0
	.section	.AMDGPU.csdata,"",@progbits
; Kernel info:
; codeLenInByte = 1732
; TotalNumSgprs: 33
; NumVgprs: 44
; ScratchSize: 0
; MemoryBound: 0
; FloatMode: 240
; IeeeMode: 1
; LDSByteSize: 0 bytes/workgroup (compile time only)
; SGPRBlocks: 0
; VGPRBlocks: 5
; NumSGPRsForWavesPerEU: 33
; NumVGPRsForWavesPerEU: 44
; Occupancy: 16
; WaveLimiterHint : 0
; COMPUTE_PGM_RSRC2:SCRATCH_EN: 0
; COMPUTE_PGM_RSRC2:USER_SGPR: 2
; COMPUTE_PGM_RSRC2:TRAP_HANDLER: 0
; COMPUTE_PGM_RSRC2:TGID_X_EN: 1
; COMPUTE_PGM_RSRC2:TGID_Y_EN: 1
; COMPUTE_PGM_RSRC2:TGID_Z_EN: 0
; COMPUTE_PGM_RSRC2:TIDIG_COMP_CNT: 1
	.section	.text._ZN2at6native12_GLOBAL__N_135GammaBetaBackwardCUDAKernelTemplateIffLj32ELj1ELj8ELb1ELb0ELb0EEEvllPKT_S5_PKT0_S8_PS3_S9_,"axG",@progbits,_ZN2at6native12_GLOBAL__N_135GammaBetaBackwardCUDAKernelTemplateIffLj32ELj1ELj8ELb1ELb0ELb0EEEvllPKT_S5_PKT0_S8_PS3_S9_,comdat
	.globl	_ZN2at6native12_GLOBAL__N_135GammaBetaBackwardCUDAKernelTemplateIffLj32ELj1ELj8ELb1ELb0ELb0EEEvllPKT_S5_PKT0_S8_PS3_S9_ ; -- Begin function _ZN2at6native12_GLOBAL__N_135GammaBetaBackwardCUDAKernelTemplateIffLj32ELj1ELj8ELb1ELb0ELb0EEEvllPKT_S5_PKT0_S8_PS3_S9_
	.p2align	8
	.type	_ZN2at6native12_GLOBAL__N_135GammaBetaBackwardCUDAKernelTemplateIffLj32ELj1ELj8ELb1ELb0ELb0EEEvllPKT_S5_PKT0_S8_PS3_S9_,@function
_ZN2at6native12_GLOBAL__N_135GammaBetaBackwardCUDAKernelTemplateIffLj32ELj1ELj8ELb1ELb0ELb0EEEvllPKT_S5_PKT0_S8_PS3_S9_: ; @_ZN2at6native12_GLOBAL__N_135GammaBetaBackwardCUDAKernelTemplateIffLj32ELj1ELj8ELb1ELb0ELb0EEEvllPKT_S5_PKT0_S8_PS3_S9_
; %bb.0:
	s_clause 0x1
	s_load_b256 s[4:11], s[0:1], 0x0
	s_load_b128 s[12:15], s[0:1], 0x20
	s_lshl_b32 s30, ttmp9, 5
	s_mov_b32 s17, 0
	s_or_b32 s16, s30, 31
	s_wait_kmcnt 0x0
	v_cmp_le_i64_e64 s2, s[6:7], s[16:17]
	s_lshl_b32 s16, ttmp7, 3
	s_wait_alu 0xfffe
	v_cmp_gt_i64_e64 s31, s[4:5], s[16:17]
	s_and_b32 vcc_lo, exec_lo, s2
	v_cndmask_b32_e64 v1, 0, 1, s31
	s_delay_alu instid0(VALU_DEP_1)
	v_cmp_ne_u32_e64 s2, 1, v1
	s_cbranch_vccz .LBB63_49
; %bb.1:
	v_dual_mov_b32 v50, 0 :: v_dual_mov_b32 v59, 0
	s_and_b32 vcc_lo, exec_lo, s2
	s_cbranch_vccnz .LBB63_50
; %bb.2:
	v_bfe_u32 v22, v0, 10, 10
	v_dual_mov_b32 v1, 0 :: v_dual_and_b32 v24, 0x3ff, v0
	s_load_b32 s3, s[0:1], 0x44
	s_mov_b32 s19, 0
	s_delay_alu instid0(VALU_DEP_2) | instskip(NEXT) | instid1(VALU_DEP_2)
	v_dual_mov_b32 v60, 0 :: v_dual_lshlrev_b32 v23, 3, v22
	v_dual_mov_b32 v5, v1 :: v_dual_add_nc_u32 v4, s30, v24
	s_mov_b32 s23, s19
	s_delay_alu instid0(VALU_DEP_2) | instskip(NEXT) | instid1(VALU_DEP_1)
	v_add_co_u32 v10, s2, v23, s16
	v_add_co_ci_u32_e64 v11, null, 0, 0, s2
	s_delay_alu instid0(VALU_DEP_3) | instskip(NEXT) | instid1(VALU_DEP_3)
	v_cmp_gt_i64_e64 s2, s[6:7], v[4:5]
	v_mul_lo_u32 v6, s7, v10
	v_mad_co_u64_u32 v[2:3], null, s6, v10, 0
	s_delay_alu instid0(VALU_DEP_4)
	v_mul_lo_u32 v7, s6, v11
	v_lshlrev_b64_e32 v[18:19], 2, v[4:5]
	v_dual_mov_b32 v25, v1 :: v_dual_mov_b32 v50, 0
	s_add_nc_u64 s[20:21], s[0:1], 64
	s_wait_kmcnt 0x0
	s_lshl_b32 s22, s3, 3
	s_mov_b64 s[26:27], 7
	s_mul_u64 s[24:25], s[6:7], s[22:23]
	v_add3_u32 v3, v3, v7, v6
	v_add_co_u32 v6, vcc_lo, v10, 7
	s_delay_alu instid0(VALU_DEP_1)
	v_add_co_ci_u32_e64 v7, null, 0, v11, vcc_lo
	v_add_co_u32 v8, vcc_lo, v10, 6
	s_wait_alu 0xfffd
	v_add_co_ci_u32_e64 v9, null, 0, v11, vcc_lo
	v_lshlrev_b64_e32 v[4:5], 2, v[2:3]
	v_mul_lo_u32 v12, s7, v6
	v_mul_lo_u32 v13, s6, v7
	v_mad_co_u64_u32 v[6:7], null, s6, v6, 0
	v_mul_lo_u32 v14, s7, v8
	v_mul_lo_u32 v15, s6, v9
	v_mad_co_u64_u32 v[8:9], null, s6, v8, 0
	v_add_co_u32 v26, vcc_lo, s8, v4
	s_wait_alu 0xfffd
	v_add_co_ci_u32_e64 v27, null, s9, v5, vcc_lo
	v_add_co_u32 v28, vcc_lo, s10, v4
	v_add3_u32 v7, v7, v13, v12
	s_wait_alu 0xfffd
	v_add_co_ci_u32_e64 v29, null, s11, v5, vcc_lo
	v_add_co_u32 v12, vcc_lo, v10, 5
	v_add3_u32 v9, v9, v15, v14
	s_wait_alu 0xfffd
	v_add_co_ci_u32_e64 v13, null, 0, v11, vcc_lo
	v_lshlrev_b64_e32 v[4:5], 2, v[6:7]
	v_mul_lo_u32 v14, s7, v12
	v_lshlrev_b64_e32 v[6:7], 2, v[8:9]
	s_delay_alu instid0(VALU_DEP_4)
	v_mul_lo_u32 v13, s6, v13
	v_mad_co_u64_u32 v[8:9], null, s6, v12, 0
	v_add_co_u32 v30, vcc_lo, s8, v4
	s_wait_alu 0xfffd
	v_add_co_ci_u32_e64 v31, null, s9, v5, vcc_lo
	v_add_co_u32 v32, vcc_lo, s10, v4
	s_wait_alu 0xfffd
	v_add_co_ci_u32_e64 v33, null, s11, v5, vcc_lo
	v_add_co_u32 v34, vcc_lo, s8, v6
	v_add3_u32 v9, v9, v13, v14
	s_wait_alu 0xfffd
	v_add_co_ci_u32_e64 v35, null, s9, v7, vcc_lo
	v_add_co_u32 v12, vcc_lo, v10, 4
	v_add_co_u32 v36, s3, s10, v6
	s_wait_alu 0xfffd
	v_add_co_ci_u32_e64 v6, null, 0, v11, vcc_lo
	v_lshlrev_b64_e32 v[4:5], 2, v[8:9]
	v_add_co_u32 v8, vcc_lo, v10, 3
	s_wait_alu 0xfffd
	v_add_co_ci_u32_e64 v9, null, 0, v11, vcc_lo
	s_wait_alu 0xf1ff
	v_add_co_ci_u32_e64 v37, null, s11, v7, s3
	v_mul_lo_u32 v13, s7, v12
	v_mul_lo_u32 v14, s6, v6
	v_mad_co_u64_u32 v[6:7], null, s6, v12, 0
	v_mul_lo_u32 v12, s7, v8
	v_mul_lo_u32 v15, s6, v9
	v_mad_co_u64_u32 v[8:9], null, s6, v8, 0
	v_add_co_u32 v38, vcc_lo, s8, v4
	s_wait_alu 0xfffd
	v_add_co_ci_u32_e64 v39, null, s9, v5, vcc_lo
	v_add3_u32 v7, v7, v14, v13
	v_add_co_u32 v40, vcc_lo, s10, v4
	s_wait_alu 0xfffd
	v_add_co_ci_u32_e64 v41, null, s11, v5, vcc_lo
	v_add_co_u32 v10, vcc_lo, v10, 2
	v_add3_u32 v9, v9, v15, v12
	s_wait_alu 0xfffd
	v_add_co_ci_u32_e64 v11, null, 0, v11, vcc_lo
	v_lshlrev_b64_e32 v[4:5], 2, v[6:7]
	v_mul_lo_u32 v12, s7, v10
	v_lshlrev_b64_e32 v[6:7], 2, v[8:9]
	s_delay_alu instid0(VALU_DEP_4)
	v_mul_lo_u32 v11, s6, v11
	v_mad_co_u64_u32 v[8:9], null, s6, v10, 0
	v_add_co_u32 v42, vcc_lo, s8, v4
	s_wait_alu 0xfffd
	v_add_co_ci_u32_e64 v43, null, s9, v5, vcc_lo
	v_add_co_u32 v44, vcc_lo, s10, v4
	s_wait_alu 0xfffd
	v_add_co_ci_u32_e64 v45, null, s11, v5, vcc_lo
	;; [unrolled: 3-line block ×3, first 2 shown]
	v_add3_u32 v9, v9, v11, v12
	v_add_co_u32 v48, vcc_lo, s10, v6
	s_wait_alu 0xfffd
	v_add_co_ci_u32_e64 v49, null, s11, v7, vcc_lo
	v_add_co_u32 v2, vcc_lo, v2, s6
	s_wait_alu 0xfffd
	v_add_co_ci_u32_e64 v3, null, s7, v3, vcc_lo
	v_lshlrev_b64_e32 v[4:5], 2, v[8:9]
	s_lshl_b64 s[24:25], s[24:25], 2
	s_mov_b64 s[28:29], s[16:17]
	s_delay_alu instid0(VALU_DEP_2) | instskip(NEXT) | instid1(VALU_DEP_2)
	v_lshlrev_b64_e32 v[2:3], 2, v[2:3]
	v_add_co_u32 v51, vcc_lo, s8, v4
	s_wait_alu 0xfffd
	v_add_co_ci_u32_e64 v52, null, s9, v5, vcc_lo
	v_add_co_u32 v53, vcc_lo, s10, v4
	s_wait_alu 0xfffd
	v_add_co_ci_u32_e64 v54, null, s11, v5, vcc_lo
	;; [unrolled: 3-line block ×4, first 2 shown]
.LBB63_3:                               ; =>This Inner Loop Header: Depth=1
	s_add_nc_u64 s[34:35], s[16:17], s[26:27]
	v_add_co_u32 v20, vcc_lo, s16, v23
	s_wait_alu 0xfffe
	v_cmp_ge_i64_e64 s3, s[34:35], s[4:5]
	s_wait_alu 0xfffd
	v_add_co_ci_u32_e64 v21, null, 0, v25, vcc_lo
                                        ; implicit-def: $vgpr2_vgpr3_vgpr4_vgpr5_vgpr6_vgpr7_vgpr8_vgpr9
                                        ; implicit-def: $vgpr62
                                        ; implicit-def: $vgpr10_vgpr11_vgpr12_vgpr13_vgpr14_vgpr15_vgpr16_vgpr17
                                        ; implicit-def: $vgpr2
                                        ; implicit-def: $vgpr3
                                        ; implicit-def: $vgpr59
	s_and_b32 vcc_lo, exec_lo, s3
	s_mov_b32 s3, -1
	s_wait_alu 0xfffe
	s_cbranch_vccz .LBB63_25
; %bb.4:                                ;   in Loop: Header=BB63_3 Depth=1
	s_load_b32 s3, s[20:21], 0xc
	v_dual_mov_b32 v62, 0 :: v_dual_mov_b32 v61, 0
	s_wait_kmcnt 0x0
	s_and_b32 s3, s3, 0xffff
	s_wait_alu 0xfffe
	v_mad_u32_u24 v2, v22, s3, v24
	s_mov_b32 s3, exec_lo
	s_delay_alu instid0(VALU_DEP_1) | instskip(NEXT) | instid1(VALU_DEP_1)
	v_and_b32_e32 v2, 31, v2
	v_cmpx_gt_u32_e32 8, v2
	s_cbranch_execz .LBB63_8
; %bb.5:                                ;   in Loop: Header=BB63_3 Depth=1
	v_add_co_u32 v2, vcc_lo, v20, v2
	s_wait_alu 0xfffd
	v_add_co_ci_u32_e64 v3, null, 0, v21, vcc_lo
	v_dual_mov_b32 v61, 0 :: v_dual_mov_b32 v62, 0
	s_mov_b32 s18, exec_lo
	s_delay_alu instid0(VALU_DEP_2)
	v_cmpx_gt_i64_e64 s[4:5], v[2:3]
	s_cbranch_execz .LBB63_7
; %bb.6:                                ;   in Loop: Header=BB63_3 Depth=1
	v_lshlrev_b64_e32 v[2:3], 2, v[2:3]
	s_delay_alu instid0(VALU_DEP_1) | instskip(SKIP_1) | instid1(VALU_DEP_2)
	v_add_co_u32 v4, vcc_lo, s12, v2
	s_wait_alu 0xfffd
	v_add_co_ci_u32_e64 v5, null, s13, v3, vcc_lo
	v_add_co_u32 v2, vcc_lo, s14, v2
	s_wait_alu 0xfffd
	v_add_co_ci_u32_e64 v3, null, s15, v3, vcc_lo
	global_load_b32 v61, v[4:5], off
	global_load_b32 v62, v[2:3], off
.LBB63_7:                               ;   in Loop: Header=BB63_3 Depth=1
	s_or_b32 exec_lo, exec_lo, s18
.LBB63_8:                               ;   in Loop: Header=BB63_3 Depth=1
	s_wait_alu 0xfffe
	s_or_b32 exec_lo, exec_lo, s3
	v_mov_b32_e32 v8, v1
	v_dual_mov_b32 v2, v1 :: v_dual_mov_b32 v3, v1
	v_dual_mov_b32 v4, v1 :: v_dual_mov_b32 v5, v1
	;; [unrolled: 1-line block ×3, first 2 shown]
	v_cmp_gt_i64_e32 vcc_lo, s[4:5], v[20:21]
	s_delay_alu instid0(VALU_DEP_3) | instskip(NEXT) | instid1(VALU_DEP_3)
	v_dual_mov_b32 v17, v8 :: v_dual_mov_b32 v14, v5
	v_dual_mov_b32 v15, v6 :: v_dual_mov_b32 v16, v7
	;; [unrolled: 1-line block ×4, first 2 shown]
	v_mov_b32_e32 v9, v8
	v_mov_b32_e32 v8, v7
	;; [unrolled: 1-line block ×8, first 2 shown]
	s_and_b32 s18, s2, vcc_lo
	s_delay_alu instid0(SALU_CYCLE_1)
	s_and_saveexec_b32 s3, s18
	s_cbranch_execz .LBB63_10
; %bb.9:                                ;   in Loop: Header=BB63_3 Depth=1
	v_add_co_u32 v2, vcc_lo, v26, v18
	s_wait_alu 0xfffd
	v_add_co_ci_u32_e64 v3, null, v27, v19, vcc_lo
	v_add_co_u32 v4, vcc_lo, v28, v18
	s_wait_alu 0xfffd
	v_add_co_ci_u32_e64 v5, null, v29, v19, vcc_lo
	global_load_b32 v2, v[2:3], off
	global_load_b32 v10, v[4:5], off
	v_dual_mov_b32 v3, v1 :: v_dual_mov_b32 v4, v1
	v_dual_mov_b32 v5, v1 :: v_dual_mov_b32 v6, v1
	;; [unrolled: 1-line block ×6, first 2 shown]
	v_mov_b32_e32 v15, v1
	v_mov_b32_e32 v17, v1
.LBB63_10:                              ;   in Loop: Header=BB63_3 Depth=1
	s_wait_alu 0xfffe
	s_or_b32 exec_lo, exec_lo, s3
	v_add_co_u32 v63, vcc_lo, v20, 1
	s_wait_alu 0xfffd
	v_add_co_ci_u32_e64 v64, null, 0, v21, vcc_lo
	s_delay_alu instid0(VALU_DEP_1) | instskip(SKIP_1) | instid1(SALU_CYCLE_1)
	v_cmp_gt_i64_e32 vcc_lo, s[4:5], v[63:64]
	s_and_b32 s18, s2, vcc_lo
	s_and_saveexec_b32 s3, s18
	s_cbranch_execz .LBB63_12
; %bb.11:                               ;   in Loop: Header=BB63_3 Depth=1
	v_add_co_u32 v63, vcc_lo, v55, v18
	s_wait_alu 0xfffd
	v_add_co_ci_u32_e64 v64, null, v56, v19, vcc_lo
	v_add_co_u32 v65, vcc_lo, v57, v18
	s_wait_alu 0xfffd
	v_add_co_ci_u32_e64 v66, null, v58, v19, vcc_lo
	global_load_b32 v3, v[63:64], off
	global_load_b32 v11, v[65:66], off
.LBB63_12:                              ;   in Loop: Header=BB63_3 Depth=1
	s_wait_alu 0xfffe
	s_or_b32 exec_lo, exec_lo, s3
	v_add_co_u32 v63, vcc_lo, v20, 2
	s_wait_alu 0xfffd
	v_add_co_ci_u32_e64 v64, null, 0, v21, vcc_lo
	s_delay_alu instid0(VALU_DEP_1) | instskip(SKIP_1) | instid1(SALU_CYCLE_1)
	v_cmp_gt_i64_e32 vcc_lo, s[4:5], v[63:64]
	s_and_b32 s18, s2, vcc_lo
	s_and_saveexec_b32 s3, s18
	s_cbranch_execz .LBB63_14
; %bb.13:                               ;   in Loop: Header=BB63_3 Depth=1
	v_add_co_u32 v63, vcc_lo, v51, v18
	s_wait_alu 0xfffd
	v_add_co_ci_u32_e64 v64, null, v52, v19, vcc_lo
	v_add_co_u32 v65, vcc_lo, v53, v18
	s_wait_alu 0xfffd
	v_add_co_ci_u32_e64 v66, null, v54, v19, vcc_lo
	global_load_b32 v4, v[63:64], off
	global_load_b32 v12, v[65:66], off
.LBB63_14:                              ;   in Loop: Header=BB63_3 Depth=1
	;; [unrolled: 20-line block ×7, first 2 shown]
	s_wait_alu 0xfffe
	s_or_b32 exec_lo, exec_lo, s3
	s_wait_loadcnt 0x1
	ds_bpermute_b32 v59, v1, v61
	ds_bpermute_b32 v63, v1, v61 offset:4
	ds_bpermute_b32 v64, v1, v61 offset:8
	s_wait_loadcnt 0x0
	ds_bpermute_b32 v65, v1, v62
	ds_bpermute_b32 v66, v1, v61 offset:12
	ds_bpermute_b32 v67, v1, v62 offset:4
	;; [unrolled: 1-line block ×4, first 2 shown]
	v_add_f32_e32 v70, v50, v2
	ds_bpermute_b32 v72, v1, v61 offset:20
	ds_bpermute_b32 v71, v1, v62 offset:12
	s_mov_b32 s3, 0
	s_wait_dscnt 0x8
	v_sub_f32_e32 v11, v11, v63
	v_sub_f32_e32 v10, v10, v59
	s_wait_dscnt 0x7
	v_sub_f32_e32 v12, v12, v64
	ds_bpermute_b32 v63, v1, v61 offset:24
	ds_bpermute_b32 v64, v1, v62 offset:20
	v_mul_f32_e32 v11, v3, v11
	v_add_f32_e32 v3, v3, v70
	v_mul_f32_e32 v2, v2, v10
	ds_bpermute_b32 v10, v1, v62 offset:16
	v_add_f32_e32 v3, v4, v3
	s_wait_dscnt 0x9
	v_fma_f32 v59, v2, v65, v60
	s_wait_dscnt 0x8
	v_sub_f32_e32 v2, v13, v66
	ds_bpermute_b32 v65, v1, v62 offset:24
	ds_bpermute_b32 v62, v1, v62 offset:28
	s_wait_dscnt 0x9
	v_fmac_f32_e32 v59, v11, v67
	s_wait_dscnt 0x8
	v_sub_f32_e32 v11, v14, v68
	v_dual_mul_f32 v12, v4, v12 :: v_dual_mul_f32 v13, v5, v2
	s_wait_dscnt 0x6
	v_sub_f32_e32 v4, v15, v72
	ds_bpermute_b32 v2, v1, v61 offset:28
	v_mul_f32_e32 v11, v6, v11
	v_dual_fmac_f32 v59, v12, v69 :: v_dual_mul_f32 v4, v7, v4
	v_add_f32_e32 v3, v5, v3
	s_wait_dscnt 0x5
	v_sub_f32_e32 v5, v16, v63
	s_delay_alu instid0(VALU_DEP_3) | instskip(NEXT) | instid1(VALU_DEP_3)
	v_fmac_f32_e32 v59, v13, v71
	v_add_f32_e32 v3, v6, v3
	s_delay_alu instid0(VALU_DEP_3) | instskip(SKIP_1) | instid1(VALU_DEP_3)
	v_mul_f32_e32 v5, v8, v5
	s_wait_dscnt 0x3
	v_fmac_f32_e32 v59, v11, v10
	s_delay_alu instid0(VALU_DEP_3) | instskip(NEXT) | instid1(VALU_DEP_2)
	v_add_f32_e32 v3, v7, v3
	v_fmac_f32_e32 v59, v4, v64
	s_delay_alu instid0(VALU_DEP_2) | instskip(SKIP_1) | instid1(VALU_DEP_2)
	v_add_f32_e32 v3, v8, v3
	s_wait_dscnt 0x2
	v_fmac_f32_e32 v59, v5, v65
.LBB63_25:                              ;   in Loop: Header=BB63_3 Depth=1
	s_wait_alu 0xfffe
	s_and_b32 vcc_lo, exec_lo, s3
	s_wait_alu 0xfffe
	s_cbranch_vccz .LBB63_40
; %bb.26:                               ;   in Loop: Header=BB63_3 Depth=1
	s_load_b32 s3, s[20:21], 0x0
	v_mov_b32_e32 v59, 0
	v_mov_b32_e32 v61, 0
	s_wait_kmcnt 0x0
	s_cmp_lt_u32 ttmp9, s3
	s_cselect_b32 s18, 12, 18
	s_delay_alu instid0(SALU_CYCLE_1)
	s_add_nc_u64 s[34:35], s[20:21], s[18:19]
	s_load_u16 s3, s[34:35], 0x0
	s_wait_dscnt 0x0
	s_wait_kmcnt 0x0
	v_mad_u32_u24 v2, v22, s3, v24
	s_mov_b32 s3, exec_lo
	s_delay_alu instid0(VALU_DEP_1) | instskip(NEXT) | instid1(VALU_DEP_1)
	v_and_b32_e32 v2, 31, v2
	v_cmpx_gt_u32_e32 8, v2
	s_cbranch_execz .LBB63_30
; %bb.27:                               ;   in Loop: Header=BB63_3 Depth=1
	v_add_co_u32 v2, vcc_lo, v20, v2
	s_wait_alu 0xfffd
	v_add_co_ci_u32_e64 v3, null, 0, v21, vcc_lo
	v_mov_b32_e32 v59, 0
	v_mov_b32_e32 v61, 0
	s_mov_b32 s18, exec_lo
	s_delay_alu instid0(VALU_DEP_3)
	v_cmpx_gt_i64_e64 s[4:5], v[2:3]
	s_cbranch_execz .LBB63_29
; %bb.28:                               ;   in Loop: Header=BB63_3 Depth=1
	v_lshlrev_b64_e32 v[2:3], 2, v[2:3]
	s_delay_alu instid0(VALU_DEP_1) | instskip(SKIP_1) | instid1(VALU_DEP_2)
	v_add_co_u32 v4, vcc_lo, s12, v2
	s_wait_alu 0xfffd
	v_add_co_ci_u32_e64 v5, null, s13, v3, vcc_lo
	v_add_co_u32 v2, vcc_lo, s14, v2
	s_wait_alu 0xfffd
	v_add_co_ci_u32_e64 v3, null, s15, v3, vcc_lo
	global_load_b32 v59, v[4:5], off
	global_load_b32 v61, v[2:3], off
.LBB63_29:                              ;   in Loop: Header=BB63_3 Depth=1
	s_or_b32 exec_lo, exec_lo, s18
.LBB63_30:                              ;   in Loop: Header=BB63_3 Depth=1
	s_wait_alu 0xfffe
	s_or_b32 exec_lo, exec_lo, s3
	v_mov_b32_e32 v8, v1
	v_dual_mov_b32 v2, v1 :: v_dual_mov_b32 v3, v1
	v_dual_mov_b32 v4, v1 :: v_dual_mov_b32 v5, v1
	;; [unrolled: 1-line block ×3, first 2 shown]
	s_delay_alu instid0(VALU_DEP_4) | instskip(NEXT) | instid1(VALU_DEP_3)
	v_mov_b32_e32 v17, v8
	v_dual_mov_b32 v13, v4 :: v_dual_mov_b32 v12, v3
	s_delay_alu instid0(VALU_DEP_3) | instskip(NEXT) | instid1(VALU_DEP_4)
	v_dual_mov_b32 v15, v6 :: v_dual_mov_b32 v14, v5
	v_dual_mov_b32 v16, v7 :: v_dual_mov_b32 v11, v2
	;; [unrolled: 1-line block ×3, first 2 shown]
	v_mov_b32_e32 v8, v7
	v_mov_b32_e32 v7, v6
	;; [unrolled: 1-line block ×7, first 2 shown]
	s_and_saveexec_b32 s3, s2
	s_cbranch_execnz .LBB63_42
; %bb.31:                               ;   in Loop: Header=BB63_3 Depth=1
	s_wait_alu 0xfffe
	s_or_b32 exec_lo, exec_lo, s3
	s_and_saveexec_b32 s3, s2
	s_cbranch_execnz .LBB63_43
.LBB63_32:                              ;   in Loop: Header=BB63_3 Depth=1
	s_wait_alu 0xfffe
	s_or_b32 exec_lo, exec_lo, s3
	s_and_saveexec_b32 s3, s2
	s_cbranch_execnz .LBB63_44
.LBB63_33:                              ;   in Loop: Header=BB63_3 Depth=1
	s_wait_alu 0xfffe
	s_or_b32 exec_lo, exec_lo, s3
	s_and_saveexec_b32 s3, s2
	s_cbranch_execnz .LBB63_45
.LBB63_34:                              ;   in Loop: Header=BB63_3 Depth=1
	s_wait_alu 0xfffe
	s_or_b32 exec_lo, exec_lo, s3
	s_and_saveexec_b32 s3, s2
	s_cbranch_execnz .LBB63_46
.LBB63_35:                              ;   in Loop: Header=BB63_3 Depth=1
	s_wait_alu 0xfffe
	s_or_b32 exec_lo, exec_lo, s3
	s_and_saveexec_b32 s3, s2
	s_cbranch_execnz .LBB63_47
.LBB63_36:                              ;   in Loop: Header=BB63_3 Depth=1
	s_wait_alu 0xfffe
	s_or_b32 exec_lo, exec_lo, s3
	s_and_saveexec_b32 s3, s2
	s_cbranch_execnz .LBB63_48
.LBB63_37:                              ;   in Loop: Header=BB63_3 Depth=1
	s_wait_alu 0xfffe
	s_or_b32 exec_lo, exec_lo, s3
	s_and_saveexec_b32 s3, s2
	s_cbranch_execz .LBB63_39
.LBB63_38:                              ;   in Loop: Header=BB63_3 Depth=1
	v_add_co_u32 v20, vcc_lo, v30, v18
	s_wait_alu 0xfffd
	v_add_co_ci_u32_e64 v21, null, v31, v19, vcc_lo
	v_add_co_u32 v62, vcc_lo, v32, v18
	s_wait_alu 0xfffd
	v_add_co_ci_u32_e64 v63, null, v33, v19, vcc_lo
	global_load_b32 v9, v[20:21], off
	global_load_b32 v17, v[62:63], off
.LBB63_39:                              ;   in Loop: Header=BB63_3 Depth=1
	s_wait_alu 0xfffe
	s_or_b32 exec_lo, exec_lo, s3
	s_wait_loadcnt 0x1
	ds_bpermute_b32 v20, v1, v59
	ds_bpermute_b32 v21, v1, v59 offset:4
	ds_bpermute_b32 v62, v1, v59 offset:8
	s_wait_loadcnt 0x0
	ds_bpermute_b32 v63, v1, v61
	ds_bpermute_b32 v64, v1, v59 offset:12
	ds_bpermute_b32 v65, v1, v61 offset:4
	;; [unrolled: 1-line block ×5, first 2 shown]
	s_wait_dscnt 0x7
	v_dual_sub_f32 v10, v10, v20 :: v_dual_sub_f32 v11, v11, v21
	ds_bpermute_b32 v20, v1, v61 offset:12
	ds_bpermute_b32 v21, v1, v61 offset:16
	s_wait_dscnt 0x6
	v_dual_sub_f32 v13, v13, v64 :: v_dual_mul_f32 v10, v2, v10
	v_dual_mul_f32 v11, v3, v11 :: v_dual_add_f32 v2, v50, v2
	v_sub_f32_e32 v12, v12, v62
	ds_bpermute_b32 v50, v1, v61 offset:20
	v_fmac_f32_e32 v60, v10, v63
	ds_bpermute_b32 v10, v1, v59 offset:24
	v_add_f32_e32 v2, v3, v2
	ds_bpermute_b32 v62, v1, v61 offset:28
	s_wait_dscnt 0x7
	v_dual_sub_f32 v3, v14, v66 :: v_dual_fmac_f32 v60, v11, v65
	v_dual_mul_f32 v11, v5, v13 :: v_dual_mul_f32 v12, v4, v12
	s_wait_dscnt 0x5
	v_sub_f32_e32 v13, v15, v68
	s_delay_alu instid0(VALU_DEP_3) | instskip(NEXT) | instid1(VALU_DEP_3)
	v_mul_f32_e32 v3, v6, v3
	v_fmac_f32_e32 v60, v12, v67
	ds_bpermute_b32 v12, v1, v61 offset:24
	s_wait_dscnt 0x5
	v_fmac_f32_e32 v60, v11, v20
	s_wait_dscnt 0x2
	s_delay_alu instid0(VALU_DEP_1) | instskip(NEXT) | instid1(VALU_DEP_1)
	v_dual_fmac_f32 v60, v3, v21 :: v_dual_sub_f32 v3, v16, v10
	v_mul_f32_e32 v3, v8, v3
	v_add_f32_e32 v4, v4, v2
	ds_bpermute_b32 v2, v1, v59 offset:28
	v_dual_add_f32 v4, v5, v4 :: v_dual_mul_f32 v5, v7, v13
	s_delay_alu instid0(VALU_DEP_1) | instskip(SKIP_1) | instid1(VALU_DEP_1)
	v_fmac_f32_e32 v60, v5, v50
	s_wait_dscnt 0x1
	v_fmac_f32_e32 v60, v3, v12
	s_delay_alu instid0(VALU_DEP_1) | instskip(NEXT) | instid1(VALU_DEP_1)
	v_dual_mov_b32 v59, v60 :: v_dual_add_f32 v4, v6, v4
	v_add_f32_e32 v4, v7, v4
	s_delay_alu instid0(VALU_DEP_1)
	v_add_f32_e32 v3, v8, v4
.LBB63_40:                              ;   in Loop: Header=BB63_3 Depth=1
	v_add_co_u32 v26, vcc_lo, v26, s24
	s_wait_alu 0xfffd
	v_add_co_ci_u32_e64 v27, null, s25, v27, vcc_lo
	v_add_co_u32 v28, vcc_lo, v28, s24
	s_wait_alu 0xfffd
	v_add_co_ci_u32_e64 v29, null, s25, v29, vcc_lo
	;; [unrolled: 3-line block ×11, first 2 shown]
	v_add_co_u32 v48, vcc_lo, v48, s24
	s_wait_dscnt 0x0
	v_sub_f32_e32 v2, v17, v2
	s_wait_alu 0xfffd
	v_add_co_ci_u32_e64 v49, null, s25, v49, vcc_lo
	v_add_co_u32 v51, vcc_lo, v51, s24
	s_wait_alu 0xfffd
	v_add_co_ci_u32_e64 v52, null, s25, v52, vcc_lo
	v_add_co_u32 v53, vcc_lo, v53, s24
	s_wait_alu 0xfffd
	v_add_co_ci_u32_e64 v54, null, s25, v54, vcc_lo
	v_add_co_u32 v55, vcc_lo, v55, s24
	s_add_nc_u64 s[28:29], s[28:29], s[22:23]
	v_mul_f32_e32 v2, v9, v2
	s_wait_alu 0xfffd
	v_add_co_ci_u32_e64 v56, null, s25, v56, vcc_lo
	v_add_co_u32 v57, vcc_lo, v57, s24
	s_wait_alu 0xfffe
	v_cmp_lt_i64_e64 s3, s[28:29], s[4:5]
	s_wait_alu 0xfffd
	v_add_co_ci_u32_e64 v58, null, s25, v58, vcc_lo
	v_add_co_u32 v23, vcc_lo, v23, s22
	v_dual_add_f32 v50, v3, v9 :: v_dual_fmac_f32 v59, v2, v62
	s_wait_alu 0xfffd
	v_add_co_ci_u32_e64 v25, null, 0, v25, vcc_lo
	s_and_b32 vcc_lo, exec_lo, s3
	s_add_nc_u64 s[26:27], s[26:27], s[22:23]
	s_wait_alu 0xfffe
	s_cbranch_vccz .LBB63_50
; %bb.41:                               ;   in Loop: Header=BB63_3 Depth=1
	v_mov_b32_e32 v60, v59
	s_branch .LBB63_3
.LBB63_42:                              ;   in Loop: Header=BB63_3 Depth=1
	v_add_co_u32 v2, vcc_lo, v26, v18
	s_wait_alu 0xfffd
	v_add_co_ci_u32_e64 v3, null, v27, v19, vcc_lo
	v_add_co_u32 v4, vcc_lo, v28, v18
	s_wait_alu 0xfffd
	v_add_co_ci_u32_e64 v5, null, v29, v19, vcc_lo
	global_load_b32 v2, v[2:3], off
	global_load_b32 v10, v[4:5], off
	v_dual_mov_b32 v3, v1 :: v_dual_mov_b32 v4, v1
	v_dual_mov_b32 v5, v1 :: v_dual_mov_b32 v6, v1
	v_dual_mov_b32 v7, v1 :: v_dual_mov_b32 v8, v1
	v_dual_mov_b32 v9, v1 :: v_dual_mov_b32 v12, v1
	v_dual_mov_b32 v11, v1 :: v_dual_mov_b32 v14, v1
	v_dual_mov_b32 v13, v1 :: v_dual_mov_b32 v16, v1
	v_mov_b32_e32 v15, v1
	v_mov_b32_e32 v17, v1
	s_wait_alu 0xfffe
	s_or_b32 exec_lo, exec_lo, s3
	s_and_saveexec_b32 s3, s2
	s_cbranch_execz .LBB63_32
.LBB63_43:                              ;   in Loop: Header=BB63_3 Depth=1
	v_add_co_u32 v20, vcc_lo, v55, v18
	s_wait_alu 0xfffd
	v_add_co_ci_u32_e64 v21, null, v56, v19, vcc_lo
	v_add_co_u32 v62, vcc_lo, v57, v18
	s_wait_alu 0xfffd
	v_add_co_ci_u32_e64 v63, null, v58, v19, vcc_lo
	global_load_b32 v3, v[20:21], off
	global_load_b32 v11, v[62:63], off
	s_wait_alu 0xfffe
	s_or_b32 exec_lo, exec_lo, s3
	s_and_saveexec_b32 s3, s2
	s_cbranch_execz .LBB63_33
.LBB63_44:                              ;   in Loop: Header=BB63_3 Depth=1
	v_add_co_u32 v20, vcc_lo, v51, v18
	s_wait_alu 0xfffd
	v_add_co_ci_u32_e64 v21, null, v52, v19, vcc_lo
	v_add_co_u32 v62, vcc_lo, v53, v18
	s_wait_alu 0xfffd
	v_add_co_ci_u32_e64 v63, null, v54, v19, vcc_lo
	global_load_b32 v4, v[20:21], off
	global_load_b32 v12, v[62:63], off
	s_wait_alu 0xfffe
	s_or_b32 exec_lo, exec_lo, s3
	s_and_saveexec_b32 s3, s2
	s_cbranch_execz .LBB63_34
.LBB63_45:                              ;   in Loop: Header=BB63_3 Depth=1
	v_add_co_u32 v20, vcc_lo, v46, v18
	s_wait_alu 0xfffd
	v_add_co_ci_u32_e64 v21, null, v47, v19, vcc_lo
	v_add_co_u32 v62, vcc_lo, v48, v18
	s_wait_alu 0xfffd
	v_add_co_ci_u32_e64 v63, null, v49, v19, vcc_lo
	global_load_b32 v5, v[20:21], off
	global_load_b32 v13, v[62:63], off
	s_wait_alu 0xfffe
	s_or_b32 exec_lo, exec_lo, s3
	s_and_saveexec_b32 s3, s2
	s_cbranch_execz .LBB63_35
.LBB63_46:                              ;   in Loop: Header=BB63_3 Depth=1
	v_add_co_u32 v20, vcc_lo, v42, v18
	s_wait_alu 0xfffd
	v_add_co_ci_u32_e64 v21, null, v43, v19, vcc_lo
	v_add_co_u32 v62, vcc_lo, v44, v18
	s_wait_alu 0xfffd
	v_add_co_ci_u32_e64 v63, null, v45, v19, vcc_lo
	global_load_b32 v6, v[20:21], off
	global_load_b32 v14, v[62:63], off
	s_wait_alu 0xfffe
	s_or_b32 exec_lo, exec_lo, s3
	s_and_saveexec_b32 s3, s2
	s_cbranch_execz .LBB63_36
.LBB63_47:                              ;   in Loop: Header=BB63_3 Depth=1
	v_add_co_u32 v20, vcc_lo, v38, v18
	s_wait_alu 0xfffd
	v_add_co_ci_u32_e64 v21, null, v39, v19, vcc_lo
	v_add_co_u32 v62, vcc_lo, v40, v18
	s_wait_alu 0xfffd
	v_add_co_ci_u32_e64 v63, null, v41, v19, vcc_lo
	global_load_b32 v7, v[20:21], off
	global_load_b32 v15, v[62:63], off
	s_wait_alu 0xfffe
	s_or_b32 exec_lo, exec_lo, s3
	s_and_saveexec_b32 s3, s2
	s_cbranch_execz .LBB63_37
.LBB63_48:                              ;   in Loop: Header=BB63_3 Depth=1
	v_add_co_u32 v20, vcc_lo, v34, v18
	s_wait_alu 0xfffd
	v_add_co_ci_u32_e64 v21, null, v35, v19, vcc_lo
	v_add_co_u32 v62, vcc_lo, v36, v18
	s_wait_alu 0xfffd
	v_add_co_ci_u32_e64 v63, null, v37, v19, vcc_lo
	global_load_b32 v8, v[20:21], off
	global_load_b32 v16, v[62:63], off
	s_wait_alu 0xfffe
	s_or_b32 exec_lo, exec_lo, s3
	s_and_saveexec_b32 s3, s2
	s_cbranch_execnz .LBB63_38
	s_branch .LBB63_39
.LBB63_49:
                                        ; implicit-def: $vgpr50
                                        ; implicit-def: $vgpr59
	s_branch .LBB63_51
.LBB63_50:
	s_cbranch_execnz .LBB63_82
.LBB63_51:
	v_dual_mov_b32 v50, 0 :: v_dual_mov_b32 v59, 0
	s_and_not1_b32 vcc_lo, exec_lo, s31
	s_wait_alu 0xfffe
	s_cbranch_vccnz .LBB63_82
; %bb.52:
	v_bfe_u32 v51, v0, 10, 10
	s_lshl_b64 s[22:23], s[16:17], 2
	s_mov_b32 s3, 0
	s_add_nc_u64 s[18:19], s[0:1], 64
	s_wait_alu 0xfffe
	s_mov_b32 s21, s3
	v_dual_mov_b32 v1, 0 :: v_dual_lshlrev_b32 v52, 3, v51
	v_and_b32_e32 v53, 0x3ff, v0
	v_lshlrev_b32_e32 v8, 5, v51
	s_delay_alu instid0(VALU_DEP_3) | instskip(SKIP_3) | instid1(VALU_DEP_3)
	v_add_co_u32 v10, s2, v52, s16
	s_wait_alu 0xf1ff
	v_add_co_ci_u32_e64 v11, null, 0, 0, s2
	v_mov_b32_e32 v5, v1
	v_mul_lo_u32 v6, s7, v10
	v_mad_co_u64_u32 v[2:3], null, s6, v10, 0
	s_delay_alu instid0(VALU_DEP_4) | instskip(SKIP_3) | instid1(VALU_DEP_1)
	v_mul_lo_u32 v7, s6, v11
	v_mov_b32_e32 v54, v1
	v_add_nc_u32_e32 v4, s30, v53
	s_load_b32 s2, s[0:1], 0x44
	v_lshlrev_b64_e32 v[18:19], 2, v[4:5]
	s_delay_alu instid0(VALU_DEP_4) | instskip(SKIP_1) | instid1(VALU_DEP_1)
	v_add3_u32 v3, v3, v7, v6
	v_add_co_u32 v6, s20, v8, s22
	v_add_co_ci_u32_e64 v7, null, 0, s23, s20
	s_delay_alu instid0(VALU_DEP_3) | instskip(NEXT) | instid1(VALU_DEP_3)
	v_lshlrev_b64_e32 v[4:5], 2, v[2:3]
	v_add_co_u32 v8, vcc_lo, v6, 4
	s_wait_alu 0xfffd
	s_delay_alu instid0(VALU_DEP_3) | instskip(NEXT) | instid1(VALU_DEP_3)
	v_add_co_ci_u32_e64 v9, null, 0, v7, vcc_lo
	v_add_co_u32 v55, vcc_lo, s8, v4
	s_wait_alu 0xfffd
	v_add_co_ci_u32_e64 v56, null, s9, v5, vcc_lo
	v_add_co_u32 v57, vcc_lo, s10, v4
	s_wait_alu 0xfffd
	;; [unrolled: 3-line block ×5, first 2 shown]
	v_add_co_ci_u32_e64 v28, null, 0, v7, vcc_lo
	v_add_co_u32 v42, vcc_lo, v6, 20
	v_mad_co_u64_u32 v[22:23], null, s6, v4, s[8:9]
	v_mul_lo_u32 v5, s6, v5
	v_mul_lo_u32 v15, s7, v4
	v_mad_co_u64_u32 v[36:37], null, s6, v4, s[10:11]
	s_wait_alu 0xfffd
	v_add_co_ci_u32_e64 v30, null, 0, v7, vcc_lo
	v_add_co_u32 v44, vcc_lo, v6, 24
	s_wait_alu 0xfffd
	v_add_co_ci_u32_e64 v32, null, 0, v7, vcc_lo
	v_add_co_u32 v6, vcc_lo, v6, 28
	v_mad_co_u64_u32 v[20:21], null, s6, v8, s[8:9]
	v_mul_lo_u32 v9, s6, v9
	v_mul_lo_u32 v12, s7, v8
	v_mad_co_u64_u32 v[34:35], null, s6, v8, s[10:11]
	s_wait_alu 0xfffd
	v_add_co_ci_u32_e64 v7, null, 0, v7, vcc_lo
	v_add_co_u32 v4, vcc_lo, v10, 7
	v_add3_u32 v23, v15, v23, v5
	v_add3_u32 v37, v15, v37, v5
	s_wait_alu 0xfffd
	v_add_co_ci_u32_e64 v5, null, 0, v11, vcc_lo
	v_mul_lo_u32 v62, s6, v7
	v_add_co_u32 v7, vcc_lo, v10, 6
	v_add3_u32 v21, v12, v21, v9
	v_add3_u32 v35, v12, v35, v9
	s_wait_alu 0xfffd
	v_add_co_ci_u32_e64 v12, null, 0, v11, vcc_lo
	v_mul_lo_u32 v8, s7, v4
	v_mul_lo_u32 v9, s6, v5
	v_mad_co_u64_u32 v[4:5], null, s6, v4, 0
	v_mad_co_u64_u32 v[24:25], null, s6, v13, s[8:9]
	v_mul_lo_u32 v17, s7, v13
	v_mul_lo_u32 v60, s6, v32
	v_mad_co_u64_u32 v[32:33], null, s6, v6, s[8:9]
	v_mul_lo_u32 v63, s7, v6
	v_mad_co_u64_u32 v[38:39], null, s6, v13, s[10:11]
	v_mad_co_u64_u32 v[46:47], null, s6, v6, s[10:11]
	v_mul_lo_u32 v13, s7, v7
	v_mul_lo_u32 v12, s6, v12
	v_mad_co_u64_u32 v[6:7], null, s6, v7, 0
	v_add3_u32 v5, v5, v9, v8
	v_add_co_u32 v8, vcc_lo, v10, 5
	v_mul_lo_u32 v50, s6, v30
	v_mad_co_u64_u32 v[30:31], null, s6, v44, s[8:9]
	v_mul_lo_u32 v61, s7, v44
	v_mad_co_u64_u32 v[44:45], null, s6, v44, s[10:11]
	s_wait_alu 0xfffd
	v_add_co_ci_u32_e64 v9, null, 0, v11, vcc_lo
	v_add3_u32 v7, v7, v12, v13
	v_lshlrev_b64_e32 v[4:5], 2, v[4:5]
	v_mul_lo_u32 v12, s7, v8
	s_delay_alu instid0(VALU_DEP_4)
	v_mul_lo_u32 v13, s6, v9
	v_mad_co_u64_u32 v[8:9], null, s6, v8, 0
	v_lshlrev_b64_e32 v[6:7], 2, v[6:7]
	v_add3_u32 v31, v61, v31, v60
	v_add3_u32 v45, v61, v45, v60
	v_add_co_u32 v60, vcc_lo, s8, v4
	v_add3_u32 v33, v63, v33, v62
	v_add3_u32 v47, v63, v47, v62
	s_wait_alu 0xfffd
	v_add_co_ci_u32_e64 v61, null, s9, v5, vcc_lo
	v_add_co_u32 v62, vcc_lo, s10, v4
	s_wait_alu 0xfffd
	v_add_co_ci_u32_e64 v63, null, s11, v5, vcc_lo
	v_add_co_u32 v64, vcc_lo, s8, v6
	v_mul_lo_u32 v14, s6, v14
	v_add3_u32 v9, v9, v13, v12
	s_wait_alu 0xfffd
	v_add_co_ci_u32_e64 v65, null, s9, v7, vcc_lo
	v_add_co_u32 v12, vcc_lo, v10, 4
	s_wait_kmcnt 0x0
	s_lshl_b32 s20, s2, 3
	v_add_co_u32 v66, s2, s10, v6
	s_wait_alu 0xfffd
	v_add_co_ci_u32_e64 v6, null, 0, v11, vcc_lo
	v_lshlrev_b64_e32 v[4:5], 2, v[8:9]
	v_add_co_u32 v8, vcc_lo, v10, 3
	s_wait_alu 0xfffd
	v_add_co_ci_u32_e64 v9, null, 0, v11, vcc_lo
	v_add3_u32 v25, v17, v25, v14
	v_add3_u32 v39, v17, v39, v14
	s_wait_alu 0xf1ff
	v_add_co_ci_u32_e64 v67, null, s11, v7, s2
	v_mul_lo_u32 v13, s7, v12
	v_mul_lo_u32 v14, s6, v6
	v_mad_co_u64_u32 v[6:7], null, s6, v12, 0
	v_mul_lo_u32 v12, s7, v8
	v_mul_lo_u32 v15, s6, v9
	v_mad_co_u64_u32 v[8:9], null, s6, v8, 0
	v_add_co_u32 v68, vcc_lo, s8, v4
	s_wait_alu 0xfffd
	v_add_co_ci_u32_e64 v69, null, s9, v5, vcc_lo
	v_add3_u32 v7, v7, v14, v13
	v_add_co_u32 v70, vcc_lo, s10, v4
	s_wait_alu 0xfffd
	v_add_co_ci_u32_e64 v71, null, s11, v5, vcc_lo
	v_add_co_u32 v10, vcc_lo, v10, 2
	v_add3_u32 v9, v9, v15, v12
	s_wait_alu 0xfffd
	v_add_co_ci_u32_e64 v11, null, 0, v11, vcc_lo
	v_lshlrev_b64_e32 v[4:5], 2, v[6:7]
	v_mul_lo_u32 v12, s7, v10
	v_lshlrev_b64_e32 v[6:7], 2, v[8:9]
	s_delay_alu instid0(VALU_DEP_4)
	v_mul_lo_u32 v11, s6, v11
	v_mad_co_u64_u32 v[8:9], null, s6, v10, 0
	v_add_co_u32 v72, vcc_lo, s8, v4
	s_wait_alu 0xfffd
	v_add_co_ci_u32_e64 v73, null, s9, v5, vcc_lo
	v_add_co_u32 v74, vcc_lo, s10, v4
	s_wait_alu 0xfffd
	v_add_co_ci_u32_e64 v75, null, s11, v5, vcc_lo
	;; [unrolled: 3-line block ×3, first 2 shown]
	v_add3_u32 v9, v9, v11, v12
	v_add_co_u32 v78, vcc_lo, s10, v6
	s_wait_alu 0xfffd
	v_add_co_ci_u32_e64 v79, null, s11, v7, vcc_lo
	v_add_co_u32 v2, vcc_lo, v2, s6
	s_wait_alu 0xfffd
	v_add_co_ci_u32_e64 v3, null, s7, v3, vcc_lo
	v_lshlrev_b64_e32 v[4:5], 2, v[8:9]
	v_mad_co_u64_u32 v[26:27], null, s6, v16, s[8:9]
	s_delay_alu instid0(VALU_DEP_3)
	v_lshlrev_b64_e32 v[2:3], 2, v[2:3]
	v_mul_lo_u32 v48, s6, v28
	v_mul_lo_u32 v49, s7, v16
	v_mad_co_u64_u32 v[28:29], null, s6, v42, s[8:9]
	v_mul_lo_u32 v59, s7, v42
	v_mad_co_u64_u32 v[40:41], null, s6, v16, s[10:11]
	v_mad_co_u64_u32 v[42:43], null, s6, v42, s[10:11]
	v_add_co_u32 v80, vcc_lo, s8, v4
	s_wait_alu 0xfffd
	v_add_co_ci_u32_e64 v81, null, s9, v5, vcc_lo
	v_add_co_u32 v82, vcc_lo, s10, v4
	s_wait_alu 0xfffd
	v_add_co_ci_u32_e64 v83, null, s11, v5, vcc_lo
	;; [unrolled: 3-line block ×3, first 2 shown]
	v_add_co_u32 v86, vcc_lo, s10, v2
	v_add3_u32 v27, v49, v27, v48
	v_add3_u32 v29, v59, v29, v50
	;; [unrolled: 1-line block ×4, first 2 shown]
	s_wait_alu 0xfffd
	v_add_co_ci_u32_e64 v87, null, s11, v3, vcc_lo
	v_dual_mov_b32 v59, 0 :: v_dual_mov_b32 v50, 0
	s_wait_alu 0xfffe
	s_mul_u64 s[22:23], s[6:7], s[20:21]
	s_mov_b64 s[10:11], 7
	s_wait_alu 0xfffe
	s_lshl_b64 s[8:9], s[22:23], 2
	s_mov_b64 s[22:23], s[16:17]
	s_branch .LBB63_56
.LBB63_53:                              ;   in Loop: Header=BB63_56 Depth=1
	s_wait_alu 0xfffe
	s_or_b32 exec_lo, exec_lo, s24
.LBB63_54:                              ;   in Loop: Header=BB63_56 Depth=1
	s_wait_alu 0xfffe
	s_or_b32 exec_lo, exec_lo, s2
	v_add_co_u32 v2, vcc_lo, v55, v18
	s_wait_alu 0xfffd
	v_add_co_ci_u32_e64 v3, null, v56, v19, vcc_lo
	s_wait_loadcnt 0x1
	ds_bpermute_b32 v89, v1, v4
	global_load_b32 v6, v[2:3], off
	v_add_co_u32 v2, vcc_lo, v57, v18
	s_wait_alu 0xfffd
	v_add_co_ci_u32_e64 v3, null, v58, v19, vcc_lo
	global_load_b32 v7, v[2:3], off
	v_add_co_u32 v2, vcc_lo, v20, v18
	s_wait_alu 0xfffd
	v_add_co_ci_u32_e64 v3, null, v21, v19, vcc_lo
	;; [unrolled: 4-line block ×15, first 2 shown]
	global_load_b32 v3, v[2:3], off
	s_wait_loadcnt 0x10
	ds_bpermute_b32 v2, v1, v5
	s_wait_loadcnt_dscnt 0xe01
	v_sub_f32_e32 v7, v7, v89
	s_delay_alu instid0(VALU_DEP_1) | instskip(SKIP_1) | instid1(VALU_DEP_1)
	v_mul_f32_e32 v7, v6, v7
	s_wait_dscnt 0x0
	v_fmac_f32_e32 v59, v7, v2
	ds_bpermute_b32 v7, v1, v4 offset:4
	v_add_f32_e32 v2, v50, v6
	ds_bpermute_b32 v6, v1, v5 offset:4
	s_wait_loadcnt 0xd
	v_add_f32_e32 v2, v2, v8
	s_wait_loadcnt 0xb
	s_delay_alu instid0(VALU_DEP_1) | instskip(SKIP_3) | instid1(VALU_DEP_1)
	v_add_f32_e32 v2, v2, v11
	s_wait_dscnt 0x1
	v_sub_f32_e32 v7, v10, v7
	s_wait_loadcnt 0x9
	v_dual_mul_f32 v7, v8, v7 :: v_dual_add_f32 v2, v2, v13
	s_wait_dscnt 0x0
	s_delay_alu instid0(VALU_DEP_1)
	v_fmac_f32_e32 v59, v7, v6
	ds_bpermute_b32 v7, v1, v4 offset:8
	ds_bpermute_b32 v6, v1, v5 offset:8
	s_wait_loadcnt 0x7
	v_add_f32_e32 v2, v2, v15
	s_wait_loadcnt_dscnt 0x501
	s_delay_alu instid0(VALU_DEP_1) | instskip(SKIP_1) | instid1(VALU_DEP_1)
	v_dual_sub_f32 v7, v12, v7 :: v_dual_add_f32 v2, v2, v17
	s_wait_loadcnt 0x3
	v_dual_mul_f32 v7, v11, v7 :: v_dual_add_f32 v2, v2, v49
	s_wait_dscnt 0x0
	s_delay_alu instid0(VALU_DEP_1) | instskip(SKIP_4) | instid1(VALU_DEP_1)
	v_fmac_f32_e32 v59, v7, v6
	ds_bpermute_b32 v7, v1, v4 offset:12
	ds_bpermute_b32 v6, v1, v5 offset:12
	s_wait_dscnt 0x1
	v_sub_f32_e32 v7, v14, v7
	v_mul_f32_e32 v7, v13, v7
	s_wait_dscnt 0x0
	s_delay_alu instid0(VALU_DEP_1) | instskip(SKIP_4) | instid1(VALU_DEP_1)
	v_fmac_f32_e32 v59, v7, v6
	ds_bpermute_b32 v7, v1, v4 offset:16
	ds_bpermute_b32 v6, v1, v5 offset:16
	s_wait_dscnt 0x1
	v_sub_f32_e32 v7, v16, v7
	v_mul_f32_e32 v7, v15, v7
	;; [unrolled: 8-line block ×3, first 2 shown]
	s_wait_dscnt 0x0
	s_delay_alu instid0(VALU_DEP_1)
	v_fmac_f32_e32 v59, v7, v6
	ds_bpermute_b32 v7, v1, v4 offset:24
	ds_bpermute_b32 v4, v1, v4 offset:28
	;; [unrolled: 1-line block ×4, first 2 shown]
	s_wait_loadcnt_dscnt 0x203
	v_sub_f32_e32 v7, v88, v7
	s_wait_loadcnt_dscnt 0x2
	v_sub_f32_e32 v3, v3, v4
	s_delay_alu instid0(VALU_DEP_2) | instskip(NEXT) | instid1(VALU_DEP_2)
	v_mul_f32_e32 v7, v49, v7
	v_mul_f32_e32 v3, v9, v3
	s_wait_dscnt 0x1
	s_delay_alu instid0(VALU_DEP_2) | instskip(SKIP_1) | instid1(VALU_DEP_2)
	v_fmac_f32_e32 v59, v7, v6
	s_wait_dscnt 0x0
	v_mul_f32_e32 v3, v3, v5
	s_delay_alu instid0(VALU_DEP_2)
	v_mov_b32_e32 v10, v59
.LBB63_55:                              ;   in Loop: Header=BB63_56 Depth=1
	v_add_co_u32 v55, vcc_lo, v55, s8
	s_wait_alu 0xfffd
	v_add_co_ci_u32_e64 v56, null, s9, v56, vcc_lo
	v_add_co_u32 v57, vcc_lo, v57, s8
	s_wait_alu 0xfffd
	v_add_co_ci_u32_e64 v58, null, s9, v58, vcc_lo
	;; [unrolled: 3-line block ×28, first 2 shown]
	v_add_co_u32 v82, vcc_lo, v82, s8
	s_add_nc_u64 s[22:23], s[22:23], s[20:21]
	s_wait_alu 0xfffd
	v_add_co_ci_u32_e64 v83, null, s9, v83, vcc_lo
	v_add_co_u32 v84, vcc_lo, v84, s8
	s_wait_alu 0xfffe
	v_cmp_ge_i64_e64 s2, s[22:23], s[4:5]
	s_wait_alu 0xfffd
	v_add_co_ci_u32_e64 v85, null, s9, v85, vcc_lo
	v_add_co_u32 v86, vcc_lo, v86, s8
	v_add_f32_e32 v59, v10, v3
	v_add_f32_e32 v50, v2, v9
	s_wait_alu 0xfffd
	v_add_co_ci_u32_e64 v87, null, s9, v87, vcc_lo
	s_and_b32 vcc_lo, exec_lo, s2
	s_add_nc_u64 s[10:11], s[10:11], s[20:21]
	s_wait_alu 0xfffe
	s_cbranch_vccnz .LBB63_82
.LBB63_56:                              ; =>This Inner Loop Header: Depth=1
	s_add_nc_u64 s[24:25], s[16:17], s[10:11]
	v_add_co_u32 v48, vcc_lo, s16, v52
	s_wait_alu 0xfffe
	v_cmp_ge_i64_e64 s2, s[24:25], s[4:5]
	s_wait_alu 0xfffd
	v_add_co_ci_u32_e64 v49, null, 0, v54, vcc_lo
                                        ; implicit-def: $vgpr9
                                        ; implicit-def: $vgpr3
                                        ; implicit-def: $vgpr2
                                        ; implicit-def: $vgpr10
	s_and_b32 vcc_lo, exec_lo, s2
	s_mov_b32 s2, -1
	s_wait_alu 0xfffe
	s_cbranch_vccz .LBB63_78
; %bb.57:                               ;   in Loop: Header=BB63_56 Depth=1
	s_load_b32 s2, s[18:19], 0xc
	v_dual_mov_b32 v88, 0 :: v_dual_mov_b32 v89, 0
	s_wait_kmcnt 0x0
	s_and_b32 s2, s2, 0xffff
	s_wait_alu 0xfffe
	v_mad_u32_u24 v2, v51, s2, v53
	s_mov_b32 s2, exec_lo
	s_delay_alu instid0(VALU_DEP_1) | instskip(NEXT) | instid1(VALU_DEP_1)
	v_and_b32_e32 v2, 31, v2
	v_cmpx_gt_u32_e32 8, v2
	s_cbranch_execz .LBB63_61
; %bb.58:                               ;   in Loop: Header=BB63_56 Depth=1
	v_add_co_u32 v2, vcc_lo, v48, v2
	s_wait_alu 0xfffd
	v_add_co_ci_u32_e64 v3, null, 0, v49, vcc_lo
	v_dual_mov_b32 v89, 0 :: v_dual_mov_b32 v88, 0
	s_mov_b32 s24, exec_lo
	s_delay_alu instid0(VALU_DEP_2)
	v_cmpx_gt_i64_e64 s[4:5], v[2:3]
	s_cbranch_execz .LBB63_60
; %bb.59:                               ;   in Loop: Header=BB63_56 Depth=1
	v_lshlrev_b64_e32 v[2:3], 2, v[2:3]
	s_delay_alu instid0(VALU_DEP_1) | instskip(SKIP_1) | instid1(VALU_DEP_2)
	v_add_co_u32 v4, vcc_lo, s12, v2
	s_wait_alu 0xfffd
	v_add_co_ci_u32_e64 v5, null, s13, v3, vcc_lo
	v_add_co_u32 v2, vcc_lo, s14, v2
	s_wait_alu 0xfffd
	v_add_co_ci_u32_e64 v3, null, s15, v3, vcc_lo
	global_load_b32 v89, v[4:5], off
	global_load_b32 v88, v[2:3], off
.LBB63_60:                              ;   in Loop: Header=BB63_56 Depth=1
	s_wait_alu 0xfffe
	s_or_b32 exec_lo, exec_lo, s24
.LBB63_61:                              ;   in Loop: Header=BB63_56 Depth=1
	s_wait_alu 0xfffe
	s_or_b32 exec_lo, exec_lo, s2
	v_mov_b32_e32 v8, v1
	v_dual_mov_b32 v2, v1 :: v_dual_mov_b32 v3, v1
	v_dual_mov_b32 v4, v1 :: v_dual_mov_b32 v5, v1
	;; [unrolled: 1-line block ×3, first 2 shown]
	s_delay_alu instid0(VALU_DEP_4) | instskip(NEXT) | instid1(VALU_DEP_3)
	v_mov_b32_e32 v17, v8
	v_dual_mov_b32 v13, v4 :: v_dual_mov_b32 v12, v3
	s_delay_alu instid0(VALU_DEP_3) | instskip(NEXT) | instid1(VALU_DEP_4)
	v_dual_mov_b32 v15, v6 :: v_dual_mov_b32 v14, v5
	v_dual_mov_b32 v16, v7 :: v_dual_mov_b32 v11, v2
	;; [unrolled: 1-line block ×3, first 2 shown]
	v_mov_b32_e32 v8, v7
	v_mov_b32_e32 v7, v6
	;; [unrolled: 1-line block ×7, first 2 shown]
	s_mov_b32 s2, exec_lo
	v_cmpx_gt_i64_e64 s[4:5], v[48:49]
	s_cbranch_execz .LBB63_63
; %bb.62:                               ;   in Loop: Header=BB63_56 Depth=1
	v_add_co_u32 v2, vcc_lo, v55, v18
	s_wait_alu 0xfffd
	v_add_co_ci_u32_e64 v3, null, v56, v19, vcc_lo
	v_add_co_u32 v4, vcc_lo, v57, v18
	s_wait_alu 0xfffd
	v_add_co_ci_u32_e64 v5, null, v58, v19, vcc_lo
	global_load_b32 v2, v[2:3], off
	global_load_b32 v10, v[4:5], off
	v_dual_mov_b32 v3, v1 :: v_dual_mov_b32 v4, v1
	v_dual_mov_b32 v5, v1 :: v_dual_mov_b32 v6, v1
	;; [unrolled: 1-line block ×6, first 2 shown]
	v_mov_b32_e32 v15, v1
	v_mov_b32_e32 v17, v1
.LBB63_63:                              ;   in Loop: Header=BB63_56 Depth=1
	s_wait_alu 0xfffe
	s_or_b32 exec_lo, exec_lo, s2
	v_add_co_u32 v90, vcc_lo, v48, 1
	s_wait_alu 0xfffd
	v_add_co_ci_u32_e64 v91, null, 0, v49, vcc_lo
	s_mov_b32 s2, exec_lo
	v_cmpx_gt_i64_e64 s[4:5], v[90:91]
	s_cbranch_execz .LBB63_65
; %bb.64:                               ;   in Loop: Header=BB63_56 Depth=1
	v_add_co_u32 v90, vcc_lo, v84, v18
	s_wait_alu 0xfffd
	v_add_co_ci_u32_e64 v91, null, v85, v19, vcc_lo
	v_add_co_u32 v92, vcc_lo, v86, v18
	s_wait_alu 0xfffd
	v_add_co_ci_u32_e64 v93, null, v87, v19, vcc_lo
	global_load_b32 v3, v[90:91], off
	global_load_b32 v11, v[92:93], off
.LBB63_65:                              ;   in Loop: Header=BB63_56 Depth=1
	s_wait_alu 0xfffe
	s_or_b32 exec_lo, exec_lo, s2
	v_add_co_u32 v90, vcc_lo, v48, 2
	s_wait_alu 0xfffd
	v_add_co_ci_u32_e64 v91, null, 0, v49, vcc_lo
	s_mov_b32 s2, exec_lo
	v_cmpx_gt_i64_e64 s[4:5], v[90:91]
	s_cbranch_execz .LBB63_67
; %bb.66:                               ;   in Loop: Header=BB63_56 Depth=1
	v_add_co_u32 v90, vcc_lo, v80, v18
	s_wait_alu 0xfffd
	v_add_co_ci_u32_e64 v91, null, v81, v19, vcc_lo
	v_add_co_u32 v92, vcc_lo, v82, v18
	s_wait_alu 0xfffd
	v_add_co_ci_u32_e64 v93, null, v83, v19, vcc_lo
	global_load_b32 v4, v[90:91], off
	global_load_b32 v12, v[92:93], off
.LBB63_67:                              ;   in Loop: Header=BB63_56 Depth=1
	;; [unrolled: 18-line block ×7, first 2 shown]
	s_wait_alu 0xfffe
	s_or_b32 exec_lo, exec_lo, s2
	s_wait_loadcnt 0x1
	ds_bpermute_b32 v90, v1, v89
	ds_bpermute_b32 v91, v1, v89 offset:4
	s_wait_loadcnt 0x0
	ds_bpermute_b32 v93, v1, v88
	v_add_f32_e32 v96, v50, v2
	ds_bpermute_b32 v92, v1, v89 offset:8
	ds_bpermute_b32 v94, v1, v89 offset:12
	;; [unrolled: 1-line block ×8, first 2 shown]
	s_mov_b32 s2, 0
	s_wait_dscnt 0x9
	v_dual_sub_f32 v11, v11, v91 :: v_dual_sub_f32 v10, v10, v90
	ds_bpermute_b32 v90, v1, v88 offset:12
	s_wait_dscnt 0x7
	v_dual_sub_f32 v12, v12, v92 :: v_dual_sub_f32 v13, v13, v94
	v_dual_mul_f32 v11, v3, v11 :: v_dual_mul_f32 v2, v2, v10
	v_add_f32_e32 v3, v3, v96
	ds_bpermute_b32 v91, v1, v88 offset:20
	v_dual_mul_f32 v12, v4, v12 :: v_dual_mul_f32 v13, v5, v13
	v_fma_f32 v10, v2, v93, v59
	ds_bpermute_b32 v2, v1, v89 offset:28
	s_wait_dscnt 0x7
	v_dual_add_f32 v3, v4, v3 :: v_dual_sub_f32 v4, v14, v97
	s_delay_alu instid0(VALU_DEP_1) | instskip(SKIP_1) | instid1(VALU_DEP_1)
	v_add_f32_e32 v3, v5, v3
	s_wait_dscnt 0x0
	v_dual_add_f32 v3, v6, v3 :: v_dual_sub_f32 v2, v17, v2
	v_fmac_f32_e32 v10, v11, v95
	ds_bpermute_b32 v11, v1, v88 offset:24
	v_fmac_f32_e32 v10, v12, v98
	ds_bpermute_b32 v12, v1, v88 offset:28
	v_dual_sub_f32 v5, v15, v100 :: v_dual_fmac_f32 v10, v13, v90
	s_delay_alu instid0(VALU_DEP_1) | instskip(SKIP_1) | instid1(VALU_DEP_2)
	v_dual_mul_f32 v4, v6, v4 :: v_dual_mul_f32 v5, v7, v5
	v_dual_sub_f32 v6, v16, v101 :: v_dual_add_f32 v3, v7, v3
	v_fmac_f32_e32 v10, v4, v99
	s_delay_alu instid0(VALU_DEP_2) | instskip(NEXT) | instid1(VALU_DEP_2)
	v_mul_f32_e32 v4, v8, v6
	v_fmac_f32_e32 v10, v5, v91
	s_delay_alu instid0(VALU_DEP_4) | instskip(SKIP_1) | instid1(VALU_DEP_1)
	v_dual_mul_f32 v5, v9, v2 :: v_dual_add_f32 v2, v8, v3
	s_wait_dscnt 0x0
	v_dual_fmac_f32 v10, v4, v11 :: v_dual_mul_f32 v3, v5, v12
.LBB63_78:                              ;   in Loop: Header=BB63_56 Depth=1
	s_wait_alu 0xfffe
	s_and_b32 vcc_lo, exec_lo, s2
	s_wait_alu 0xfffe
	s_cbranch_vccz .LBB63_55
; %bb.79:                               ;   in Loop: Header=BB63_56 Depth=1
	s_load_b32 s2, s[18:19], 0x0
	v_dual_mov_b32 v4, 0 :: v_dual_mov_b32 v5, 0
	s_wait_kmcnt 0x0
	s_cmp_lt_u32 ttmp9, s2
	s_cselect_b32 s2, 12, 18
	s_wait_alu 0xfffe
	s_add_nc_u64 s[24:25], s[18:19], s[2:3]
	s_load_u16 s2, s[24:25], 0x0
	s_wait_kmcnt 0x0
	v_mad_u32_u24 v2, v51, s2, v53
	s_mov_b32 s2, exec_lo
	s_delay_alu instid0(VALU_DEP_1) | instskip(NEXT) | instid1(VALU_DEP_1)
	v_and_b32_e32 v2, 31, v2
	v_cmpx_gt_u32_e32 8, v2
	s_cbranch_execz .LBB63_54
; %bb.80:                               ;   in Loop: Header=BB63_56 Depth=1
	v_add_co_u32 v2, vcc_lo, v48, v2
	s_wait_alu 0xfffd
	v_add_co_ci_u32_e64 v3, null, 0, v49, vcc_lo
	v_dual_mov_b32 v4, 0 :: v_dual_mov_b32 v5, 0
	s_mov_b32 s24, exec_lo
	s_delay_alu instid0(VALU_DEP_2)
	v_cmpx_gt_i64_e64 s[4:5], v[2:3]
	s_cbranch_execz .LBB63_53
; %bb.81:                               ;   in Loop: Header=BB63_56 Depth=1
	v_lshlrev_b64_e32 v[2:3], 2, v[2:3]
	s_delay_alu instid0(VALU_DEP_1) | instskip(SKIP_1) | instid1(VALU_DEP_2)
	v_add_co_u32 v4, vcc_lo, s12, v2
	s_wait_alu 0xfffd
	v_add_co_ci_u32_e64 v5, null, s13, v3, vcc_lo
	v_add_co_u32 v2, vcc_lo, s14, v2
	s_wait_alu 0xfffd
	v_add_co_ci_u32_e64 v3, null, s15, v3, vcc_lo
	global_load_b32 v4, v[4:5], off
	global_load_b32 v5, v[2:3], off
	s_branch .LBB63_53
.LBB63_82:
	s_mov_b32 s2, ttmp9
	s_mov_b32 s3, 0
	s_wait_alu 0xfffe
	s_lshl_b64 s[2:3], s[2:3], 5
	s_wait_alu 0xfffe
	v_and_or_b32 v4, 0x3ff, v0, s2
	v_mov_b32_e32 v5, s3
	s_mov_b32 s2, exec_lo
	s_delay_alu instid0(VALU_DEP_1)
	v_cmpx_gt_i64_e64 s[6:7], v[4:5]
	s_cbranch_execz .LBB63_87
; %bb.83:
	s_clause 0x1
	s_load_u16 s4, s[0:1], 0x4e
	s_load_b128 s[0:3], s[0:1], 0x30
	v_bfe_u32 v0, v0, 10, 10
	v_mov_b32_e32 v1, 0
	s_wait_kmcnt 0x0
	s_delay_alu instid0(VALU_DEP_1) | instskip(SKIP_2) | instid1(VALU_DEP_2)
	v_mad_co_u64_u32 v[2:3], null, s4, ttmp7, v[0:1]
	v_lshlrev_b64_e32 v[0:1], 2, v[4:5]
	s_cmp_eq_u64 s[0:1], 0
	v_mul_lo_u32 v3, v3, s6
	s_delay_alu instid0(VALU_DEP_3)
	v_mul_lo_u32 v6, v2, s7
	s_cbranch_scc1 .LBB63_85
; %bb.84:
	v_mad_co_u64_u32 v[4:5], null, v2, s6, 0
	s_delay_alu instid0(VALU_DEP_1) | instskip(NEXT) | instid1(VALU_DEP_1)
	v_add3_u32 v5, v5, v6, v3
	v_lshlrev_b64_e32 v[4:5], 2, v[4:5]
	s_delay_alu instid0(VALU_DEP_1) | instskip(SKIP_1) | instid1(VALU_DEP_2)
	v_add_co_u32 v4, vcc_lo, s0, v4
	s_wait_alu 0xfffd
	v_add_co_ci_u32_e64 v5, null, s1, v5, vcc_lo
	s_delay_alu instid0(VALU_DEP_2) | instskip(SKIP_1) | instid1(VALU_DEP_2)
	v_add_co_u32 v4, vcc_lo, v4, v0
	s_wait_alu 0xfffd
	v_add_co_ci_u32_e64 v5, null, v5, v1, vcc_lo
	global_store_b32 v[4:5], v59, off
.LBB63_85:
	s_cmp_eq_u64 s[2:3], 0
	s_cbranch_scc1 .LBB63_87
; %bb.86:
	v_mad_co_u64_u32 v[4:5], null, v2, s6, 0
	s_delay_alu instid0(VALU_DEP_1) | instskip(NEXT) | instid1(VALU_DEP_1)
	v_add3_u32 v5, v5, v6, v3
	v_lshlrev_b64_e32 v[2:3], 2, v[4:5]
	s_delay_alu instid0(VALU_DEP_1) | instskip(SKIP_1) | instid1(VALU_DEP_2)
	v_add_co_u32 v2, vcc_lo, s2, v2
	s_wait_alu 0xfffd
	v_add_co_ci_u32_e64 v3, null, s3, v3, vcc_lo
	s_delay_alu instid0(VALU_DEP_2) | instskip(SKIP_1) | instid1(VALU_DEP_2)
	v_add_co_u32 v0, vcc_lo, v2, v0
	s_wait_alu 0xfffd
	v_add_co_ci_u32_e64 v1, null, v3, v1, vcc_lo
	global_store_b32 v[0:1], v50, off
.LBB63_87:
	s_nop 0
	s_sendmsg sendmsg(MSG_DEALLOC_VGPRS)
	s_endpgm
	.section	.rodata,"a",@progbits
	.p2align	6, 0x0
	.amdhsa_kernel _ZN2at6native12_GLOBAL__N_135GammaBetaBackwardCUDAKernelTemplateIffLj32ELj1ELj8ELb1ELb0ELb0EEEvllPKT_S5_PKT0_S8_PS3_S9_
		.amdhsa_group_segment_fixed_size 0
		.amdhsa_private_segment_fixed_size 0
		.amdhsa_kernarg_size 320
		.amdhsa_user_sgpr_count 2
		.amdhsa_user_sgpr_dispatch_ptr 0
		.amdhsa_user_sgpr_queue_ptr 0
		.amdhsa_user_sgpr_kernarg_segment_ptr 1
		.amdhsa_user_sgpr_dispatch_id 0
		.amdhsa_user_sgpr_private_segment_size 0
		.amdhsa_wavefront_size32 1
		.amdhsa_uses_dynamic_stack 0
		.amdhsa_enable_private_segment 0
		.amdhsa_system_sgpr_workgroup_id_x 1
		.amdhsa_system_sgpr_workgroup_id_y 1
		.amdhsa_system_sgpr_workgroup_id_z 0
		.amdhsa_system_sgpr_workgroup_info 0
		.amdhsa_system_vgpr_workitem_id 1
		.amdhsa_next_free_vgpr 102
		.amdhsa_next_free_sgpr 36
		.amdhsa_reserve_vcc 1
		.amdhsa_float_round_mode_32 0
		.amdhsa_float_round_mode_16_64 0
		.amdhsa_float_denorm_mode_32 3
		.amdhsa_float_denorm_mode_16_64 3
		.amdhsa_fp16_overflow 0
		.amdhsa_workgroup_processor_mode 1
		.amdhsa_memory_ordered 1
		.amdhsa_forward_progress 1
		.amdhsa_inst_pref_size 74
		.amdhsa_round_robin_scheduling 0
		.amdhsa_exception_fp_ieee_invalid_op 0
		.amdhsa_exception_fp_denorm_src 0
		.amdhsa_exception_fp_ieee_div_zero 0
		.amdhsa_exception_fp_ieee_overflow 0
		.amdhsa_exception_fp_ieee_underflow 0
		.amdhsa_exception_fp_ieee_inexact 0
		.amdhsa_exception_int_div_zero 0
	.end_amdhsa_kernel
	.section	.text._ZN2at6native12_GLOBAL__N_135GammaBetaBackwardCUDAKernelTemplateIffLj32ELj1ELj8ELb1ELb0ELb0EEEvllPKT_S5_PKT0_S8_PS3_S9_,"axG",@progbits,_ZN2at6native12_GLOBAL__N_135GammaBetaBackwardCUDAKernelTemplateIffLj32ELj1ELj8ELb1ELb0ELb0EEEvllPKT_S5_PKT0_S8_PS3_S9_,comdat
.Lfunc_end63:
	.size	_ZN2at6native12_GLOBAL__N_135GammaBetaBackwardCUDAKernelTemplateIffLj32ELj1ELj8ELb1ELb0ELb0EEEvllPKT_S5_PKT0_S8_PS3_S9_, .Lfunc_end63-_ZN2at6native12_GLOBAL__N_135GammaBetaBackwardCUDAKernelTemplateIffLj32ELj1ELj8ELb1ELb0ELb0EEEvllPKT_S5_PKT0_S8_PS3_S9_
                                        ; -- End function
	.set _ZN2at6native12_GLOBAL__N_135GammaBetaBackwardCUDAKernelTemplateIffLj32ELj1ELj8ELb1ELb0ELb0EEEvllPKT_S5_PKT0_S8_PS3_S9_.num_vgpr, 102
	.set _ZN2at6native12_GLOBAL__N_135GammaBetaBackwardCUDAKernelTemplateIffLj32ELj1ELj8ELb1ELb0ELb0EEEvllPKT_S5_PKT0_S8_PS3_S9_.num_agpr, 0
	.set _ZN2at6native12_GLOBAL__N_135GammaBetaBackwardCUDAKernelTemplateIffLj32ELj1ELj8ELb1ELb0ELb0EEEvllPKT_S5_PKT0_S8_PS3_S9_.numbered_sgpr, 36
	.set _ZN2at6native12_GLOBAL__N_135GammaBetaBackwardCUDAKernelTemplateIffLj32ELj1ELj8ELb1ELb0ELb0EEEvllPKT_S5_PKT0_S8_PS3_S9_.num_named_barrier, 0
	.set _ZN2at6native12_GLOBAL__N_135GammaBetaBackwardCUDAKernelTemplateIffLj32ELj1ELj8ELb1ELb0ELb0EEEvllPKT_S5_PKT0_S8_PS3_S9_.private_seg_size, 0
	.set _ZN2at6native12_GLOBAL__N_135GammaBetaBackwardCUDAKernelTemplateIffLj32ELj1ELj8ELb1ELb0ELb0EEEvllPKT_S5_PKT0_S8_PS3_S9_.uses_vcc, 1
	.set _ZN2at6native12_GLOBAL__N_135GammaBetaBackwardCUDAKernelTemplateIffLj32ELj1ELj8ELb1ELb0ELb0EEEvllPKT_S5_PKT0_S8_PS3_S9_.uses_flat_scratch, 0
	.set _ZN2at6native12_GLOBAL__N_135GammaBetaBackwardCUDAKernelTemplateIffLj32ELj1ELj8ELb1ELb0ELb0EEEvllPKT_S5_PKT0_S8_PS3_S9_.has_dyn_sized_stack, 0
	.set _ZN2at6native12_GLOBAL__N_135GammaBetaBackwardCUDAKernelTemplateIffLj32ELj1ELj8ELb1ELb0ELb0EEEvllPKT_S5_PKT0_S8_PS3_S9_.has_recursion, 0
	.set _ZN2at6native12_GLOBAL__N_135GammaBetaBackwardCUDAKernelTemplateIffLj32ELj1ELj8ELb1ELb0ELb0EEEvllPKT_S5_PKT0_S8_PS3_S9_.has_indirect_call, 0
	.section	.AMDGPU.csdata,"",@progbits
; Kernel info:
; codeLenInByte = 9464
; TotalNumSgprs: 38
; NumVgprs: 102
; ScratchSize: 0
; MemoryBound: 0
; FloatMode: 240
; IeeeMode: 1
; LDSByteSize: 0 bytes/workgroup (compile time only)
; SGPRBlocks: 0
; VGPRBlocks: 12
; NumSGPRsForWavesPerEU: 38
; NumVGPRsForWavesPerEU: 102
; Occupancy: 12
; WaveLimiterHint : 0
; COMPUTE_PGM_RSRC2:SCRATCH_EN: 0
; COMPUTE_PGM_RSRC2:USER_SGPR: 2
; COMPUTE_PGM_RSRC2:TRAP_HANDLER: 0
; COMPUTE_PGM_RSRC2:TGID_X_EN: 1
; COMPUTE_PGM_RSRC2:TGID_Y_EN: 1
; COMPUTE_PGM_RSRC2:TGID_Z_EN: 0
; COMPUTE_PGM_RSRC2:TIDIG_COMP_CNT: 1
	.section	.text._ZN2at6native12_GLOBAL__N_135GammaBetaBackwardCUDAKernelTemplateIffLj32ELj8ELj64ELb0ELb1ELb0EEEvllPKT_S5_PKT0_S8_PS3_S9_,"axG",@progbits,_ZN2at6native12_GLOBAL__N_135GammaBetaBackwardCUDAKernelTemplateIffLj32ELj8ELj64ELb0ELb1ELb0EEEvllPKT_S5_PKT0_S8_PS3_S9_,comdat
	.globl	_ZN2at6native12_GLOBAL__N_135GammaBetaBackwardCUDAKernelTemplateIffLj32ELj8ELj64ELb0ELb1ELb0EEEvllPKT_S5_PKT0_S8_PS3_S9_ ; -- Begin function _ZN2at6native12_GLOBAL__N_135GammaBetaBackwardCUDAKernelTemplateIffLj32ELj8ELj64ELb0ELb1ELb0EEEvllPKT_S5_PKT0_S8_PS3_S9_
	.p2align	8
	.type	_ZN2at6native12_GLOBAL__N_135GammaBetaBackwardCUDAKernelTemplateIffLj32ELj8ELj64ELb0ELb1ELb0EEEvllPKT_S5_PKT0_S8_PS3_S9_,@function
_ZN2at6native12_GLOBAL__N_135GammaBetaBackwardCUDAKernelTemplateIffLj32ELj8ELj64ELb0ELb1ELb0EEEvllPKT_S5_PKT0_S8_PS3_S9_: ; @_ZN2at6native12_GLOBAL__N_135GammaBetaBackwardCUDAKernelTemplateIffLj32ELj8ELj64ELb0ELb1ELb0EEEvllPKT_S5_PKT0_S8_PS3_S9_
; %bb.0:
	s_load_b128 s[16:19], s[0:1], 0x0
	s_lshl_b32 s2, ttmp7, 6
	s_mov_b32 s3, 0
	v_bfe_u32 v7, v0, 10, 10
	s_wait_kmcnt 0x0
	v_cmp_gt_i64_e64 s4, s[16:17], s[2:3]
	s_and_b32 vcc_lo, exec_lo, s4
	s_cbranch_vccnz .LBB64_2
; %bb.1:
	v_bfe_u32 v1, v0, 10, 10
	s_mov_b32 s4, s3
	s_branch .LBB64_3
.LBB64_2:
	s_mov_b32 s4, -1
                                        ; implicit-def: $vgpr1
.LBB64_3:
	s_load_b128 s[12:15], s[0:1], 0x30
	v_dual_mov_b32 v17, 0 :: v_dual_and_b32 v6, 0x3ff, v0
	v_mov_b32_e32 v0, 0
	s_and_not1_b32 vcc_lo, exec_lo, s4
	s_cbranch_vccnz .LBB64_11
; %bb.4:
	s_load_b32 s20, s[0:1], 0x4c
	v_dual_mov_b32 v1, 0 :: v_dual_lshlrev_b32 v0, 3, v7
	s_clause 0x1
	s_load_b32 s22, s[0:1], 0x44
	s_load_b256 s[4:11], s[0:1], 0x10
	s_mov_b32 s21, 0
	v_dual_mov_b32 v8, 8 :: v_dual_mov_b32 v9, 4
	v_add_co_u32 v2, s0, v0, s2
	s_delay_alu instid0(VALU_DEP_1) | instskip(SKIP_1) | instid1(VALU_DEP_3)
	v_add_co_ci_u32_e64 v3, null, 0, 0, s0
	v_lshl_add_u32 v0, ttmp9, 5, v6
	v_mul_lo_u32 v14, s19, v2
	v_mad_co_u64_u32 v[4:5], null, s18, v2, 0
	s_delay_alu instid0(VALU_DEP_4) | instskip(NEXT) | instid1(VALU_DEP_4)
	v_mul_lo_u32 v17, s18, v3
	v_lshlrev_b64_e32 v[15:16], 2, v[0:1]
	v_dual_mov_b32 v10, 12 :: v_dual_mov_b32 v11, 16
	v_mov_b32_e32 v0, 0
	s_wait_kmcnt 0x0
	s_and_b32 s0, s20, 0xffff
	s_lshl_b32 s20, s22, 6
	s_wait_alu 0xfffe
	v_mad_u32_u24 v13, v7, s0, v6
	v_mov_b32_e32 v12, 20
	v_add3_u32 v5, v5, v17, v14
	s_mul_u64 s[24:25], s[18:19], s[20:21]
	s_delay_alu instid0(VALU_DEP_3) | instskip(SKIP_1) | instid1(VALU_DEP_3)
	v_dual_mov_b32 v14, 28 :: v_dual_and_b32 v19, 31, v13
	v_mov_b32_e32 v13, 24
	v_lshlrev_b64_e32 v[17:18], 2, v[4:5]
	s_lshl_b64 s[22:23], s[20:21], 2
	s_lshl_b64 s[24:25], s[24:25], 2
	v_add_co_u32 v2, vcc_lo, v2, v19
	s_delay_alu instid0(VALU_DEP_1) | instskip(NEXT) | instid1(VALU_DEP_3)
	v_add_co_ci_u32_e64 v3, null, 0, v3, vcc_lo
	v_add_co_u32 v15, vcc_lo, v17, v15
	v_cmp_gt_u32_e64 s0, 8, v19
	s_delay_alu instid0(VALU_DEP_3)
	v_lshlrev_b64_e32 v[4:5], 2, v[2:3]
	s_wait_alu 0xfffd
	v_add_co_ci_u32_e64 v16, null, v18, v16, vcc_lo
	v_mov_b32_e32 v17, 0
	s_lshl_b64 s[18:19], s[18:19], 2
	s_branch .LBB64_7
.LBB64_5:                               ;   in Loop: Header=BB64_7 Depth=1
	s_or_b32 exec_lo, exec_lo, s26
.LBB64_6:                               ;   in Loop: Header=BB64_7 Depth=1
	s_wait_alu 0xfffe
	s_or_b32 exec_lo, exec_lo, s1
	v_add_co_u32 v20, vcc_lo, s4, v15
	s_wait_alu 0xfffd
	v_add_co_ci_u32_e64 v21, null, s5, v16, vcc_lo
	v_add_co_u32 v22, vcc_lo, s6, v15
	s_wait_alu 0xfffd
	v_add_co_ci_u32_e64 v23, null, s7, v16, vcc_lo
	global_load_b32 v30, v[20:21], off
	v_add_co_u32 v20, vcc_lo, v20, s18
	s_wait_alu 0xfffd
	v_add_co_ci_u32_e64 v21, null, s19, v21, vcc_lo
	v_add_co_u32 v24, vcc_lo, v22, s18
	s_wait_alu 0xfffd
	v_add_co_ci_u32_e64 v25, null, s19, v23, vcc_lo
	;; [unrolled: 3-line block ×4, first 2 shown]
	global_load_b32 v31, v[22:23], off
	global_load_b32 v32, v[20:21], off
	global_load_b32 v33, v[24:25], off
	global_load_b32 v34, v[26:27], off
	global_load_b32 v35, v[28:29], off
	v_add_co_u32 v20, vcc_lo, v28, s18
	s_wait_alu 0xfffd
	v_add_co_ci_u32_e64 v21, null, s19, v29, vcc_lo
	v_add_co_u32 v22, vcc_lo, v26, s18
	s_wait_alu 0xfffd
	v_add_co_ci_u32_e64 v23, null, s19, v27, vcc_lo
	global_load_b32 v36, v[20:21], off
	v_add_co_u32 v24, vcc_lo, v22, s18
	s_wait_alu 0xfffd
	v_add_co_ci_u32_e64 v25, null, s19, v23, vcc_lo
	v_add_co_u32 v20, vcc_lo, v20, s18
	s_wait_alu 0xfffd
	v_add_co_ci_u32_e64 v21, null, s19, v21, vcc_lo
	;; [unrolled: 3-line block ×4, first 2 shown]
	s_clause 0x1
	global_load_b32 v37, v[22:23], off
	global_load_b32 v24, v[24:25], off
	;; [unrolled: 1-line block ×5, first 2 shown]
	v_add_co_u32 v20, vcc_lo, v28, s18
	s_wait_alu 0xfffd
	v_add_co_ci_u32_e64 v21, null, s19, v29, vcc_lo
	v_add_co_u32 v22, vcc_lo, v26, s18
	s_wait_alu 0xfffd
	v_add_co_ci_u32_e64 v23, null, s19, v27, vcc_lo
	global_load_b32 v26, v[20:21], off
	v_add_co_u32 v20, vcc_lo, v20, s18
	s_wait_alu 0xfffd
	v_add_co_ci_u32_e64 v21, null, s19, v21, vcc_lo
	global_load_b32 v27, v[22:23], off
	global_load_b32 v28, v[20:21], off
	v_add_co_u32 v20, vcc_lo, v22, s18
	s_wait_alu 0xfffd
	v_add_co_ci_u32_e64 v21, null, s19, v23, vcc_lo
	s_wait_loadcnt 0x10
	ds_bpermute_b32 v22, v9, v19
	s_wait_loadcnt 0xf
	ds_bpermute_b32 v23, v1, v18
	ds_bpermute_b32 v29, v8, v19
	global_load_b32 v20, v[20:21], off
	ds_bpermute_b32 v21, v1, v19
	ds_bpermute_b32 v40, v9, v18
	;; [unrolled: 1-line block ×5, first 2 shown]
	v_add_co_u32 v4, vcc_lo, v4, s22
	s_add_nc_u64 s[2:3], s[2:3], s[20:21]
	s_wait_alu 0xfffd
	v_add_co_ci_u32_e64 v5, null, s23, v5, vcc_lo
	v_add_co_u32 v2, vcc_lo, v2, s20
	s_wait_alu 0xfffe
	v_cmp_lt_i64_e64 s1, s[2:3], s[16:17]
	s_wait_alu 0xfffd
	v_add_co_ci_u32_e64 v3, null, 0, v3, vcc_lo
	v_add_co_u32 v15, vcc_lo, v15, s24
	s_wait_alu 0xfffd
	v_add_co_ci_u32_e64 v16, null, s25, v16, vcc_lo
	s_and_b32 vcc_lo, exec_lo, s1
	s_wait_loadcnt 0xf
	v_add_f32_e32 v17, v17, v30
	s_wait_loadcnt_dscnt 0xe04
	v_sub_f32_e32 v21, v31, v21
	ds_bpermute_b32 v31, v8, v18
	s_wait_loadcnt 0xc
	v_sub_f32_e32 v22, v33, v22
	ds_bpermute_b32 v33, v10, v18
	v_mul_f32_e32 v21, v30, v21
	ds_bpermute_b32 v30, v12, v18
	v_dual_fmac_f32 v0, v21, v23 :: v_dual_mul_f32 v21, v32, v22
	s_wait_loadcnt 0xa
	v_sub_f32_e32 v22, v35, v29
	ds_bpermute_b32 v23, v11, v18
	ds_bpermute_b32 v29, v13, v19
	v_add_f32_e32 v17, v17, v32
	s_wait_dscnt 0x8
	v_dual_fmac_f32 v0, v21, v40 :: v_dual_mul_f32 v21, v34, v22
	s_wait_loadcnt_dscnt 0x907
	v_sub_f32_e32 v22, v36, v41
	ds_bpermute_b32 v19, v14, v19
	v_add_f32_e32 v17, v17, v34
	s_wait_dscnt 0x5
	v_fmac_f32_e32 v0, v21, v31
	s_wait_loadcnt 0x8
	v_mul_f32_e32 v21, v37, v22
	s_wait_loadcnt 0x6
	v_sub_f32_e32 v22, v25, v42
	ds_bpermute_b32 v25, v13, v18
	ds_bpermute_b32 v18, v14, v18
	s_wait_dscnt 0x6
	v_dual_fmac_f32 v0, v21, v33 :: v_dual_mul_f32 v21, v24, v22
	s_wait_loadcnt 0x4
	v_sub_f32_e32 v22, v39, v43
	s_wait_dscnt 0x4
	s_delay_alu instid0(VALU_DEP_1) | instskip(SKIP_2) | instid1(VALU_DEP_2)
	v_dual_fmac_f32 v0, v21, v23 :: v_dual_mul_f32 v21, v38, v22
	s_wait_loadcnt_dscnt 0x303
	v_sub_f32_e32 v22, v26, v29
	v_fmac_f32_e32 v0, v21, v30
	s_wait_loadcnt 0x2
	s_delay_alu instid0(VALU_DEP_2) | instskip(SKIP_1) | instid1(VALU_DEP_1)
	v_mul_f32_e32 v21, v27, v22
	s_wait_loadcnt_dscnt 0x101
	v_dual_sub_f32 v19, v28, v19 :: v_dual_fmac_f32 v0, v21, v25
	s_wait_loadcnt 0x0
	s_delay_alu instid0(VALU_DEP_1) | instskip(SKIP_1) | instid1(VALU_DEP_1)
	v_mul_f32_e32 v19, v20, v19
	s_wait_dscnt 0x0
	v_dual_add_f32 v17, v17, v37 :: v_dual_fmac_f32 v0, v19, v18
	s_delay_alu instid0(VALU_DEP_1) | instskip(NEXT) | instid1(VALU_DEP_1)
	v_add_f32_e32 v17, v17, v24
	v_add_f32_e32 v17, v17, v38
	s_delay_alu instid0(VALU_DEP_1) | instskip(NEXT) | instid1(VALU_DEP_1)
	v_add_f32_e32 v17, v17, v27
	v_add_f32_e32 v17, v17, v20
	s_wait_alu 0xfffe
	s_cbranch_vccz .LBB64_10
.LBB64_7:                               ; =>This Inner Loop Header: Depth=1
	v_dual_mov_b32 v18, 0 :: v_dual_mov_b32 v19, 0
	s_and_saveexec_b32 s1, s0
	s_cbranch_execz .LBB64_6
; %bb.8:                                ;   in Loop: Header=BB64_7 Depth=1
	v_dual_mov_b32 v19, 0 :: v_dual_mov_b32 v18, 0
	s_mov_b32 s26, exec_lo
	v_cmpx_gt_i64_e64 s[16:17], v[2:3]
	s_cbranch_execz .LBB64_5
; %bb.9:                                ;   in Loop: Header=BB64_7 Depth=1
	v_add_co_u32 v18, vcc_lo, s8, v4
	s_wait_alu 0xfffd
	v_add_co_ci_u32_e64 v19, null, s9, v5, vcc_lo
	v_add_co_u32 v20, vcc_lo, s10, v4
	s_wait_alu 0xfffd
	v_add_co_ci_u32_e64 v21, null, s11, v5, vcc_lo
	global_load_b32 v19, v[18:19], off
	global_load_b32 v18, v[20:21], off
	s_branch .LBB64_5
.LBB64_10:
	v_mov_b32_e32 v1, v7
.LBB64_11:
	s_delay_alu instid0(VALU_DEP_1) | instskip(SKIP_2) | instid1(VALU_DEP_2)
	v_mad_u32_u24 v2, v1, 33, v6
	v_lshrrev_b32_e32 v3, 5, v6
	s_mov_b32 s0, exec_lo
	v_lshl_add_u32 v4, v2, 2, 0
	s_delay_alu instid0(VALU_DEP_2)
	v_add_nc_u32_e32 v2, v3, v1
	ds_store_b32 v4, v0
	ds_store_b32 v4, v17 offset:1056
	s_wait_dscnt 0x0
	s_barrier_signal -1
	s_barrier_wait -1
	global_inv scope:SCOPE_SE
	v_cmpx_gt_u32_e32 32, v2
	s_cbranch_execz .LBB64_43
; %bb.12:
	v_and_b32_e32 v0, 31, v6
                                        ; implicit-def: $vgpr1
	s_delay_alu instid0(VALU_DEP_1)
	v_cmp_gt_u32_e64 s0, 8, v0
	v_mul_u32_u24_e32 v3, 33, v0
                                        ; implicit-def: $vgpr0
	s_wait_alu 0xfffe
	s_and_saveexec_b32 s1, s0
	s_cbranch_execz .LBB64_14
; %bb.13:
	s_delay_alu instid0(VALU_DEP_1) | instskip(NEXT) | instid1(VALU_DEP_1)
	v_add_nc_u32_e32 v0, v2, v3
	v_lshl_add_u32 v0, v0, 2, 0
	ds_load_b32 v1, v0
	ds_load_b32 v0, v0 offset:1056
.LBB64_14:
	s_wait_alu 0xfffe
	s_or_b32 exec_lo, exec_lo, s1
	v_mbcnt_lo_u32_b32 v7, -1, 0
	s_mov_b32 s2, ttmp9
	s_mov_b32 s3, 0
	v_cmp_eq_u32_e64 s1, 0, v6
	s_wait_alu 0xfffe
	s_lshl_b64 s[2:3], s[2:3], 5
	v_xor_b32_e32 v4, 4, v7
	v_xor_b32_e32 v5, 2, v7
	;; [unrolled: 1-line block ×3, first 2 shown]
	s_wait_kmcnt 0x0
	s_cmp_lg_u64 s[12:13], 0
	s_cselect_b32 s5, -1, 0
	v_cmp_gt_i32_e32 vcc_lo, 32, v4
	s_cmp_lg_u64 s[14:15], 0
	s_cselect_b32 s4, -1, 0
	s_wait_alu 0xfffd
	v_cndmask_b32_e32 v4, v7, v4, vcc_lo
	v_cmp_gt_i32_e32 vcc_lo, 32, v5
	s_wait_alu 0xfffd
	v_cndmask_b32_e32 v5, v7, v5, vcc_lo
	v_cmp_gt_i32_e32 vcc_lo, 32, v10
	s_delay_alu instid0(VALU_DEP_2)
	v_lshlrev_b32_e32 v5, 2, v5
	s_wait_alu 0xfffd
	v_dual_cndmask_b32 v7, v7, v10 :: v_dual_lshlrev_b32 v4, 2, v4
	s_wait_dscnt 0x1
	ds_bpermute_b32 v8, v4, v1
	s_wait_dscnt 0x1
	ds_bpermute_b32 v9, v4, v0
	s_wait_dscnt 0x0
	v_dual_add_f32 v1, v1, v8 :: v_dual_add_f32 v0, v0, v9
	ds_bpermute_b32 v8, v5, v1
	ds_bpermute_b32 v9, v5, v0
	s_wait_dscnt 0x0
	v_dual_add_f32 v0, v0, v9 :: v_dual_lshlrev_b32 v7, 2, v7
	ds_bpermute_b32 v9, v7, v0
	v_add_f32_e32 v1, v1, v8
	ds_bpermute_b32 v8, v7, v1
	s_wait_dscnt 0x0
	v_add_f32_e32 v6, v1, v8
	v_add_f32_e32 v8, v0, v9
	s_and_saveexec_b32 s6, s1
	s_cbranch_execz .LBB64_19
; %bb.15:
	s_wait_alu 0xfffe
	v_mov_b32_e32 v1, s3
	v_or_b32_e32 v0, s2, v2
	s_and_not1_b32 vcc_lo, exec_lo, s5
	s_delay_alu instid0(VALU_DEP_1)
	v_lshlrev_b64_e32 v[0:1], 2, v[0:1]
	s_wait_alu 0xfffe
	s_cbranch_vccnz .LBB64_17
; %bb.16:
	s_delay_alu instid0(VALU_DEP_1) | instskip(SKIP_1) | instid1(VALU_DEP_2)
	v_add_co_u32 v9, vcc_lo, s12, v0
	s_wait_alu 0xfffd
	v_add_co_ci_u32_e64 v10, null, s13, v1, vcc_lo
	global_store_b32 v[9:10], v6, off
.LBB64_17:
	s_and_not1_b32 vcc_lo, exec_lo, s4
	s_wait_alu 0xfffe
	s_cbranch_vccnz .LBB64_19
; %bb.18:
	v_add_co_u32 v0, vcc_lo, s14, v0
	s_wait_alu 0xfffd
	v_add_co_ci_u32_e64 v1, null, s15, v1, vcc_lo
	global_store_b32 v[0:1], v8, off
.LBB64_19:
	s_wait_alu 0xfffe
	s_or_b32 exec_lo, exec_lo, s6
	v_cmp_gt_u32_e32 vcc_lo, 24, v2
	s_and_b32 exec_lo, exec_lo, vcc_lo
	s_cbranch_execz .LBB64_43
; %bb.20:
	s_and_saveexec_b32 s6, s0
	s_cbranch_execz .LBB64_22
; %bb.21:
	v_add_nc_u32_e32 v0, v2, v3
	s_delay_alu instid0(VALU_DEP_1)
	v_lshl_add_u32 v0, v0, 2, 0
	ds_load_b32 v6, v0 offset:32
	ds_load_b32 v8, v0 offset:1088
.LBB64_22:
	s_wait_alu 0xfffe
	s_or_b32 exec_lo, exec_lo, s6
	s_wait_dscnt 0x1
	ds_bpermute_b32 v0, v4, v6
	s_wait_dscnt 0x1
	ds_bpermute_b32 v1, v4, v8
	s_wait_dscnt 0x0
	v_dual_add_f32 v0, v6, v0 :: v_dual_add_f32 v1, v8, v1
	ds_bpermute_b32 v6, v5, v0
	ds_bpermute_b32 v8, v5, v1
	s_wait_dscnt 0x0
	v_dual_add_f32 v0, v0, v6 :: v_dual_add_f32 v1, v1, v8
	ds_bpermute_b32 v6, v7, v0
	ds_bpermute_b32 v8, v7, v1
	s_wait_dscnt 0x0
	v_dual_add_f32 v0, v0, v6 :: v_dual_add_f32 v1, v1, v8
	s_and_saveexec_b32 s6, s1
	s_cbranch_execz .LBB64_27
; %bb.23:
	s_and_not1_b32 vcc_lo, exec_lo, s5
	s_wait_alu 0xfffe
	s_cbranch_vccnz .LBB64_25
; %bb.24:
	v_add_co_u32 v8, s7, s2, v2
	s_wait_alu 0xf1ff
	v_add_co_ci_u32_e64 v9, null, s3, 0, s7
	s_delay_alu instid0(VALU_DEP_1) | instskip(NEXT) | instid1(VALU_DEP_1)
	v_lshlrev_b64_e32 v[8:9], 2, v[8:9]
	v_add_co_u32 v8, vcc_lo, s12, v8
	s_wait_alu 0xfffd
	s_delay_alu instid0(VALU_DEP_2)
	v_add_co_ci_u32_e64 v9, null, s13, v9, vcc_lo
	global_store_b32 v[8:9], v0, off offset:32
.LBB64_25:
	s_and_not1_b32 vcc_lo, exec_lo, s4
	s_wait_alu 0xfffe
	s_cbranch_vccnz .LBB64_27
; %bb.26:
	v_add_co_u32 v8, s7, s2, v2
	s_wait_alu 0xf1ff
	v_add_co_ci_u32_e64 v9, null, s3, 0, s7
	s_delay_alu instid0(VALU_DEP_1) | instskip(NEXT) | instid1(VALU_DEP_1)
	v_lshlrev_b64_e32 v[8:9], 2, v[8:9]
	v_add_co_u32 v8, vcc_lo, s14, v8
	s_wait_alu 0xfffd
	s_delay_alu instid0(VALU_DEP_2)
	v_add_co_ci_u32_e64 v9, null, s15, v9, vcc_lo
	global_store_b32 v[8:9], v1, off offset:32
.LBB64_27:
	s_wait_alu 0xfffe
	s_or_b32 exec_lo, exec_lo, s6
	v_cmp_gt_u32_e32 vcc_lo, 16, v2
	s_and_b32 exec_lo, exec_lo, vcc_lo
	s_cbranch_execz .LBB64_43
; %bb.28:
	s_and_saveexec_b32 s6, s0
	s_cbranch_execz .LBB64_30
; %bb.29:
	v_add_nc_u32_e32 v0, v2, v3
	s_delay_alu instid0(VALU_DEP_1)
	v_lshl_add_u32 v1, v0, 2, 0
	ds_load_b32 v0, v1 offset:64
	ds_load_b32 v1, v1 offset:1120
.LBB64_30:
	s_wait_alu 0xfffe
	s_or_b32 exec_lo, exec_lo, s6
	s_wait_dscnt 0x1
	ds_bpermute_b32 v6, v4, v0
	s_wait_dscnt 0x1
	ds_bpermute_b32 v8, v4, v1
	s_wait_dscnt 0x0
	v_dual_add_f32 v0, v0, v6 :: v_dual_add_f32 v1, v1, v8
	ds_bpermute_b32 v6, v5, v0
	ds_bpermute_b32 v8, v5, v1
	s_wait_dscnt 0x0
	v_dual_add_f32 v0, v0, v6 :: v_dual_add_f32 v1, v1, v8
	ds_bpermute_b32 v6, v7, v0
	ds_bpermute_b32 v8, v7, v1
	s_wait_dscnt 0x0
	v_dual_add_f32 v0, v0, v6 :: v_dual_add_f32 v1, v1, v8
	s_and_saveexec_b32 s6, s1
	s_cbranch_execz .LBB64_35
; %bb.31:
	s_and_not1_b32 vcc_lo, exec_lo, s5
	s_wait_alu 0xfffe
	s_cbranch_vccnz .LBB64_33
; %bb.32:
	v_add_co_u32 v8, s7, s2, v2
	s_wait_alu 0xf1ff
	v_add_co_ci_u32_e64 v9, null, s3, 0, s7
	s_delay_alu instid0(VALU_DEP_1) | instskip(NEXT) | instid1(VALU_DEP_1)
	v_lshlrev_b64_e32 v[8:9], 2, v[8:9]
	v_add_co_u32 v8, vcc_lo, s12, v8
	s_wait_alu 0xfffd
	s_delay_alu instid0(VALU_DEP_2)
	v_add_co_ci_u32_e64 v9, null, s13, v9, vcc_lo
	global_store_b32 v[8:9], v0, off offset:64
.LBB64_33:
	s_and_not1_b32 vcc_lo, exec_lo, s4
	s_wait_alu 0xfffe
	s_cbranch_vccnz .LBB64_35
; %bb.34:
	v_add_co_u32 v8, s7, s2, v2
	s_wait_alu 0xf1ff
	v_add_co_ci_u32_e64 v9, null, s3, 0, s7
	s_delay_alu instid0(VALU_DEP_1) | instskip(NEXT) | instid1(VALU_DEP_1)
	v_lshlrev_b64_e32 v[8:9], 2, v[8:9]
	v_add_co_u32 v8, vcc_lo, s14, v8
	s_wait_alu 0xfffd
	s_delay_alu instid0(VALU_DEP_2)
	v_add_co_ci_u32_e64 v9, null, s15, v9, vcc_lo
	global_store_b32 v[8:9], v1, off offset:64
.LBB64_35:
	s_wait_alu 0xfffe
	s_or_b32 exec_lo, exec_lo, s6
	v_cmp_gt_u32_e32 vcc_lo, 8, v2
	s_and_b32 exec_lo, exec_lo, vcc_lo
	s_cbranch_execz .LBB64_43
; %bb.36:
	s_and_saveexec_b32 s6, s0
	s_cbranch_execz .LBB64_38
; %bb.37:
	v_add_nc_u32_e32 v0, v2, v3
	s_delay_alu instid0(VALU_DEP_1)
	v_lshl_add_u32 v1, v0, 2, 0
	ds_load_b32 v0, v1 offset:96
	ds_load_b32 v1, v1 offset:1152
.LBB64_38:
	s_wait_alu 0xfffe
	s_or_b32 exec_lo, exec_lo, s6
	s_wait_dscnt 0x1
	ds_bpermute_b32 v3, v4, v0
	s_wait_dscnt 0x1
	ds_bpermute_b32 v4, v4, v1
	s_wait_dscnt 0x0
	v_dual_add_f32 v0, v0, v3 :: v_dual_add_f32 v1, v1, v4
	ds_bpermute_b32 v3, v5, v0
	ds_bpermute_b32 v4, v5, v1
	s_wait_dscnt 0x0
	v_dual_add_f32 v3, v0, v3 :: v_dual_add_f32 v0, v1, v4
	ds_bpermute_b32 v4, v7, v3
	ds_bpermute_b32 v1, v7, v0
	s_and_b32 exec_lo, exec_lo, s1
	s_cbranch_execz .LBB64_43
; %bb.39:
	s_and_not1_b32 vcc_lo, exec_lo, s5
	s_wait_alu 0xfffe
	s_cbranch_vccnz .LBB64_41
; %bb.40:
	v_add_co_u32 v5, s0, s2, v2
	s_wait_alu 0xf1ff
	v_add_co_ci_u32_e64 v6, null, s3, 0, s0
	s_wait_dscnt 0x1
	v_add_f32_e32 v7, v3, v4
	s_delay_alu instid0(VALU_DEP_2) | instskip(NEXT) | instid1(VALU_DEP_1)
	v_lshlrev_b64_e32 v[5:6], 2, v[5:6]
	v_add_co_u32 v3, vcc_lo, s12, v5
	s_wait_alu 0xfffd
	s_delay_alu instid0(VALU_DEP_2)
	v_add_co_ci_u32_e64 v4, null, s13, v6, vcc_lo
	global_store_b32 v[3:4], v7, off offset:96
.LBB64_41:
	s_and_not1_b32 vcc_lo, exec_lo, s4
	s_wait_alu 0xfffe
	s_cbranch_vccnz .LBB64_43
; %bb.42:
	v_add_co_u32 v2, s0, s2, v2
	s_wait_alu 0xf1ff
	v_add_co_ci_u32_e64 v3, null, s3, 0, s0
	s_wait_dscnt 0x0
	v_add_f32_e32 v4, v0, v1
	s_delay_alu instid0(VALU_DEP_2) | instskip(NEXT) | instid1(VALU_DEP_1)
	v_lshlrev_b64_e32 v[2:3], 2, v[2:3]
	v_add_co_u32 v0, vcc_lo, s14, v2
	s_wait_alu 0xfffd
	s_delay_alu instid0(VALU_DEP_2)
	v_add_co_ci_u32_e64 v1, null, s15, v3, vcc_lo
	global_store_b32 v[0:1], v4, off offset:96
.LBB64_43:
	s_endpgm
	.section	.rodata,"a",@progbits
	.p2align	6, 0x0
	.amdhsa_kernel _ZN2at6native12_GLOBAL__N_135GammaBetaBackwardCUDAKernelTemplateIffLj32ELj8ELj64ELb0ELb1ELb0EEEvllPKT_S5_PKT0_S8_PS3_S9_
		.amdhsa_group_segment_fixed_size 0
		.amdhsa_private_segment_fixed_size 0
		.amdhsa_kernarg_size 320
		.amdhsa_user_sgpr_count 2
		.amdhsa_user_sgpr_dispatch_ptr 0
		.amdhsa_user_sgpr_queue_ptr 0
		.amdhsa_user_sgpr_kernarg_segment_ptr 1
		.amdhsa_user_sgpr_dispatch_id 0
		.amdhsa_user_sgpr_private_segment_size 0
		.amdhsa_wavefront_size32 1
		.amdhsa_uses_dynamic_stack 0
		.amdhsa_enable_private_segment 0
		.amdhsa_system_sgpr_workgroup_id_x 1
		.amdhsa_system_sgpr_workgroup_id_y 1
		.amdhsa_system_sgpr_workgroup_id_z 0
		.amdhsa_system_sgpr_workgroup_info 0
		.amdhsa_system_vgpr_workitem_id 1
		.amdhsa_next_free_vgpr 44
		.amdhsa_next_free_sgpr 27
		.amdhsa_reserve_vcc 1
		.amdhsa_float_round_mode_32 0
		.amdhsa_float_round_mode_16_64 0
		.amdhsa_float_denorm_mode_32 3
		.amdhsa_float_denorm_mode_16_64 3
		.amdhsa_fp16_overflow 0
		.amdhsa_workgroup_processor_mode 1
		.amdhsa_memory_ordered 1
		.amdhsa_forward_progress 1
		.amdhsa_inst_pref_size 23
		.amdhsa_round_robin_scheduling 0
		.amdhsa_exception_fp_ieee_invalid_op 0
		.amdhsa_exception_fp_denorm_src 0
		.amdhsa_exception_fp_ieee_div_zero 0
		.amdhsa_exception_fp_ieee_overflow 0
		.amdhsa_exception_fp_ieee_underflow 0
		.amdhsa_exception_fp_ieee_inexact 0
		.amdhsa_exception_int_div_zero 0
	.end_amdhsa_kernel
	.section	.text._ZN2at6native12_GLOBAL__N_135GammaBetaBackwardCUDAKernelTemplateIffLj32ELj8ELj64ELb0ELb1ELb0EEEvllPKT_S5_PKT0_S8_PS3_S9_,"axG",@progbits,_ZN2at6native12_GLOBAL__N_135GammaBetaBackwardCUDAKernelTemplateIffLj32ELj8ELj64ELb0ELb1ELb0EEEvllPKT_S5_PKT0_S8_PS3_S9_,comdat
.Lfunc_end64:
	.size	_ZN2at6native12_GLOBAL__N_135GammaBetaBackwardCUDAKernelTemplateIffLj32ELj8ELj64ELb0ELb1ELb0EEEvllPKT_S5_PKT0_S8_PS3_S9_, .Lfunc_end64-_ZN2at6native12_GLOBAL__N_135GammaBetaBackwardCUDAKernelTemplateIffLj32ELj8ELj64ELb0ELb1ELb0EEEvllPKT_S5_PKT0_S8_PS3_S9_
                                        ; -- End function
	.set _ZN2at6native12_GLOBAL__N_135GammaBetaBackwardCUDAKernelTemplateIffLj32ELj8ELj64ELb0ELb1ELb0EEEvllPKT_S5_PKT0_S8_PS3_S9_.num_vgpr, 44
	.set _ZN2at6native12_GLOBAL__N_135GammaBetaBackwardCUDAKernelTemplateIffLj32ELj8ELj64ELb0ELb1ELb0EEEvllPKT_S5_PKT0_S8_PS3_S9_.num_agpr, 0
	.set _ZN2at6native12_GLOBAL__N_135GammaBetaBackwardCUDAKernelTemplateIffLj32ELj8ELj64ELb0ELb1ELb0EEEvllPKT_S5_PKT0_S8_PS3_S9_.numbered_sgpr, 27
	.set _ZN2at6native12_GLOBAL__N_135GammaBetaBackwardCUDAKernelTemplateIffLj32ELj8ELj64ELb0ELb1ELb0EEEvllPKT_S5_PKT0_S8_PS3_S9_.num_named_barrier, 0
	.set _ZN2at6native12_GLOBAL__N_135GammaBetaBackwardCUDAKernelTemplateIffLj32ELj8ELj64ELb0ELb1ELb0EEEvllPKT_S5_PKT0_S8_PS3_S9_.private_seg_size, 0
	.set _ZN2at6native12_GLOBAL__N_135GammaBetaBackwardCUDAKernelTemplateIffLj32ELj8ELj64ELb0ELb1ELb0EEEvllPKT_S5_PKT0_S8_PS3_S9_.uses_vcc, 1
	.set _ZN2at6native12_GLOBAL__N_135GammaBetaBackwardCUDAKernelTemplateIffLj32ELj8ELj64ELb0ELb1ELb0EEEvllPKT_S5_PKT0_S8_PS3_S9_.uses_flat_scratch, 0
	.set _ZN2at6native12_GLOBAL__N_135GammaBetaBackwardCUDAKernelTemplateIffLj32ELj8ELj64ELb0ELb1ELb0EEEvllPKT_S5_PKT0_S8_PS3_S9_.has_dyn_sized_stack, 0
	.set _ZN2at6native12_GLOBAL__N_135GammaBetaBackwardCUDAKernelTemplateIffLj32ELj8ELj64ELb0ELb1ELb0EEEvllPKT_S5_PKT0_S8_PS3_S9_.has_recursion, 0
	.set _ZN2at6native12_GLOBAL__N_135GammaBetaBackwardCUDAKernelTemplateIffLj32ELj8ELj64ELb0ELb1ELb0EEEvllPKT_S5_PKT0_S8_PS3_S9_.has_indirect_call, 0
	.section	.AMDGPU.csdata,"",@progbits
; Kernel info:
; codeLenInByte = 2888
; TotalNumSgprs: 29
; NumVgprs: 44
; ScratchSize: 0
; MemoryBound: 0
; FloatMode: 240
; IeeeMode: 1
; LDSByteSize: 0 bytes/workgroup (compile time only)
; SGPRBlocks: 0
; VGPRBlocks: 5
; NumSGPRsForWavesPerEU: 29
; NumVGPRsForWavesPerEU: 44
; Occupancy: 16
; WaveLimiterHint : 0
; COMPUTE_PGM_RSRC2:SCRATCH_EN: 0
; COMPUTE_PGM_RSRC2:USER_SGPR: 2
; COMPUTE_PGM_RSRC2:TRAP_HANDLER: 0
; COMPUTE_PGM_RSRC2:TGID_X_EN: 1
; COMPUTE_PGM_RSRC2:TGID_Y_EN: 1
; COMPUTE_PGM_RSRC2:TGID_Z_EN: 0
; COMPUTE_PGM_RSRC2:TIDIG_COMP_CNT: 1
	.section	.text._ZN2at6native12_GLOBAL__N_135GammaBetaBackwardCUDAKernelTemplateIffLj32ELj8ELj64ELb0ELb0ELb0EEEvllPKT_S5_PKT0_S8_PS3_S9_,"axG",@progbits,_ZN2at6native12_GLOBAL__N_135GammaBetaBackwardCUDAKernelTemplateIffLj32ELj8ELj64ELb0ELb0ELb0EEEvllPKT_S5_PKT0_S8_PS3_S9_,comdat
	.globl	_ZN2at6native12_GLOBAL__N_135GammaBetaBackwardCUDAKernelTemplateIffLj32ELj8ELj64ELb0ELb0ELb0EEEvllPKT_S5_PKT0_S8_PS3_S9_ ; -- Begin function _ZN2at6native12_GLOBAL__N_135GammaBetaBackwardCUDAKernelTemplateIffLj32ELj8ELj64ELb0ELb0ELb0EEEvllPKT_S5_PKT0_S8_PS3_S9_
	.p2align	8
	.type	_ZN2at6native12_GLOBAL__N_135GammaBetaBackwardCUDAKernelTemplateIffLj32ELj8ELj64ELb0ELb0ELb0EEEvllPKT_S5_PKT0_S8_PS3_S9_,@function
_ZN2at6native12_GLOBAL__N_135GammaBetaBackwardCUDAKernelTemplateIffLj32ELj8ELj64ELb0ELb0ELb0EEEvllPKT_S5_PKT0_S8_PS3_S9_: ; @_ZN2at6native12_GLOBAL__N_135GammaBetaBackwardCUDAKernelTemplateIffLj32ELj8ELj64ELb0ELb0ELb0EEEvllPKT_S5_PKT0_S8_PS3_S9_
; %bb.0:
	s_clause 0x1
	s_load_b256 s[4:11], s[0:1], 0x0
	s_load_b128 s[12:15], s[0:1], 0x20
	s_lshl_b32 s30, ttmp9, 5
	s_mov_b32 s17, 0
	s_or_b32 s16, s30, 31
	s_wait_kmcnt 0x0
	v_cmp_le_i64_e64 s2, s[6:7], s[16:17]
	s_lshl_b32 s16, ttmp7, 6
	s_wait_alu 0xfffe
	v_cmp_gt_i64_e64 s31, s[4:5], s[16:17]
	s_and_b32 vcc_lo, exec_lo, s2
	v_cndmask_b32_e64 v1, 0, 1, s31
	s_delay_alu instid0(VALU_DEP_1)
	v_cmp_ne_u32_e64 s2, 1, v1
	s_cbranch_vccz .LBB65_49
; %bb.1:
	v_mov_b32_e32 v48, 0
	v_mov_b32_e32 v56, 0
	s_and_b32 vcc_lo, exec_lo, s2
	s_cbranch_vccnz .LBB65_50
; %bb.2:
	v_bfe_u32 v20, v0, 10, 10
	v_dual_mov_b32 v1, 0 :: v_dual_and_b32 v22, 0x3ff, v0
	s_load_b32 s3, s[0:1], 0x44
	s_mov_b32 s19, 0
	s_delay_alu instid0(VALU_DEP_2) | instskip(NEXT) | instid1(VALU_DEP_2)
	v_dual_mov_b32 v48, 0 :: v_dual_lshlrev_b32 v21, 3, v20
	v_dual_mov_b32 v3, v1 :: v_dual_add_nc_u32 v2, s30, v22
	s_mov_b32 s23, s19
	s_delay_alu instid0(VALU_DEP_2) | instskip(NEXT) | instid1(VALU_DEP_1)
	v_add_co_u32 v10, s2, v21, s16
	v_add_co_ci_u32_e64 v11, null, 0, 0, s2
	s_delay_alu instid0(VALU_DEP_3) | instskip(NEXT) | instid1(VALU_DEP_3)
	v_cmp_gt_i64_e64 s2, s[6:7], v[2:3]
	v_mul_lo_u32 v6, s7, v10
	v_mad_co_u64_u32 v[4:5], null, s6, v10, 0
	s_delay_alu instid0(VALU_DEP_4) | instskip(SKIP_1) | instid1(VALU_DEP_1)
	v_mul_lo_u32 v7, s6, v11
	v_add_co_u32 v8, vcc_lo, v10, 7
	v_add_co_ci_u32_e64 v9, null, 0, v11, vcc_lo
	v_lshlrev_b64_e32 v[18:19], 2, v[2:3]
	s_delay_alu instid0(VALU_DEP_3)
	v_mul_lo_u32 v12, s7, v8
	s_wait_kmcnt 0x0
	s_lshl_b32 s22, s3, 6
	v_add3_u32 v5, v5, v7, v6
	v_mad_co_u64_u32 v[6:7], null, s6, v8, 0
	v_add_co_u32 v8, vcc_lo, v10, 6
	v_mul_lo_u32 v13, s6, v9
	s_wait_alu 0xfffd
	v_add_co_ci_u32_e64 v9, null, 0, v11, vcc_lo
	v_lshlrev_b64_e32 v[2:3], 2, v[4:5]
	v_mul_lo_u32 v14, s7, v8
	v_mov_b32_e32 v57, 0
	s_delay_alu instid0(VALU_DEP_4)
	v_mul_lo_u32 v15, s6, v9
	v_mad_co_u64_u32 v[8:9], null, s6, v8, 0
	v_add_co_u32 v23, vcc_lo, s8, v2
	s_wait_alu 0xfffd
	v_add_co_ci_u32_e64 v24, null, s9, v3, vcc_lo
	v_add_co_u32 v25, vcc_lo, s10, v2
	v_add3_u32 v7, v7, v13, v12
	s_wait_alu 0xfffd
	v_add_co_ci_u32_e64 v26, null, s11, v3, vcc_lo
	v_add_co_u32 v12, vcc_lo, v10, 5
	v_add3_u32 v9, v9, v15, v14
	s_wait_alu 0xfffd
	v_add_co_ci_u32_e64 v13, null, 0, v11, vcc_lo
	v_lshlrev_b64_e32 v[2:3], 2, v[6:7]
	v_mul_lo_u32 v14, s7, v12
	v_lshlrev_b64_e32 v[6:7], 2, v[8:9]
	s_delay_alu instid0(VALU_DEP_4)
	v_mul_lo_u32 v13, s6, v13
	v_mad_co_u64_u32 v[8:9], null, s6, v12, 0
	v_add_co_u32 v27, vcc_lo, s8, v2
	s_wait_alu 0xfffd
	v_add_co_ci_u32_e64 v28, null, s9, v3, vcc_lo
	v_add_co_u32 v29, vcc_lo, s10, v2
	s_wait_alu 0xfffd
	v_add_co_ci_u32_e64 v30, null, s11, v3, vcc_lo
	v_add_co_u32 v31, vcc_lo, s8, v6
	v_add3_u32 v9, v9, v13, v14
	s_wait_alu 0xfffd
	v_add_co_ci_u32_e64 v32, null, s9, v7, vcc_lo
	v_add_co_u32 v12, vcc_lo, v10, 4
	v_add_co_u32 v33, s3, s10, v6
	s_wait_alu 0xfffd
	v_add_co_ci_u32_e64 v6, null, 0, v11, vcc_lo
	v_lshlrev_b64_e32 v[2:3], 2, v[8:9]
	v_add_co_u32 v8, vcc_lo, v10, 3
	s_wait_alu 0xfffd
	v_add_co_ci_u32_e64 v9, null, 0, v11, vcc_lo
	s_wait_alu 0xf1ff
	v_add_co_ci_u32_e64 v34, null, s11, v7, s3
	v_mul_lo_u32 v13, s7, v12
	v_mul_lo_u32 v14, s6, v6
	v_mad_co_u64_u32 v[6:7], null, s6, v12, 0
	v_mul_lo_u32 v12, s7, v8
	v_mul_lo_u32 v15, s6, v9
	v_mad_co_u64_u32 v[8:9], null, s6, v8, 0
	v_add_co_u32 v35, vcc_lo, s8, v2
	s_wait_alu 0xfffd
	v_add_co_ci_u32_e64 v36, null, s9, v3, vcc_lo
	v_add3_u32 v7, v7, v14, v13
	v_add_co_u32 v37, vcc_lo, s10, v2
	s_wait_alu 0xfffd
	v_add_co_ci_u32_e64 v38, null, s11, v3, vcc_lo
	v_add_co_u32 v10, vcc_lo, v10, 2
	v_add3_u32 v9, v9, v15, v12
	s_wait_alu 0xfffd
	v_add_co_ci_u32_e64 v11, null, 0, v11, vcc_lo
	v_lshlrev_b64_e32 v[2:3], 2, v[6:7]
	v_mul_lo_u32 v12, s7, v10
	v_lshlrev_b64_e32 v[6:7], 2, v[8:9]
	s_delay_alu instid0(VALU_DEP_4)
	v_mul_lo_u32 v11, s6, v11
	v_mad_co_u64_u32 v[8:9], null, s6, v10, 0
	v_add_co_u32 v39, vcc_lo, s8, v2
	s_wait_alu 0xfffd
	v_add_co_ci_u32_e64 v40, null, s9, v3, vcc_lo
	v_add_co_u32 v41, vcc_lo, s10, v2
	s_wait_alu 0xfffd
	v_add_co_ci_u32_e64 v42, null, s11, v3, vcc_lo
	;; [unrolled: 3-line block ×3, first 2 shown]
	v_add3_u32 v9, v9, v11, v12
	v_add_co_u32 v45, vcc_lo, s10, v6
	s_wait_alu 0xfffd
	v_add_co_ci_u32_e64 v46, null, s11, v7, vcc_lo
	v_add_co_u32 v4, vcc_lo, v4, s6
	s_wait_alu 0xfffd
	v_add_co_ci_u32_e64 v5, null, s7, v5, vcc_lo
	v_lshlrev_b64_e32 v[2:3], 2, v[8:9]
	s_mul_u64 s[24:25], s[6:7], s[22:23]
	s_add_nc_u64 s[20:21], s[0:1], 64
	s_delay_alu instid0(VALU_DEP_2)
	v_lshlrev_b64_e32 v[4:5], 2, v[4:5]
	s_lshl_b64 s[24:25], s[24:25], 2
	s_add_nc_u64 s[26:27], s[16:17], 63
	v_add_co_u32 v47, vcc_lo, s8, v2
	s_wait_alu 0xfffd
	v_add_co_ci_u32_e64 v49, null, s9, v3, vcc_lo
	v_add_co_u32 v50, vcc_lo, s10, v2
	s_wait_alu 0xfffd
	v_add_co_ci_u32_e64 v51, null, s11, v3, vcc_lo
	;; [unrolled: 3-line block ×4, first 2 shown]
	s_mov_b64 s[28:29], s[16:17]
.LBB65_3:                               ; =>This Inner Loop Header: Depth=1
	v_cmp_ge_i64_e64 s3, s[26:27], s[4:5]
	v_add_co_u32 v58, s18, v21, s26
	s_wait_alu 0xf1ff
	v_add_co_ci_u32_e64 v59, null, 0, s27, s18
                                        ; implicit-def: $vgpr2_vgpr3_vgpr4_vgpr5_vgpr6_vgpr7_vgpr8_vgpr9
                                        ; implicit-def: $vgpr61
                                        ; implicit-def: $vgpr10_vgpr11_vgpr12_vgpr13_vgpr14_vgpr15_vgpr16_vgpr17
                                        ; implicit-def: $vgpr2
	s_and_b32 vcc_lo, exec_lo, s3
	s_mov_b32 s3, -1
                                        ; implicit-def: $vgpr3
                                        ; implicit-def: $vgpr56
	s_wait_alu 0xfffe
	s_cbranch_vccz .LBB65_25
; %bb.4:                                ;   in Loop: Header=BB65_3 Depth=1
	s_load_b32 s3, s[20:21], 0xc
	v_dual_mov_b32 v60, 0 :: v_dual_mov_b32 v61, 0
	s_wait_kmcnt 0x0
	s_and_b32 s3, s3, 0xffff
	s_wait_alu 0xfffe
	v_mad_u32_u24 v2, v20, s3, v22
	s_mov_b32 s3, exec_lo
	s_delay_alu instid0(VALU_DEP_1) | instskip(NEXT) | instid1(VALU_DEP_1)
	v_and_b32_e32 v2, 31, v2
	v_cmpx_gt_u32_e32 8, v2
	s_cbranch_execz .LBB65_8
; %bb.5:                                ;   in Loop: Header=BB65_3 Depth=1
	v_add_co_u32 v2, vcc_lo, v58, v2
	s_wait_alu 0xfffd
	v_add_co_ci_u32_e64 v3, null, 0, v59, vcc_lo
	v_dual_mov_b32 v60, 0 :: v_dual_mov_b32 v61, 0
	s_delay_alu instid0(VALU_DEP_3) | instskip(SKIP_1) | instid1(VALU_DEP_3)
	v_add_co_u32 v2, vcc_lo, 0xffffffc1, v2
	s_wait_alu 0xfffd
	v_add_co_ci_u32_e64 v3, null, -1, v3, vcc_lo
	s_mov_b32 s18, exec_lo
	v_cmpx_gt_i64_e64 s[4:5], v[2:3]
	s_cbranch_execz .LBB65_7
; %bb.6:                                ;   in Loop: Header=BB65_3 Depth=1
	v_lshlrev_b64_e32 v[2:3], 2, v[2:3]
	s_delay_alu instid0(VALU_DEP_1) | instskip(SKIP_1) | instid1(VALU_DEP_2)
	v_add_co_u32 v4, vcc_lo, s12, v2
	s_wait_alu 0xfffd
	v_add_co_ci_u32_e64 v5, null, s13, v3, vcc_lo
	v_add_co_u32 v2, vcc_lo, s14, v2
	s_wait_alu 0xfffd
	v_add_co_ci_u32_e64 v3, null, s15, v3, vcc_lo
	global_load_b32 v60, v[4:5], off
	global_load_b32 v61, v[2:3], off
.LBB65_7:                               ;   in Loop: Header=BB65_3 Depth=1
	s_wait_alu 0xfffe
	s_or_b32 exec_lo, exec_lo, s18
.LBB65_8:                               ;   in Loop: Header=BB65_3 Depth=1
	s_wait_alu 0xfffe
	s_or_b32 exec_lo, exec_lo, s3
	v_add_co_u32 v9, vcc_lo, 0xffffffc1, v58
	s_wait_alu 0xfffd
	v_add_co_ci_u32_e64 v10, null, -1, v59, vcc_lo
	v_mov_b32_e32 v8, v1
	v_dual_mov_b32 v2, v1 :: v_dual_mov_b32 v3, v1
	v_dual_mov_b32 v4, v1 :: v_dual_mov_b32 v5, v1
	;; [unrolled: 1-line block ×3, first 2 shown]
	v_cmp_gt_i64_e32 vcc_lo, s[4:5], v[9:10]
	s_delay_alu instid0(VALU_DEP_3) | instskip(NEXT) | instid1(VALU_DEP_3)
	v_dual_mov_b32 v17, v8 :: v_dual_mov_b32 v14, v5
	v_dual_mov_b32 v15, v6 :: v_dual_mov_b32 v16, v7
	v_dual_mov_b32 v13, v4 :: v_dual_mov_b32 v12, v3
	v_dual_mov_b32 v11, v2 :: v_dual_mov_b32 v10, v1
	v_mov_b32_e32 v9, v8
	v_mov_b32_e32 v8, v7
	;; [unrolled: 1-line block ×8, first 2 shown]
	s_and_b32 s18, s2, vcc_lo
	s_wait_alu 0xfffe
	s_and_saveexec_b32 s3, s18
	s_cbranch_execz .LBB65_10
; %bb.9:                                ;   in Loop: Header=BB65_3 Depth=1
	v_add_co_u32 v2, vcc_lo, v23, v18
	s_wait_alu 0xfffd
	v_add_co_ci_u32_e64 v3, null, v24, v19, vcc_lo
	v_add_co_u32 v4, vcc_lo, v25, v18
	s_wait_alu 0xfffd
	v_add_co_ci_u32_e64 v5, null, v26, v19, vcc_lo
	global_load_b32 v2, v[2:3], off
	global_load_b32 v10, v[4:5], off
	v_dual_mov_b32 v3, v1 :: v_dual_mov_b32 v4, v1
	v_dual_mov_b32 v5, v1 :: v_dual_mov_b32 v6, v1
	;; [unrolled: 1-line block ×6, first 2 shown]
	v_mov_b32_e32 v15, v1
	v_mov_b32_e32 v17, v1
.LBB65_10:                              ;   in Loop: Header=BB65_3 Depth=1
	s_wait_alu 0xfffe
	s_or_b32 exec_lo, exec_lo, s3
	v_add_co_u32 v62, vcc_lo, 0xffffffc2, v58
	s_wait_alu 0xfffd
	v_add_co_ci_u32_e64 v63, null, -1, v59, vcc_lo
	s_delay_alu instid0(VALU_DEP_1)
	v_cmp_gt_i64_e32 vcc_lo, s[4:5], v[62:63]
	s_and_b32 s18, s2, vcc_lo
	s_wait_alu 0xfffe
	s_and_saveexec_b32 s3, s18
	s_cbranch_execz .LBB65_12
; %bb.11:                               ;   in Loop: Header=BB65_3 Depth=1
	v_add_co_u32 v62, vcc_lo, v52, v18
	s_wait_alu 0xfffd
	v_add_co_ci_u32_e64 v63, null, v53, v19, vcc_lo
	v_add_co_u32 v64, vcc_lo, v54, v18
	s_wait_alu 0xfffd
	v_add_co_ci_u32_e64 v65, null, v55, v19, vcc_lo
	global_load_b32 v3, v[62:63], off
	global_load_b32 v11, v[64:65], off
.LBB65_12:                              ;   in Loop: Header=BB65_3 Depth=1
	s_wait_alu 0xfffe
	s_or_b32 exec_lo, exec_lo, s3
	v_add_co_u32 v62, vcc_lo, 0xffffffc3, v58
	s_wait_alu 0xfffd
	v_add_co_ci_u32_e64 v63, null, -1, v59, vcc_lo
	s_delay_alu instid0(VALU_DEP_1)
	v_cmp_gt_i64_e32 vcc_lo, s[4:5], v[62:63]
	s_and_b32 s18, s2, vcc_lo
	s_wait_alu 0xfffe
	s_and_saveexec_b32 s3, s18
	s_cbranch_execz .LBB65_14
; %bb.13:                               ;   in Loop: Header=BB65_3 Depth=1
	v_add_co_u32 v62, vcc_lo, v47, v18
	s_wait_alu 0xfffd
	v_add_co_ci_u32_e64 v63, null, v49, v19, vcc_lo
	v_add_co_u32 v64, vcc_lo, v50, v18
	s_wait_alu 0xfffd
	v_add_co_ci_u32_e64 v65, null, v51, v19, vcc_lo
	global_load_b32 v4, v[62:63], off
	global_load_b32 v12, v[64:65], off
.LBB65_14:                              ;   in Loop: Header=BB65_3 Depth=1
	;; [unrolled: 21-line block ×7, first 2 shown]
	s_wait_alu 0xfffe
	s_or_b32 exec_lo, exec_lo, s3
	s_wait_loadcnt 0x1
	ds_bpermute_b32 v56, v1, v60
	ds_bpermute_b32 v62, v1, v60 offset:4
	ds_bpermute_b32 v63, v1, v60 offset:8
	s_wait_loadcnt 0x0
	ds_bpermute_b32 v64, v1, v61
	ds_bpermute_b32 v65, v1, v60 offset:12
	ds_bpermute_b32 v66, v1, v61 offset:4
	;; [unrolled: 1-line block ×6, first 2 shown]
	s_mov_b32 s3, 0
	s_wait_dscnt 0x9
	v_dual_add_f32 v69, v48, v2 :: v_dual_sub_f32 v10, v10, v56
	s_wait_dscnt 0x7
	v_dual_sub_f32 v11, v11, v62 :: v_dual_sub_f32 v12, v12, v63
	ds_bpermute_b32 v62, v1, v60 offset:24
	ds_bpermute_b32 v63, v1, v61 offset:20
	v_dual_mul_f32 v2, v2, v10 :: v_dual_mul_f32 v11, v3, v11
	ds_bpermute_b32 v10, v1, v61 offset:16
	v_dual_mul_f32 v12, v4, v12 :: v_dual_add_f32 v3, v3, v69
	s_wait_dscnt 0x9
	v_fma_f32 v56, v2, v64, v57
	s_wait_dscnt 0x8
	v_sub_f32_e32 v2, v13, v65
	ds_bpermute_b32 v64, v1, v61 offset:24
	ds_bpermute_b32 v61, v1, v61 offset:28
	s_wait_dscnt 0x9
	v_dual_add_f32 v3, v4, v3 :: v_dual_fmac_f32 v56, v11, v66
	s_wait_dscnt 0x8
	v_sub_f32_e32 v11, v14, v67
	v_mul_f32_e32 v13, v5, v2
	ds_bpermute_b32 v2, v1, v60 offset:28
	s_wait_dscnt 0x6
	v_sub_f32_e32 v4, v15, v71
	v_dual_fmac_f32 v56, v12, v68 :: v_dual_mul_f32 v11, v6, v11
	v_add_f32_e32 v3, v5, v3
	s_wait_dscnt 0x5
	s_delay_alu instid0(VALU_DEP_3) | instskip(NEXT) | instid1(VALU_DEP_2)
	v_dual_sub_f32 v5, v16, v62 :: v_dual_mul_f32 v4, v7, v4
	v_dual_fmac_f32 v56, v13, v70 :: v_dual_add_f32 v3, v6, v3
	s_wait_dscnt 0x3
	s_delay_alu instid0(VALU_DEP_1) | instskip(NEXT) | instid1(VALU_DEP_1)
	v_dual_mul_f32 v5, v8, v5 :: v_dual_fmac_f32 v56, v11, v10
	v_fmac_f32_e32 v56, v4, v63
	s_wait_dscnt 0x2
	s_delay_alu instid0(VALU_DEP_1) | instskip(NEXT) | instid1(VALU_DEP_1)
	v_dual_add_f32 v3, v7, v3 :: v_dual_fmac_f32 v56, v5, v64
	v_add_f32_e32 v3, v8, v3
.LBB65_25:                              ;   in Loop: Header=BB65_3 Depth=1
	s_wait_alu 0xfffe
	s_and_b32 vcc_lo, exec_lo, s3
	s_wait_alu 0xfffe
	s_cbranch_vccz .LBB65_40
; %bb.26:                               ;   in Loop: Header=BB65_3 Depth=1
	s_load_b32 s3, s[20:21], 0x0
	v_mov_b32_e32 v60, 0
	v_mov_b32_e32 v56, 0
	s_wait_kmcnt 0x0
	s_cmp_lt_u32 ttmp9, s3
	s_cselect_b32 s18, 12, 18
	s_wait_alu 0xfffe
	s_add_nc_u64 s[34:35], s[20:21], s[18:19]
	s_load_u16 s3, s[34:35], 0x0
	s_wait_dscnt 0x0
	s_wait_kmcnt 0x0
	v_mad_u32_u24 v2, v20, s3, v22
	s_mov_b32 s3, exec_lo
	s_delay_alu instid0(VALU_DEP_1) | instskip(NEXT) | instid1(VALU_DEP_1)
	v_and_b32_e32 v2, 31, v2
	v_cmpx_gt_u32_e32 8, v2
	s_cbranch_execz .LBB65_30
; %bb.27:                               ;   in Loop: Header=BB65_3 Depth=1
	v_add_co_u32 v2, vcc_lo, v58, v2
	s_wait_alu 0xfffd
	v_add_co_ci_u32_e64 v3, null, 0, v59, vcc_lo
	v_mov_b32_e32 v56, 0
	s_delay_alu instid0(VALU_DEP_3) | instskip(SKIP_1) | instid1(VALU_DEP_3)
	v_add_co_u32 v2, vcc_lo, 0xffffffc1, v2
	s_wait_alu 0xfffd
	v_add_co_ci_u32_e64 v3, null, -1, v3, vcc_lo
	v_mov_b32_e32 v60, 0
	s_mov_b32 s18, exec_lo
	s_delay_alu instid0(VALU_DEP_2)
	v_cmpx_gt_i64_e64 s[4:5], v[2:3]
	s_cbranch_execz .LBB65_29
; %bb.28:                               ;   in Loop: Header=BB65_3 Depth=1
	v_lshlrev_b64_e32 v[2:3], 2, v[2:3]
	s_delay_alu instid0(VALU_DEP_1) | instskip(SKIP_1) | instid1(VALU_DEP_2)
	v_add_co_u32 v4, vcc_lo, s12, v2
	s_wait_alu 0xfffd
	v_add_co_ci_u32_e64 v5, null, s13, v3, vcc_lo
	v_add_co_u32 v2, vcc_lo, s14, v2
	s_wait_alu 0xfffd
	v_add_co_ci_u32_e64 v3, null, s15, v3, vcc_lo
	global_load_b32 v56, v[4:5], off
	global_load_b32 v60, v[2:3], off
.LBB65_29:                              ;   in Loop: Header=BB65_3 Depth=1
	s_wait_alu 0xfffe
	s_or_b32 exec_lo, exec_lo, s18
.LBB65_30:                              ;   in Loop: Header=BB65_3 Depth=1
	s_wait_alu 0xfffe
	s_or_b32 exec_lo, exec_lo, s3
	v_mov_b32_e32 v8, v1
	v_dual_mov_b32 v2, v1 :: v_dual_mov_b32 v3, v1
	v_dual_mov_b32 v4, v1 :: v_dual_mov_b32 v5, v1
	;; [unrolled: 1-line block ×3, first 2 shown]
	s_delay_alu instid0(VALU_DEP_4) | instskip(NEXT) | instid1(VALU_DEP_3)
	v_mov_b32_e32 v17, v8
	v_dual_mov_b32 v13, v4 :: v_dual_mov_b32 v12, v3
	s_delay_alu instid0(VALU_DEP_3) | instskip(NEXT) | instid1(VALU_DEP_4)
	v_dual_mov_b32 v15, v6 :: v_dual_mov_b32 v14, v5
	v_dual_mov_b32 v16, v7 :: v_dual_mov_b32 v11, v2
	;; [unrolled: 1-line block ×3, first 2 shown]
	v_mov_b32_e32 v8, v7
	v_mov_b32_e32 v7, v6
	v_mov_b32_e32 v6, v5
	v_mov_b32_e32 v5, v4
	v_mov_b32_e32 v4, v3
	v_mov_b32_e32 v3, v2
	v_mov_b32_e32 v2, v1
	s_and_saveexec_b32 s3, s2
	s_cbranch_execnz .LBB65_42
; %bb.31:                               ;   in Loop: Header=BB65_3 Depth=1
	s_wait_alu 0xfffe
	s_or_b32 exec_lo, exec_lo, s3
	s_and_saveexec_b32 s3, s2
	s_cbranch_execnz .LBB65_43
.LBB65_32:                              ;   in Loop: Header=BB65_3 Depth=1
	s_wait_alu 0xfffe
	s_or_b32 exec_lo, exec_lo, s3
	s_and_saveexec_b32 s3, s2
	s_cbranch_execnz .LBB65_44
.LBB65_33:                              ;   in Loop: Header=BB65_3 Depth=1
	s_wait_alu 0xfffe
	s_or_b32 exec_lo, exec_lo, s3
	s_and_saveexec_b32 s3, s2
	s_cbranch_execnz .LBB65_45
.LBB65_34:                              ;   in Loop: Header=BB65_3 Depth=1
	s_wait_alu 0xfffe
	s_or_b32 exec_lo, exec_lo, s3
	s_and_saveexec_b32 s3, s2
	s_cbranch_execnz .LBB65_46
.LBB65_35:                              ;   in Loop: Header=BB65_3 Depth=1
	s_wait_alu 0xfffe
	s_or_b32 exec_lo, exec_lo, s3
	s_and_saveexec_b32 s3, s2
	s_cbranch_execnz .LBB65_47
.LBB65_36:                              ;   in Loop: Header=BB65_3 Depth=1
	s_wait_alu 0xfffe
	s_or_b32 exec_lo, exec_lo, s3
	s_and_saveexec_b32 s3, s2
	s_cbranch_execnz .LBB65_48
.LBB65_37:                              ;   in Loop: Header=BB65_3 Depth=1
	s_wait_alu 0xfffe
	s_or_b32 exec_lo, exec_lo, s3
	s_and_saveexec_b32 s3, s2
	s_cbranch_execz .LBB65_39
.LBB65_38:                              ;   in Loop: Header=BB65_3 Depth=1
	v_add_co_u32 v58, vcc_lo, v27, v18
	s_wait_alu 0xfffd
	v_add_co_ci_u32_e64 v59, null, v28, v19, vcc_lo
	v_add_co_u32 v61, vcc_lo, v29, v18
	s_wait_alu 0xfffd
	v_add_co_ci_u32_e64 v62, null, v30, v19, vcc_lo
	global_load_b32 v9, v[58:59], off
	global_load_b32 v17, v[61:62], off
.LBB65_39:                              ;   in Loop: Header=BB65_3 Depth=1
	s_wait_alu 0xfffe
	s_or_b32 exec_lo, exec_lo, s3
	s_wait_loadcnt 0x1
	ds_bpermute_b32 v58, v1, v56
	ds_bpermute_b32 v59, v1, v56 offset:4
	ds_bpermute_b32 v61, v1, v56 offset:8
	s_wait_loadcnt 0x0
	ds_bpermute_b32 v62, v1, v60
	ds_bpermute_b32 v63, v1, v56 offset:12
	ds_bpermute_b32 v64, v1, v60 offset:4
	;; [unrolled: 1-line block ×5, first 2 shown]
	s_wait_dscnt 0x7
	v_dual_sub_f32 v10, v10, v58 :: v_dual_sub_f32 v11, v11, v59
	ds_bpermute_b32 v58, v1, v60 offset:12
	ds_bpermute_b32 v59, v1, v60 offset:20
	s_wait_dscnt 0x6
	v_dual_sub_f32 v13, v13, v63 :: v_dual_mul_f32 v10, v2, v10
	v_dual_mul_f32 v11, v3, v11 :: v_dual_add_f32 v2, v48, v2
	ds_bpermute_b32 v48, v1, v60 offset:16
	v_dual_sub_f32 v12, v12, v61 :: v_dual_fmac_f32 v57, v10, v62
	ds_bpermute_b32 v10, v1, v56 offset:24
	s_wait_dscnt 0x6
	v_dual_add_f32 v2, v3, v2 :: v_dual_sub_f32 v3, v14, v65
	v_mul_f32_e32 v12, v4, v12
	v_fmac_f32_e32 v57, v11, v64
	s_delay_alu instid0(VALU_DEP_3)
	v_dual_mul_f32 v11, v5, v13 :: v_dual_add_f32 v4, v4, v2
	ds_bpermute_b32 v61, v1, v60 offset:28
	ds_bpermute_b32 v2, v1, v56 offset:28
	s_wait_dscnt 0x7
	v_fmac_f32_e32 v57, v12, v66
	ds_bpermute_b32 v12, v1, v60 offset:24
	s_wait_dscnt 0x7
	v_dual_add_f32 v4, v5, v4 :: v_dual_sub_f32 v13, v15, v67
	s_wait_dscnt 0x6
	s_delay_alu instid0(VALU_DEP_1) | instskip(SKIP_1) | instid1(VALU_DEP_3)
	v_dual_fmac_f32 v57, v11, v58 :: v_dual_add_f32 v4, v6, v4
	v_mul_f32_e32 v3, v6, v3
	v_mul_f32_e32 v5, v7, v13
	s_delay_alu instid0(VALU_DEP_3) | instskip(SKIP_1) | instid1(VALU_DEP_3)
	v_add_f32_e32 v4, v7, v4
	s_wait_dscnt 0x4
	v_fmac_f32_e32 v57, v3, v48
	s_wait_dscnt 0x3
	v_sub_f32_e32 v3, v16, v10
	s_delay_alu instid0(VALU_DEP_2) | instskip(NEXT) | instid1(VALU_DEP_2)
	v_fmac_f32_e32 v57, v5, v59
	v_mul_f32_e32 v3, v8, v3
	s_wait_dscnt 0x0
	s_delay_alu instid0(VALU_DEP_1) | instskip(NEXT) | instid1(VALU_DEP_1)
	v_fmac_f32_e32 v57, v3, v12
	v_dual_add_f32 v3, v8, v4 :: v_dual_mov_b32 v56, v57
.LBB65_40:                              ;   in Loop: Header=BB65_3 Depth=1
	v_add_co_u32 v23, vcc_lo, v23, s24
	s_wait_alu 0xfffd
	v_add_co_ci_u32_e64 v24, null, s25, v24, vcc_lo
	v_add_co_u32 v25, vcc_lo, v25, s24
	s_wait_alu 0xfffd
	v_add_co_ci_u32_e64 v26, null, s25, v26, vcc_lo
	;; [unrolled: 3-line block ×10, first 2 shown]
	v_add_co_u32 v43, vcc_lo, v43, s24
	s_wait_dscnt 0x0
	v_sub_f32_e32 v2, v17, v2
	s_wait_alu 0xfffd
	v_add_co_ci_u32_e64 v44, null, s25, v44, vcc_lo
	v_add_co_u32 v45, vcc_lo, v45, s24
	s_wait_alu 0xfffd
	v_add_co_ci_u32_e64 v46, null, s25, v46, vcc_lo
	v_add_co_u32 v47, vcc_lo, v47, s24
	s_wait_alu 0xfffd
	v_add_co_ci_u32_e64 v49, null, s25, v49, vcc_lo
	v_add_co_u32 v50, vcc_lo, v50, s24
	s_add_nc_u64 s[28:29], s[28:29], s[22:23]
	v_mul_f32_e32 v2, v9, v2
	s_wait_alu 0xfffd
	v_add_co_ci_u32_e64 v51, null, s25, v51, vcc_lo
	v_add_co_u32 v52, vcc_lo, v52, s24
	s_wait_alu 0xfffe
	v_cmp_lt_i64_e64 s3, s[28:29], s[4:5]
	s_wait_alu 0xfffd
	v_add_co_ci_u32_e64 v53, null, s25, v53, vcc_lo
	v_add_co_u32 v54, vcc_lo, v54, s24
	v_add_f32_e32 v48, v3, v9
	v_fmac_f32_e32 v56, v2, v61
	s_wait_alu 0xfffd
	v_add_co_ci_u32_e64 v55, null, s25, v55, vcc_lo
	s_and_b32 vcc_lo, exec_lo, s3
	s_add_nc_u64 s[26:27], s[26:27], s[22:23]
	s_wait_alu 0xfffe
	s_cbranch_vccz .LBB65_50
; %bb.41:                               ;   in Loop: Header=BB65_3 Depth=1
	v_mov_b32_e32 v57, v56
	s_branch .LBB65_3
.LBB65_42:                              ;   in Loop: Header=BB65_3 Depth=1
	v_add_co_u32 v2, vcc_lo, v23, v18
	s_wait_alu 0xfffd
	v_add_co_ci_u32_e64 v3, null, v24, v19, vcc_lo
	v_add_co_u32 v4, vcc_lo, v25, v18
	s_wait_alu 0xfffd
	v_add_co_ci_u32_e64 v5, null, v26, v19, vcc_lo
	global_load_b32 v2, v[2:3], off
	global_load_b32 v10, v[4:5], off
	v_dual_mov_b32 v3, v1 :: v_dual_mov_b32 v4, v1
	v_dual_mov_b32 v5, v1 :: v_dual_mov_b32 v6, v1
	;; [unrolled: 1-line block ×6, first 2 shown]
	v_mov_b32_e32 v15, v1
	v_mov_b32_e32 v17, v1
	s_wait_alu 0xfffe
	s_or_b32 exec_lo, exec_lo, s3
	s_and_saveexec_b32 s3, s2
	s_cbranch_execz .LBB65_32
.LBB65_43:                              ;   in Loop: Header=BB65_3 Depth=1
	v_add_co_u32 v58, vcc_lo, v52, v18
	s_wait_alu 0xfffd
	v_add_co_ci_u32_e64 v59, null, v53, v19, vcc_lo
	v_add_co_u32 v61, vcc_lo, v54, v18
	s_wait_alu 0xfffd
	v_add_co_ci_u32_e64 v62, null, v55, v19, vcc_lo
	global_load_b32 v3, v[58:59], off
	global_load_b32 v11, v[61:62], off
	s_wait_alu 0xfffe
	s_or_b32 exec_lo, exec_lo, s3
	s_and_saveexec_b32 s3, s2
	s_cbranch_execz .LBB65_33
.LBB65_44:                              ;   in Loop: Header=BB65_3 Depth=1
	v_add_co_u32 v58, vcc_lo, v47, v18
	s_wait_alu 0xfffd
	v_add_co_ci_u32_e64 v59, null, v49, v19, vcc_lo
	v_add_co_u32 v61, vcc_lo, v50, v18
	s_wait_alu 0xfffd
	v_add_co_ci_u32_e64 v62, null, v51, v19, vcc_lo
	global_load_b32 v4, v[58:59], off
	global_load_b32 v12, v[61:62], off
	s_wait_alu 0xfffe
	s_or_b32 exec_lo, exec_lo, s3
	s_and_saveexec_b32 s3, s2
	s_cbranch_execz .LBB65_34
.LBB65_45:                              ;   in Loop: Header=BB65_3 Depth=1
	v_add_co_u32 v58, vcc_lo, v43, v18
	s_wait_alu 0xfffd
	v_add_co_ci_u32_e64 v59, null, v44, v19, vcc_lo
	v_add_co_u32 v61, vcc_lo, v45, v18
	s_wait_alu 0xfffd
	v_add_co_ci_u32_e64 v62, null, v46, v19, vcc_lo
	global_load_b32 v5, v[58:59], off
	global_load_b32 v13, v[61:62], off
	s_wait_alu 0xfffe
	s_or_b32 exec_lo, exec_lo, s3
	s_and_saveexec_b32 s3, s2
	s_cbranch_execz .LBB65_35
.LBB65_46:                              ;   in Loop: Header=BB65_3 Depth=1
	v_add_co_u32 v58, vcc_lo, v39, v18
	s_wait_alu 0xfffd
	v_add_co_ci_u32_e64 v59, null, v40, v19, vcc_lo
	v_add_co_u32 v61, vcc_lo, v41, v18
	s_wait_alu 0xfffd
	v_add_co_ci_u32_e64 v62, null, v42, v19, vcc_lo
	global_load_b32 v6, v[58:59], off
	global_load_b32 v14, v[61:62], off
	s_wait_alu 0xfffe
	s_or_b32 exec_lo, exec_lo, s3
	s_and_saveexec_b32 s3, s2
	s_cbranch_execz .LBB65_36
.LBB65_47:                              ;   in Loop: Header=BB65_3 Depth=1
	v_add_co_u32 v58, vcc_lo, v35, v18
	s_wait_alu 0xfffd
	v_add_co_ci_u32_e64 v59, null, v36, v19, vcc_lo
	v_add_co_u32 v61, vcc_lo, v37, v18
	s_wait_alu 0xfffd
	v_add_co_ci_u32_e64 v62, null, v38, v19, vcc_lo
	global_load_b32 v7, v[58:59], off
	global_load_b32 v15, v[61:62], off
	s_wait_alu 0xfffe
	s_or_b32 exec_lo, exec_lo, s3
	s_and_saveexec_b32 s3, s2
	s_cbranch_execz .LBB65_37
.LBB65_48:                              ;   in Loop: Header=BB65_3 Depth=1
	v_add_co_u32 v58, vcc_lo, v31, v18
	s_wait_alu 0xfffd
	v_add_co_ci_u32_e64 v59, null, v32, v19, vcc_lo
	v_add_co_u32 v61, vcc_lo, v33, v18
	s_wait_alu 0xfffd
	v_add_co_ci_u32_e64 v62, null, v34, v19, vcc_lo
	global_load_b32 v8, v[58:59], off
	global_load_b32 v16, v[61:62], off
	s_wait_alu 0xfffe
	s_or_b32 exec_lo, exec_lo, s3
	s_and_saveexec_b32 s3, s2
	s_cbranch_execnz .LBB65_38
	s_branch .LBB65_39
.LBB65_49:
                                        ; implicit-def: $vgpr48
                                        ; implicit-def: $vgpr56
	s_branch .LBB65_51
.LBB65_50:
	s_cbranch_execnz .LBB65_82
.LBB65_51:
	v_mov_b32_e32 v48, 0
	v_mov_b32_e32 v56, 0
	s_and_not1_b32 vcc_lo, exec_lo, s31
	s_wait_alu 0xfffe
	s_cbranch_vccnz .LBB65_82
; %bb.52:
	v_bfe_u32 v49, v0, 10, 10
	v_and_b32_e32 v51, 0x3ff, v0
	s_lshl_b64 s[20:21], s[16:17], 2
	s_mov_b32 s3, 0
	s_delay_alu instid0(VALU_DEP_2)
	v_dual_mov_b32 v1, 0 :: v_dual_lshlrev_b32 v50, 3, v49
	v_lshlrev_b32_e32 v8, 5, v49
	v_add_nc_u32_e32 v4, s30, v51
	s_wait_alu 0xfffe
	s_mov_b32 s19, s3
	v_mov_b32_e32 v5, v1
	v_add_co_u32 v10, s2, v50, s16
	s_wait_alu 0xf1ff
	v_add_co_ci_u32_e64 v11, null, 0, 0, s2
	s_load_b32 s2, s[0:1], 0x44
	v_mul_lo_u32 v6, s7, v10
	v_mad_co_u64_u32 v[2:3], null, s6, v10, 0
	v_mul_lo_u32 v7, s6, v11
	v_lshlrev_b64_e32 v[18:19], 2, v[4:5]
	s_delay_alu instid0(VALU_DEP_2) | instskip(SKIP_3) | instid1(VALU_DEP_3)
	v_add3_u32 v3, v3, v7, v6
	v_add_co_u32 v6, s18, v8, s20
	s_wait_alu 0xf1ff
	v_add_co_ci_u32_e64 v7, null, 0, s21, s18
	v_lshlrev_b64_e32 v[4:5], 2, v[2:3]
	s_delay_alu instid0(VALU_DEP_3) | instskip(SKIP_1) | instid1(VALU_DEP_3)
	v_add_co_u32 v8, vcc_lo, v6, 4
	s_wait_alu 0xfffd
	v_add_co_ci_u32_e64 v9, null, 0, v7, vcc_lo
	s_wait_kmcnt 0x0
	s_lshl_b32 s18, s2, 6
	v_add_co_u32 v52, vcc_lo, s8, v4
	s_wait_alu 0xfffd
	v_add_co_ci_u32_e64 v53, null, s9, v5, vcc_lo
	v_add_co_u32 v54, vcc_lo, s10, v4
	s_wait_alu 0xfffd
	v_add_co_ci_u32_e64 v55, null, s11, v5, vcc_lo
	;; [unrolled: 3-line block ×5, first 2 shown]
	v_add_co_u32 v42, vcc_lo, v6, 20
	v_mad_co_u64_u32 v[22:23], null, s6, v4, s[8:9]
	v_mul_lo_u32 v5, s6, v5
	v_mul_lo_u32 v15, s7, v4
	v_mad_co_u64_u32 v[36:37], null, s6, v4, s[10:11]
	s_wait_alu 0xfffd
	v_add_co_ci_u32_e64 v30, null, 0, v7, vcc_lo
	v_add_co_u32 v44, vcc_lo, v6, 24
	s_wait_alu 0xfffd
	v_add_co_ci_u32_e64 v32, null, 0, v7, vcc_lo
	v_add_co_u32 v6, vcc_lo, v6, 28
	v_mad_co_u64_u32 v[20:21], null, s6, v8, s[8:9]
	v_mul_lo_u32 v9, s6, v9
	v_mul_lo_u32 v12, s7, v8
	v_mad_co_u64_u32 v[34:35], null, s6, v8, s[10:11]
	s_wait_alu 0xfffd
	v_add_co_ci_u32_e64 v7, null, 0, v7, vcc_lo
	v_add_co_u32 v4, vcc_lo, v10, 7
	v_add3_u32 v23, v15, v23, v5
	v_add3_u32 v37, v15, v37, v5
	s_wait_alu 0xfffd
	v_add_co_ci_u32_e64 v5, null, 0, v11, vcc_lo
	v_mul_lo_u32 v61, s6, v7
	v_add_co_u32 v7, vcc_lo, v10, 6
	v_add3_u32 v21, v12, v21, v9
	v_add3_u32 v35, v12, v35, v9
	s_wait_alu 0xfffd
	v_add_co_ci_u32_e64 v12, null, 0, v11, vcc_lo
	v_mul_lo_u32 v8, s7, v4
	v_mul_lo_u32 v9, s6, v5
	v_mad_co_u64_u32 v[4:5], null, s6, v4, 0
	v_mad_co_u64_u32 v[24:25], null, s6, v13, s[8:9]
	v_mul_lo_u32 v17, s7, v13
	v_mul_lo_u32 v59, s6, v32
	v_mad_co_u64_u32 v[32:33], null, s6, v6, s[8:9]
	v_mul_lo_u32 v62, s7, v6
	v_mad_co_u64_u32 v[38:39], null, s6, v13, s[10:11]
	v_mad_co_u64_u32 v[46:47], null, s6, v6, s[10:11]
	v_mul_lo_u32 v13, s7, v7
	v_mul_lo_u32 v12, s6, v12
	v_mad_co_u64_u32 v[6:7], null, s6, v7, 0
	v_add3_u32 v5, v5, v9, v8
	v_add_co_u32 v8, vcc_lo, v10, 5
	v_mul_lo_u32 v48, s6, v28
	v_mad_co_u64_u32 v[28:29], null, s6, v42, s[8:9]
	v_mul_lo_u32 v57, s6, v30
	v_mul_lo_u32 v58, s7, v42
	v_mad_co_u64_u32 v[42:43], null, s6, v42, s[10:11]
	s_wait_alu 0xfffd
	v_add_co_ci_u32_e64 v9, null, 0, v11, vcc_lo
	v_add3_u32 v7, v7, v12, v13
	v_mad_co_u64_u32 v[30:31], null, s6, v44, s[8:9]
	v_mul_lo_u32 v60, s7, v44
	v_mad_co_u64_u32 v[44:45], null, s6, v44, s[10:11]
	v_lshlrev_b64_e32 v[4:5], 2, v[4:5]
	v_mul_lo_u32 v12, s7, v8
	v_mul_lo_u32 v13, s6, v9
	v_mad_co_u64_u32 v[8:9], null, s6, v8, 0
	v_lshlrev_b64_e32 v[6:7], 2, v[6:7]
	v_add3_u32 v29, v58, v29, v57
	v_add3_u32 v43, v58, v43, v57
	v_add_co_u32 v57, vcc_lo, s8, v4
	v_add3_u32 v31, v60, v31, v59
	v_add3_u32 v45, v60, v45, v59
	s_wait_alu 0xfffd
	v_add_co_ci_u32_e64 v58, null, s9, v5, vcc_lo
	v_add_co_u32 v59, vcc_lo, s10, v4
	v_add3_u32 v33, v62, v33, v61
	v_add3_u32 v47, v62, v47, v61
	s_wait_alu 0xfffd
	v_add_co_ci_u32_e64 v60, null, s11, v5, vcc_lo
	v_add_co_u32 v61, vcc_lo, s8, v6
	v_mul_lo_u32 v14, s6, v14
	v_add3_u32 v9, v9, v13, v12
	s_wait_alu 0xfffd
	v_add_co_ci_u32_e64 v62, null, s9, v7, vcc_lo
	v_add_co_u32 v12, vcc_lo, v10, 4
	v_add_co_u32 v63, s2, s10, v6
	s_wait_alu 0xfffd
	v_add_co_ci_u32_e64 v6, null, 0, v11, vcc_lo
	v_lshlrev_b64_e32 v[4:5], 2, v[8:9]
	v_add_co_u32 v8, vcc_lo, v10, 3
	s_wait_alu 0xfffd
	v_add_co_ci_u32_e64 v9, null, 0, v11, vcc_lo
	v_add3_u32 v25, v17, v25, v14
	v_add3_u32 v39, v17, v39, v14
	s_wait_alu 0xf1ff
	v_add_co_ci_u32_e64 v64, null, s11, v7, s2
	v_mul_lo_u32 v13, s7, v12
	v_mul_lo_u32 v14, s6, v6
	v_mad_co_u64_u32 v[6:7], null, s6, v12, 0
	v_mul_lo_u32 v12, s7, v8
	v_mul_lo_u32 v15, s6, v9
	v_mad_co_u64_u32 v[8:9], null, s6, v8, 0
	v_add_co_u32 v65, vcc_lo, s8, v4
	s_wait_alu 0xfffd
	v_add_co_ci_u32_e64 v66, null, s9, v5, vcc_lo
	v_add3_u32 v7, v7, v14, v13
	v_add_co_u32 v67, vcc_lo, s10, v4
	s_wait_alu 0xfffd
	v_add_co_ci_u32_e64 v68, null, s11, v5, vcc_lo
	v_add_co_u32 v10, vcc_lo, v10, 2
	v_add3_u32 v9, v9, v15, v12
	s_wait_alu 0xfffd
	v_add_co_ci_u32_e64 v11, null, 0, v11, vcc_lo
	v_lshlrev_b64_e32 v[4:5], 2, v[6:7]
	v_mul_lo_u32 v12, s7, v10
	v_lshlrev_b64_e32 v[6:7], 2, v[8:9]
	s_delay_alu instid0(VALU_DEP_4)
	v_mul_lo_u32 v11, s6, v11
	v_mad_co_u64_u32 v[8:9], null, s6, v10, 0
	v_add_co_u32 v69, vcc_lo, s8, v4
	s_wait_alu 0xfffd
	v_add_co_ci_u32_e64 v70, null, s9, v5, vcc_lo
	v_add_co_u32 v71, vcc_lo, s10, v4
	s_wait_alu 0xfffd
	v_add_co_ci_u32_e64 v72, null, s11, v5, vcc_lo
	;; [unrolled: 3-line block ×3, first 2 shown]
	v_add3_u32 v9, v9, v11, v12
	v_add_co_u32 v75, vcc_lo, s10, v6
	s_wait_alu 0xfffd
	v_add_co_ci_u32_e64 v76, null, s11, v7, vcc_lo
	v_add_co_u32 v2, vcc_lo, v2, s6
	s_wait_alu 0xfffd
	v_add_co_ci_u32_e64 v3, null, s7, v3, vcc_lo
	v_lshlrev_b64_e32 v[4:5], 2, v[8:9]
	v_mad_co_u64_u32 v[26:27], null, s6, v16, s[8:9]
	s_delay_alu instid0(VALU_DEP_3)
	v_lshlrev_b64_e32 v[2:3], 2, v[2:3]
	v_mul_lo_u32 v56, s7, v16
	v_mad_co_u64_u32 v[40:41], null, s6, v16, s[10:11]
	v_add_co_u32 v77, vcc_lo, s8, v4
	s_wait_alu 0xfffd
	v_add_co_ci_u32_e64 v78, null, s9, v5, vcc_lo
	v_add_co_u32 v79, vcc_lo, s10, v4
	s_wait_alu 0xfffd
	v_add_co_ci_u32_e64 v80, null, s11, v5, vcc_lo
	;; [unrolled: 3-line block ×3, first 2 shown]
	v_add_co_u32 v83, vcc_lo, s10, v2
	v_add3_u32 v27, v56, v27, v48
	v_add3_u32 v41, v56, v41, v48
	s_wait_alu 0xfffd
	v_add_co_ci_u32_e64 v84, null, s11, v3, vcc_lo
	v_mov_b32_e32 v56, 0
	v_mov_b32_e32 v48, 0
	s_wait_alu 0xfffe
	s_mul_u64 s[20:21], s[6:7], s[18:19]
	s_add_nc_u64 s[8:9], s[0:1], 64
	s_wait_alu 0xfffe
	s_lshl_b64 s[10:11], s[20:21], 2
	s_add_nc_u64 s[20:21], s[16:17], 63
	s_branch .LBB65_56
.LBB65_53:                              ;   in Loop: Header=BB65_56 Depth=1
	s_wait_alu 0xfffe
	s_or_b32 exec_lo, exec_lo, s22
.LBB65_54:                              ;   in Loop: Header=BB65_56 Depth=1
	s_wait_alu 0xfffe
	s_or_b32 exec_lo, exec_lo, s2
	v_add_co_u32 v2, vcc_lo, v52, v18
	s_wait_alu 0xfffd
	v_add_co_ci_u32_e64 v3, null, v53, v19, vcc_lo
	s_wait_loadcnt 0x1
	ds_bpermute_b32 v88, v1, v4
	global_load_b32 v6, v[2:3], off
	v_add_co_u32 v2, vcc_lo, v54, v18
	s_wait_alu 0xfffd
	v_add_co_ci_u32_e64 v3, null, v55, v19, vcc_lo
	global_load_b32 v7, v[2:3], off
	v_add_co_u32 v2, vcc_lo, v20, v18
	s_wait_alu 0xfffd
	v_add_co_ci_u32_e64 v3, null, v21, v19, vcc_lo
	;; [unrolled: 4-line block ×15, first 2 shown]
	global_load_b32 v3, v[2:3], off
	s_wait_loadcnt 0x10
	ds_bpermute_b32 v2, v1, v5
	s_wait_loadcnt_dscnt 0xe01
	v_sub_f32_e32 v7, v7, v88
	s_delay_alu instid0(VALU_DEP_1) | instskip(SKIP_1) | instid1(VALU_DEP_1)
	v_mul_f32_e32 v7, v6, v7
	s_wait_dscnt 0x0
	v_fmac_f32_e32 v56, v7, v2
	ds_bpermute_b32 v7, v1, v4 offset:4
	v_add_f32_e32 v2, v48, v6
	ds_bpermute_b32 v6, v1, v5 offset:4
	s_wait_loadcnt 0xd
	v_add_f32_e32 v2, v2, v8
	s_wait_loadcnt 0xb
	s_delay_alu instid0(VALU_DEP_1) | instskip(SKIP_3) | instid1(VALU_DEP_1)
	v_add_f32_e32 v2, v2, v11
	s_wait_dscnt 0x1
	v_sub_f32_e32 v7, v10, v7
	s_wait_loadcnt 0x9
	v_dual_mul_f32 v7, v8, v7 :: v_dual_add_f32 v2, v2, v13
	s_wait_dscnt 0x0
	s_delay_alu instid0(VALU_DEP_1)
	v_fmac_f32_e32 v56, v7, v6
	ds_bpermute_b32 v7, v1, v4 offset:8
	ds_bpermute_b32 v6, v1, v5 offset:8
	s_wait_loadcnt 0x7
	v_add_f32_e32 v2, v2, v15
	s_wait_dscnt 0x1
	v_sub_f32_e32 v7, v12, v7
	s_delay_alu instid0(VALU_DEP_1) | instskip(SKIP_1) | instid1(VALU_DEP_1)
	v_mul_f32_e32 v7, v11, v7
	s_wait_dscnt 0x0
	v_fmac_f32_e32 v56, v7, v6
	ds_bpermute_b32 v7, v1, v4 offset:12
	ds_bpermute_b32 v6, v1, v5 offset:12
	s_wait_loadcnt 0x5
	v_add_f32_e32 v2, v2, v17
	s_wait_loadcnt 0x3
	s_delay_alu instid0(VALU_DEP_1) | instskip(SKIP_2) | instid1(VALU_DEP_1)
	v_add_f32_e32 v2, v2, v86
	s_wait_dscnt 0x1
	v_sub_f32_e32 v7, v14, v7
	v_mul_f32_e32 v7, v13, v7
	s_wait_dscnt 0x0
	s_delay_alu instid0(VALU_DEP_1) | instskip(SKIP_4) | instid1(VALU_DEP_1)
	v_fmac_f32_e32 v56, v7, v6
	ds_bpermute_b32 v7, v1, v4 offset:16
	ds_bpermute_b32 v6, v1, v5 offset:16
	s_wait_dscnt 0x1
	v_sub_f32_e32 v7, v16, v7
	v_mul_f32_e32 v7, v15, v7
	s_wait_dscnt 0x0
	s_delay_alu instid0(VALU_DEP_1) | instskip(SKIP_4) | instid1(VALU_DEP_1)
	v_fmac_f32_e32 v56, v7, v6
	ds_bpermute_b32 v7, v1, v4 offset:20
	ds_bpermute_b32 v6, v1, v5 offset:20
	s_wait_dscnt 0x1
	v_sub_f32_e32 v7, v85, v7
	v_mul_f32_e32 v7, v17, v7
	s_wait_dscnt 0x0
	s_delay_alu instid0(VALU_DEP_1)
	v_fmac_f32_e32 v56, v7, v6
	ds_bpermute_b32 v7, v1, v4 offset:24
	ds_bpermute_b32 v4, v1, v4 offset:28
	;; [unrolled: 1-line block ×4, first 2 shown]
	s_wait_loadcnt_dscnt 0x203
	v_sub_f32_e32 v7, v87, v7
	s_wait_loadcnt_dscnt 0x2
	v_sub_f32_e32 v3, v3, v4
	s_delay_alu instid0(VALU_DEP_2) | instskip(SKIP_1) | instid1(VALU_DEP_1)
	v_mul_f32_e32 v7, v86, v7
	s_wait_dscnt 0x1
	v_dual_mul_f32 v3, v9, v3 :: v_dual_fmac_f32 v56, v7, v6
	s_wait_dscnt 0x0
	s_delay_alu instid0(VALU_DEP_1)
	v_dual_mul_f32 v3, v3, v5 :: v_dual_mov_b32 v10, v56
.LBB65_55:                              ;   in Loop: Header=BB65_56 Depth=1
	v_add_co_u32 v52, vcc_lo, v52, s10
	s_wait_alu 0xfffd
	v_add_co_ci_u32_e64 v53, null, s11, v53, vcc_lo
	v_add_co_u32 v54, vcc_lo, v54, s10
	s_wait_alu 0xfffd
	v_add_co_ci_u32_e64 v55, null, s11, v55, vcc_lo
	;; [unrolled: 3-line block ×27, first 2 shown]
	v_add_co_u32 v79, vcc_lo, v79, s10
	s_add_nc_u64 s[16:17], s[16:17], s[18:19]
	s_wait_alu 0xfffd
	v_add_co_ci_u32_e64 v80, null, s11, v80, vcc_lo
	v_add_co_u32 v81, vcc_lo, v81, s10
	s_wait_alu 0xfffe
	v_cmp_ge_i64_e64 s2, s[16:17], s[4:5]
	s_wait_alu 0xfffd
	v_add_co_ci_u32_e64 v82, null, s11, v82, vcc_lo
	v_add_co_u32 v83, vcc_lo, v83, s10
	v_add_f32_e32 v56, v10, v3
	v_add_f32_e32 v48, v2, v9
	s_wait_alu 0xfffd
	v_add_co_ci_u32_e64 v84, null, s11, v84, vcc_lo
	s_and_b32 vcc_lo, exec_lo, s2
	s_add_nc_u64 s[20:21], s[20:21], s[18:19]
	s_wait_alu 0xfffe
	s_cbranch_vccnz .LBB65_82
.LBB65_56:                              ; =>This Inner Loop Header: Depth=1
	s_wait_alu 0xfffe
	v_cmp_ge_i64_e64 s2, s[20:21], s[4:5]
	v_add_co_u32 v85, s22, v50, s20
	s_wait_alu 0xf1ff
	v_add_co_ci_u32_e64 v86, null, 0, s21, s22
                                        ; implicit-def: $vgpr9
                                        ; implicit-def: $vgpr3
                                        ; implicit-def: $vgpr2
                                        ; implicit-def: $vgpr10
	s_and_b32 vcc_lo, exec_lo, s2
	s_mov_b32 s2, -1
	s_wait_alu 0xfffe
	s_cbranch_vccz .LBB65_78
; %bb.57:                               ;   in Loop: Header=BB65_56 Depth=1
	s_load_b32 s2, s[8:9], 0xc
	v_dual_mov_b32 v88, 0 :: v_dual_mov_b32 v87, 0
	s_wait_kmcnt 0x0
	s_and_b32 s2, s2, 0xffff
	s_wait_alu 0xfffe
	v_mad_u32_u24 v2, v49, s2, v51
	s_mov_b32 s2, exec_lo
	s_delay_alu instid0(VALU_DEP_1) | instskip(NEXT) | instid1(VALU_DEP_1)
	v_and_b32_e32 v2, 31, v2
	v_cmpx_gt_u32_e32 8, v2
	s_cbranch_execz .LBB65_61
; %bb.58:                               ;   in Loop: Header=BB65_56 Depth=1
	v_add_co_u32 v2, vcc_lo, v85, v2
	s_wait_alu 0xfffd
	v_add_co_ci_u32_e64 v3, null, 0, v86, vcc_lo
	v_dual_mov_b32 v87, 0 :: v_dual_mov_b32 v88, 0
	s_delay_alu instid0(VALU_DEP_3) | instskip(SKIP_1) | instid1(VALU_DEP_3)
	v_add_co_u32 v2, vcc_lo, 0xffffffc1, v2
	s_wait_alu 0xfffd
	v_add_co_ci_u32_e64 v3, null, -1, v3, vcc_lo
	s_mov_b32 s22, exec_lo
	v_cmpx_gt_i64_e64 s[4:5], v[2:3]
	s_cbranch_execz .LBB65_60
; %bb.59:                               ;   in Loop: Header=BB65_56 Depth=1
	v_lshlrev_b64_e32 v[2:3], 2, v[2:3]
	s_delay_alu instid0(VALU_DEP_1) | instskip(SKIP_1) | instid1(VALU_DEP_2)
	v_add_co_u32 v4, vcc_lo, s12, v2
	s_wait_alu 0xfffd
	v_add_co_ci_u32_e64 v5, null, s13, v3, vcc_lo
	v_add_co_u32 v2, vcc_lo, s14, v2
	s_wait_alu 0xfffd
	v_add_co_ci_u32_e64 v3, null, s15, v3, vcc_lo
	global_load_b32 v87, v[4:5], off
	global_load_b32 v88, v[2:3], off
.LBB65_60:                              ;   in Loop: Header=BB65_56 Depth=1
	s_wait_alu 0xfffe
	s_or_b32 exec_lo, exec_lo, s22
.LBB65_61:                              ;   in Loop: Header=BB65_56 Depth=1
	s_wait_alu 0xfffe
	s_or_b32 exec_lo, exec_lo, s2
	v_add_co_u32 v9, vcc_lo, 0xffffffc1, v85
	s_wait_alu 0xfffd
	v_add_co_ci_u32_e64 v10, null, -1, v86, vcc_lo
	v_mov_b32_e32 v8, v1
	v_dual_mov_b32 v2, v1 :: v_dual_mov_b32 v3, v1
	v_dual_mov_b32 v4, v1 :: v_dual_mov_b32 v5, v1
	;; [unrolled: 1-line block ×3, first 2 shown]
	v_cmp_gt_i64_e32 vcc_lo, s[4:5], v[9:10]
	s_delay_alu instid0(VALU_DEP_3) | instskip(NEXT) | instid1(VALU_DEP_3)
	v_dual_mov_b32 v17, v8 :: v_dual_mov_b32 v14, v5
	v_dual_mov_b32 v15, v6 :: v_dual_mov_b32 v16, v7
	;; [unrolled: 1-line block ×4, first 2 shown]
	v_mov_b32_e32 v9, v8
	v_mov_b32_e32 v8, v7
	;; [unrolled: 1-line block ×8, first 2 shown]
	s_and_saveexec_b32 s2, vcc_lo
	s_cbranch_execz .LBB65_63
; %bb.62:                               ;   in Loop: Header=BB65_56 Depth=1
	v_add_co_u32 v2, vcc_lo, v52, v18
	s_wait_alu 0xfffd
	v_add_co_ci_u32_e64 v3, null, v53, v19, vcc_lo
	v_add_co_u32 v4, vcc_lo, v54, v18
	s_wait_alu 0xfffd
	v_add_co_ci_u32_e64 v5, null, v55, v19, vcc_lo
	global_load_b32 v2, v[2:3], off
	global_load_b32 v10, v[4:5], off
	v_dual_mov_b32 v3, v1 :: v_dual_mov_b32 v4, v1
	v_dual_mov_b32 v5, v1 :: v_dual_mov_b32 v6, v1
	;; [unrolled: 1-line block ×6, first 2 shown]
	v_mov_b32_e32 v15, v1
	v_mov_b32_e32 v17, v1
.LBB65_63:                              ;   in Loop: Header=BB65_56 Depth=1
	s_wait_alu 0xfffe
	s_or_b32 exec_lo, exec_lo, s2
	v_add_co_u32 v89, vcc_lo, 0xffffffc2, v85
	s_wait_alu 0xfffd
	v_add_co_ci_u32_e64 v90, null, -1, v86, vcc_lo
	s_mov_b32 s2, exec_lo
	v_cmpx_gt_i64_e64 s[4:5], v[89:90]
	s_cbranch_execz .LBB65_65
; %bb.64:                               ;   in Loop: Header=BB65_56 Depth=1
	v_add_co_u32 v89, vcc_lo, v81, v18
	s_wait_alu 0xfffd
	v_add_co_ci_u32_e64 v90, null, v82, v19, vcc_lo
	v_add_co_u32 v91, vcc_lo, v83, v18
	s_wait_alu 0xfffd
	v_add_co_ci_u32_e64 v92, null, v84, v19, vcc_lo
	global_load_b32 v3, v[89:90], off
	global_load_b32 v11, v[91:92], off
.LBB65_65:                              ;   in Loop: Header=BB65_56 Depth=1
	s_wait_alu 0xfffe
	s_or_b32 exec_lo, exec_lo, s2
	v_add_co_u32 v89, vcc_lo, 0xffffffc3, v85
	s_wait_alu 0xfffd
	v_add_co_ci_u32_e64 v90, null, -1, v86, vcc_lo
	s_mov_b32 s2, exec_lo
	v_cmpx_gt_i64_e64 s[4:5], v[89:90]
	s_cbranch_execz .LBB65_67
; %bb.66:                               ;   in Loop: Header=BB65_56 Depth=1
	v_add_co_u32 v89, vcc_lo, v77, v18
	s_wait_alu 0xfffd
	v_add_co_ci_u32_e64 v90, null, v78, v19, vcc_lo
	v_add_co_u32 v91, vcc_lo, v79, v18
	s_wait_alu 0xfffd
	v_add_co_ci_u32_e64 v92, null, v80, v19, vcc_lo
	global_load_b32 v4, v[89:90], off
	global_load_b32 v12, v[91:92], off
.LBB65_67:                              ;   in Loop: Header=BB65_56 Depth=1
	;; [unrolled: 18-line block ×7, first 2 shown]
	s_wait_alu 0xfffe
	s_or_b32 exec_lo, exec_lo, s2
	s_wait_loadcnt 0x1
	ds_bpermute_b32 v90, v1, v87
	s_wait_loadcnt 0x0
	ds_bpermute_b32 v89, v1, v88
	s_mov_b32 s2, 0
	s_wait_dscnt 0x1
	v_sub_f32_e32 v10, v10, v90
	ds_bpermute_b32 v90, v1, v87 offset:4
	s_wait_dscnt 0x0
	v_sub_f32_e32 v11, v11, v90
	s_delay_alu instid0(VALU_DEP_1) | instskip(SKIP_1) | instid1(VALU_DEP_2)
	v_dual_mul_f32 v11, v3, v11 :: v_dual_mul_f32 v10, v2, v10
	v_add_f32_e32 v2, v48, v2
	v_fma_f32 v10, v10, v89, v56
	ds_bpermute_b32 v89, v1, v88 offset:4
	v_add_f32_e32 v2, v3, v2
	ds_bpermute_b32 v3, v1, v88 offset:8
	v_add_f32_e32 v2, v4, v2
	s_delay_alu instid0(VALU_DEP_1) | instskip(NEXT) | instid1(VALU_DEP_1)
	v_add_f32_e32 v2, v5, v2
	v_add_f32_e32 v2, v6, v2
	s_wait_dscnt 0x1
	v_fmac_f32_e32 v10, v11, v89
	ds_bpermute_b32 v11, v1, v87 offset:8
	v_add_f32_e32 v2, v7, v2
	s_delay_alu instid0(VALU_DEP_1) | instskip(SKIP_2) | instid1(VALU_DEP_1)
	v_add_f32_e32 v2, v8, v2
	s_wait_dscnt 0x0
	v_sub_f32_e32 v11, v12, v11
	v_mul_f32_e32 v11, v4, v11
	ds_bpermute_b32 v4, v1, v87 offset:12
	v_fmac_f32_e32 v10, v11, v3
	ds_bpermute_b32 v3, v1, v88 offset:12
	s_wait_dscnt 0x1
	v_sub_f32_e32 v4, v13, v4
	s_delay_alu instid0(VALU_DEP_1) | instskip(SKIP_1) | instid1(VALU_DEP_1)
	v_mul_f32_e32 v4, v5, v4
	s_wait_dscnt 0x0
	v_fmac_f32_e32 v10, v4, v3
	ds_bpermute_b32 v4, v1, v87 offset:16
	ds_bpermute_b32 v3, v1, v88 offset:16
	s_wait_dscnt 0x1
	v_sub_f32_e32 v4, v14, v4
	s_delay_alu instid0(VALU_DEP_1) | instskip(SKIP_1) | instid1(VALU_DEP_1)
	v_mul_f32_e32 v4, v6, v4
	s_wait_dscnt 0x0
	v_fmac_f32_e32 v10, v4, v3
	ds_bpermute_b32 v4, v1, v87 offset:20
	;; [unrolled: 8-line block ×4, first 2 shown]
	ds_bpermute_b32 v3, v1, v88 offset:28
	s_wait_dscnt 0x1
	v_sub_f32_e32 v4, v17, v4
	s_delay_alu instid0(VALU_DEP_1) | instskip(SKIP_1) | instid1(VALU_DEP_1)
	v_mul_f32_e32 v4, v9, v4
	s_wait_dscnt 0x0
	v_mul_f32_e32 v3, v4, v3
.LBB65_78:                              ;   in Loop: Header=BB65_56 Depth=1
	s_wait_alu 0xfffe
	s_and_b32 vcc_lo, exec_lo, s2
	s_wait_alu 0xfffe
	s_cbranch_vccz .LBB65_55
; %bb.79:                               ;   in Loop: Header=BB65_56 Depth=1
	s_load_b32 s2, s[8:9], 0x0
	v_dual_mov_b32 v4, 0 :: v_dual_mov_b32 v5, 0
	s_wait_kmcnt 0x0
	s_cmp_lt_u32 ttmp9, s2
	s_cselect_b32 s2, 12, 18
	s_wait_alu 0xfffe
	s_add_nc_u64 s[22:23], s[8:9], s[2:3]
	s_load_u16 s2, s[22:23], 0x0
	s_wait_kmcnt 0x0
	v_mad_u32_u24 v2, v49, s2, v51
	s_mov_b32 s2, exec_lo
	s_delay_alu instid0(VALU_DEP_1) | instskip(NEXT) | instid1(VALU_DEP_1)
	v_and_b32_e32 v2, 31, v2
	v_cmpx_gt_u32_e32 8, v2
	s_cbranch_execz .LBB65_54
; %bb.80:                               ;   in Loop: Header=BB65_56 Depth=1
	v_add_co_u32 v2, vcc_lo, v85, v2
	s_wait_alu 0xfffd
	v_add_co_ci_u32_e64 v3, null, 0, v86, vcc_lo
	v_dual_mov_b32 v4, 0 :: v_dual_mov_b32 v5, 0
	s_delay_alu instid0(VALU_DEP_3) | instskip(SKIP_1) | instid1(VALU_DEP_3)
	v_add_co_u32 v2, vcc_lo, 0xffffffc1, v2
	s_wait_alu 0xfffd
	v_add_co_ci_u32_e64 v3, null, -1, v3, vcc_lo
	s_mov_b32 s22, exec_lo
	v_cmpx_gt_i64_e64 s[4:5], v[2:3]
	s_cbranch_execz .LBB65_53
; %bb.81:                               ;   in Loop: Header=BB65_56 Depth=1
	v_lshlrev_b64_e32 v[2:3], 2, v[2:3]
	s_delay_alu instid0(VALU_DEP_1) | instskip(SKIP_1) | instid1(VALU_DEP_2)
	v_add_co_u32 v4, vcc_lo, s12, v2
	s_wait_alu 0xfffd
	v_add_co_ci_u32_e64 v5, null, s13, v3, vcc_lo
	v_add_co_u32 v2, vcc_lo, s14, v2
	s_wait_alu 0xfffd
	v_add_co_ci_u32_e64 v3, null, s15, v3, vcc_lo
	global_load_b32 v4, v[4:5], off
	global_load_b32 v5, v[2:3], off
	s_branch .LBB65_53
.LBB65_82:
	v_and_b32_e32 v7, 0x3ff, v0
	v_bfe_u32 v1, v0, 10, 10
	v_bfe_u32 v0, v0, 5, 5
	s_mov_b32 s2, exec_lo
	s_delay_alu instid0(VALU_DEP_2) | instskip(NEXT) | instid1(VALU_DEP_2)
	v_mad_u32_u24 v3, v1, 33, v7
	v_add_nc_u32_e32 v2, v0, v1
	s_delay_alu instid0(VALU_DEP_2)
	v_lshl_add_u32 v0, v3, 2, 0
	ds_store_b32 v0, v56
	ds_store_b32 v0, v48 offset:1056
	s_wait_dscnt 0x0
	s_barrier_signal -1
	s_barrier_wait -1
	global_inv scope:SCOPE_SE
	v_cmpx_gt_u32_e32 32, v2
	s_cbranch_execz .LBB65_114
; %bb.83:
	s_load_b128 s[8:11], s[0:1], 0x30
	v_and_b32_e32 v0, 31, v7
                                        ; implicit-def: $vgpr1
	s_delay_alu instid0(VALU_DEP_1)
	v_cmp_gt_u32_e64 s0, 8, v0
	v_mul_u32_u24_e32 v3, 33, v0
                                        ; implicit-def: $vgpr0
	s_and_saveexec_b32 s1, s0
	s_cbranch_execz .LBB65_85
; %bb.84:
	s_delay_alu instid0(VALU_DEP_1) | instskip(NEXT) | instid1(VALU_DEP_1)
	v_add_nc_u32_e32 v0, v2, v3
	v_lshl_add_u32 v0, v0, 2, 0
	ds_load_b32 v1, v0
	ds_load_b32 v0, v0 offset:1056
.LBB65_85:
	s_or_b32 exec_lo, exec_lo, s1
	v_mbcnt_lo_u32_b32 v6, -1, 0
	s_mov_b32 s2, ttmp9
	s_mov_b32 s3, 0
	v_cmp_eq_u32_e64 s1, 0, v7
	s_wait_alu 0xfffe
	s_lshl_b64 s[2:3], s[2:3], 5
	v_xor_b32_e32 v4, 4, v6
	v_xor_b32_e32 v5, 2, v6
	;; [unrolled: 1-line block ×3, first 2 shown]
	s_wait_kmcnt 0x0
	s_cmp_lg_u64 s[8:9], 0
	s_cselect_b32 s5, -1, 0
	v_cmp_gt_i32_e32 vcc_lo, 32, v4
	s_cmp_lg_u64 s[10:11], 0
	s_cselect_b32 s4, -1, 0
	s_wait_alu 0xfffd
	v_cndmask_b32_e32 v4, v6, v4, vcc_lo
	v_cmp_gt_i32_e32 vcc_lo, 32, v5
	s_wait_alu 0xfffd
	v_cndmask_b32_e32 v5, v6, v5, vcc_lo
	v_cmp_gt_i32_e32 vcc_lo, 32, v10
	s_wait_alu 0xfffd
	v_cndmask_b32_e32 v6, v6, v10, vcc_lo
	s_delay_alu instid0(VALU_DEP_1)
	v_lshlrev_b32_e32 v6, 2, v6
	v_lshlrev_b32_e32 v5, 2, v5
	;; [unrolled: 1-line block ×3, first 2 shown]
	s_wait_dscnt 0x0
	ds_bpermute_b32 v9, v4, v0
	s_wait_dscnt 0x0
	v_add_f32_e32 v0, v0, v9
	ds_bpermute_b32 v9, v5, v0
	s_wait_dscnt 0x0
	v_add_f32_e32 v9, v0, v9
	ds_bpermute_b32 v8, v4, v1
	s_wait_alu 0xfffe
	v_or_b32_e32 v0, s2, v2
	ds_bpermute_b32 v11, v6, v9
	s_wait_dscnt 0x1
	v_add_f32_e32 v1, v1, v8
	ds_bpermute_b32 v8, v5, v1
	s_wait_dscnt 0x0
	v_dual_add_f32 v8, v1, v8 :: v_dual_mov_b32 v1, s3
	ds_bpermute_b32 v10, v6, v8
	v_cmp_gt_i64_e32 vcc_lo, s[6:7], v[0:1]
	s_and_b32 s13, s1, vcc_lo
	s_wait_dscnt 0x0
	v_dual_add_f32 v7, v8, v10 :: v_dual_add_f32 v8, v9, v11
	s_wait_alu 0xfffe
	s_and_saveexec_b32 s12, s13
	s_cbranch_execz .LBB65_90
; %bb.86:
	v_lshlrev_b64_e32 v[0:1], 2, v[0:1]
	s_and_not1_b32 vcc_lo, exec_lo, s5
	s_wait_alu 0xfffe
	s_cbranch_vccnz .LBB65_88
; %bb.87:
	s_delay_alu instid0(VALU_DEP_1)
	v_add_co_u32 v9, vcc_lo, s8, v0
	s_wait_alu 0xfffd
	v_add_co_ci_u32_e64 v10, null, s9, v1, vcc_lo
	global_store_b32 v[9:10], v7, off
.LBB65_88:
	s_and_not1_b32 vcc_lo, exec_lo, s4
	s_wait_alu 0xfffe
	s_cbranch_vccnz .LBB65_90
; %bb.89:
	v_add_co_u32 v0, vcc_lo, s10, v0
	s_wait_alu 0xfffd
	v_add_co_ci_u32_e64 v1, null, s11, v1, vcc_lo
	global_store_b32 v[0:1], v8, off
.LBB65_90:
	s_wait_alu 0xfffe
	s_or_b32 exec_lo, exec_lo, s12
	v_cmp_gt_u32_e32 vcc_lo, 24, v2
	s_and_b32 exec_lo, exec_lo, vcc_lo
	s_cbranch_execz .LBB65_114
; %bb.91:
	s_and_saveexec_b32 s12, s0
	s_cbranch_execz .LBB65_93
; %bb.92:
	v_add_nc_u32_e32 v0, v2, v3
	s_delay_alu instid0(VALU_DEP_1)
	v_lshl_add_u32 v0, v0, 2, 0
	ds_load_b32 v7, v0 offset:32
	ds_load_b32 v8, v0 offset:1088
.LBB65_93:
	s_wait_alu 0xfffe
	s_or_b32 exec_lo, exec_lo, s12
	s_wait_dscnt 0x1
	ds_bpermute_b32 v0, v4, v7
	s_wait_dscnt 0x1
	ds_bpermute_b32 v1, v4, v8
	s_wait_dscnt 0x0
	v_dual_add_f32 v0, v7, v0 :: v_dual_add_f32 v1, v8, v1
	ds_bpermute_b32 v7, v5, v0
	ds_bpermute_b32 v8, v5, v1
	s_wait_dscnt 0x0
	v_dual_add_f32 v7, v0, v7 :: v_dual_add_f32 v8, v1, v8
	v_add_nc_u32_e32 v0, 8, v2
	ds_bpermute_b32 v9, v6, v7
	ds_bpermute_b32 v10, v6, v8
	v_add_co_u32 v0, s12, s2, v0
	s_wait_alu 0xf1ff
	v_add_co_ci_u32_e64 v1, null, s3, 0, s12
	s_delay_alu instid0(VALU_DEP_1)
	v_cmp_gt_i64_e32 vcc_lo, s[6:7], v[0:1]
	s_and_b32 s13, s1, vcc_lo
	s_wait_dscnt 0x0
	v_dual_add_f32 v0, v7, v9 :: v_dual_add_f32 v1, v8, v10
	s_wait_alu 0xfffe
	s_and_saveexec_b32 s12, s13
	s_cbranch_execz .LBB65_98
; %bb.94:
	s_and_not1_b32 vcc_lo, exec_lo, s5
	s_wait_alu 0xfffe
	s_cbranch_vccnz .LBB65_96
; %bb.95:
	v_add_co_u32 v7, s13, s2, v2
	s_wait_alu 0xf1ff
	v_add_co_ci_u32_e64 v8, null, s3, 0, s13
	s_delay_alu instid0(VALU_DEP_1) | instskip(NEXT) | instid1(VALU_DEP_1)
	v_lshlrev_b64_e32 v[7:8], 2, v[7:8]
	v_add_co_u32 v7, vcc_lo, s8, v7
	s_wait_alu 0xfffd
	s_delay_alu instid0(VALU_DEP_2)
	v_add_co_ci_u32_e64 v8, null, s9, v8, vcc_lo
	global_store_b32 v[7:8], v0, off offset:32
.LBB65_96:
	s_and_not1_b32 vcc_lo, exec_lo, s4
	s_wait_alu 0xfffe
	s_cbranch_vccnz .LBB65_98
; %bb.97:
	v_add_co_u32 v7, s13, s2, v2
	s_wait_alu 0xf1ff
	v_add_co_ci_u32_e64 v8, null, s3, 0, s13
	s_delay_alu instid0(VALU_DEP_1) | instskip(NEXT) | instid1(VALU_DEP_1)
	v_lshlrev_b64_e32 v[7:8], 2, v[7:8]
	v_add_co_u32 v7, vcc_lo, s10, v7
	s_wait_alu 0xfffd
	s_delay_alu instid0(VALU_DEP_2)
	v_add_co_ci_u32_e64 v8, null, s11, v8, vcc_lo
	global_store_b32 v[7:8], v1, off offset:32
.LBB65_98:
	s_wait_alu 0xfffe
	s_or_b32 exec_lo, exec_lo, s12
	v_cmp_gt_u32_e32 vcc_lo, 16, v2
	s_and_b32 exec_lo, exec_lo, vcc_lo
	s_cbranch_execz .LBB65_114
; %bb.99:
	s_and_saveexec_b32 s12, s0
	s_cbranch_execz .LBB65_101
; %bb.100:
	v_add_nc_u32_e32 v0, v2, v3
	s_delay_alu instid0(VALU_DEP_1)
	v_lshl_add_u32 v1, v0, 2, 0
	ds_load_b32 v0, v1 offset:64
	ds_load_b32 v1, v1 offset:1120
.LBB65_101:
	s_wait_alu 0xfffe
	s_or_b32 exec_lo, exec_lo, s12
	s_wait_dscnt 0x1
	ds_bpermute_b32 v7, v4, v0
	s_wait_dscnt 0x1
	ds_bpermute_b32 v8, v4, v1
	s_wait_dscnt 0x0
	v_dual_add_f32 v0, v0, v7 :: v_dual_add_f32 v1, v1, v8
	ds_bpermute_b32 v7, v5, v0
	ds_bpermute_b32 v8, v5, v1
	s_wait_dscnt 0x0
	v_dual_add_f32 v7, v0, v7 :: v_dual_add_f32 v8, v1, v8
	v_dual_mov_b32 v1, s3 :: v_dual_add_nc_u32 v0, 16, v2
	ds_bpermute_b32 v9, v6, v7
	ds_bpermute_b32 v10, v6, v8
	v_or_b32_e32 v0, s2, v0
	s_delay_alu instid0(VALU_DEP_1)
	v_cmp_gt_i64_e32 vcc_lo, s[6:7], v[0:1]
	s_and_b32 s13, s1, vcc_lo
	s_wait_dscnt 0x0
	v_dual_add_f32 v0, v7, v9 :: v_dual_add_f32 v1, v8, v10
	s_wait_alu 0xfffe
	s_and_saveexec_b32 s12, s13
	s_cbranch_execz .LBB65_106
; %bb.102:
	s_and_not1_b32 vcc_lo, exec_lo, s5
	s_wait_alu 0xfffe
	s_cbranch_vccnz .LBB65_104
; %bb.103:
	v_add_co_u32 v7, s13, s2, v2
	s_wait_alu 0xf1ff
	v_add_co_ci_u32_e64 v8, null, s3, 0, s13
	s_delay_alu instid0(VALU_DEP_1) | instskip(NEXT) | instid1(VALU_DEP_1)
	v_lshlrev_b64_e32 v[7:8], 2, v[7:8]
	v_add_co_u32 v7, vcc_lo, s8, v7
	s_wait_alu 0xfffd
	s_delay_alu instid0(VALU_DEP_2)
	v_add_co_ci_u32_e64 v8, null, s9, v8, vcc_lo
	global_store_b32 v[7:8], v0, off offset:64
.LBB65_104:
	s_and_not1_b32 vcc_lo, exec_lo, s4
	s_wait_alu 0xfffe
	s_cbranch_vccnz .LBB65_106
; %bb.105:
	v_add_co_u32 v7, s13, s2, v2
	s_wait_alu 0xf1ff
	v_add_co_ci_u32_e64 v8, null, s3, 0, s13
	s_delay_alu instid0(VALU_DEP_1) | instskip(NEXT) | instid1(VALU_DEP_1)
	v_lshlrev_b64_e32 v[7:8], 2, v[7:8]
	v_add_co_u32 v7, vcc_lo, s10, v7
	s_wait_alu 0xfffd
	s_delay_alu instid0(VALU_DEP_2)
	v_add_co_ci_u32_e64 v8, null, s11, v8, vcc_lo
	global_store_b32 v[7:8], v1, off offset:64
.LBB65_106:
	s_wait_alu 0xfffe
	s_or_b32 exec_lo, exec_lo, s12
	v_cmp_gt_u32_e32 vcc_lo, 8, v2
	s_and_b32 exec_lo, exec_lo, vcc_lo
	s_cbranch_execz .LBB65_114
; %bb.107:
	s_and_saveexec_b32 s12, s0
	s_cbranch_execz .LBB65_109
; %bb.108:
	v_add_nc_u32_e32 v0, v2, v3
	s_delay_alu instid0(VALU_DEP_1)
	v_lshl_add_u32 v1, v0, 2, 0
	ds_load_b32 v0, v1 offset:96
	ds_load_b32 v1, v1 offset:1152
.LBB65_109:
	s_wait_alu 0xfffe
	s_or_b32 exec_lo, exec_lo, s12
	s_wait_dscnt 0x1
	ds_bpermute_b32 v3, v4, v0
	s_wait_dscnt 0x1
	ds_bpermute_b32 v4, v4, v1
	s_wait_dscnt 0x0
	v_dual_add_f32 v0, v0, v3 :: v_dual_add_f32 v1, v1, v4
	ds_bpermute_b32 v3, v5, v0
	ds_bpermute_b32 v4, v5, v1
	v_add_nc_u32_e32 v5, 24, v2
	s_wait_dscnt 0x0
	v_dual_add_f32 v3, v0, v3 :: v_dual_add_f32 v0, v1, v4
	ds_bpermute_b32 v4, v6, v3
	ds_bpermute_b32 v1, v6, v0
	v_mov_b32_e32 v6, s3
	v_or_b32_e32 v5, s2, v5
	s_delay_alu instid0(VALU_DEP_1) | instskip(SKIP_1) | instid1(SALU_CYCLE_1)
	v_cmp_gt_i64_e32 vcc_lo, s[6:7], v[5:6]
	s_and_b32 s0, s1, vcc_lo
	s_and_b32 exec_lo, exec_lo, s0
	s_cbranch_execz .LBB65_114
; %bb.110:
	s_and_not1_b32 vcc_lo, exec_lo, s5
	s_wait_alu 0xfffe
	s_cbranch_vccnz .LBB65_112
; %bb.111:
	v_add_co_u32 v5, s0, s2, v2
	s_delay_alu instid0(VALU_DEP_1) | instskip(SKIP_2) | instid1(VALU_DEP_2)
	v_add_co_ci_u32_e64 v6, null, s3, 0, s0
	s_wait_dscnt 0x1
	v_add_f32_e32 v7, v3, v4
	v_lshlrev_b64_e32 v[5:6], 2, v[5:6]
	s_delay_alu instid0(VALU_DEP_1) | instskip(SKIP_1) | instid1(VALU_DEP_2)
	v_add_co_u32 v3, vcc_lo, s8, v5
	s_wait_alu 0xfffd
	v_add_co_ci_u32_e64 v4, null, s9, v6, vcc_lo
	global_store_b32 v[3:4], v7, off offset:96
.LBB65_112:
	s_and_not1_b32 vcc_lo, exec_lo, s4
	s_wait_alu 0xfffe
	s_cbranch_vccnz .LBB65_114
; %bb.113:
	v_add_co_u32 v2, s0, s2, v2
	s_wait_alu 0xf1ff
	v_add_co_ci_u32_e64 v3, null, s3, 0, s0
	s_wait_dscnt 0x0
	v_add_f32_e32 v4, v0, v1
	s_delay_alu instid0(VALU_DEP_2) | instskip(NEXT) | instid1(VALU_DEP_1)
	v_lshlrev_b64_e32 v[2:3], 2, v[2:3]
	v_add_co_u32 v0, vcc_lo, s10, v2
	s_wait_alu 0xfffd
	s_delay_alu instid0(VALU_DEP_2)
	v_add_co_ci_u32_e64 v1, null, s11, v3, vcc_lo
	global_store_b32 v[0:1], v4, off offset:96
.LBB65_114:
	s_endpgm
	.section	.rodata,"a",@progbits
	.p2align	6, 0x0
	.amdhsa_kernel _ZN2at6native12_GLOBAL__N_135GammaBetaBackwardCUDAKernelTemplateIffLj32ELj8ELj64ELb0ELb0ELb0EEEvllPKT_S5_PKT0_S8_PS3_S9_
		.amdhsa_group_segment_fixed_size 0
		.amdhsa_private_segment_fixed_size 0
		.amdhsa_kernarg_size 320
		.amdhsa_user_sgpr_count 2
		.amdhsa_user_sgpr_dispatch_ptr 0
		.amdhsa_user_sgpr_queue_ptr 0
		.amdhsa_user_sgpr_kernarg_segment_ptr 1
		.amdhsa_user_sgpr_dispatch_id 0
		.amdhsa_user_sgpr_private_segment_size 0
		.amdhsa_wavefront_size32 1
		.amdhsa_uses_dynamic_stack 0
		.amdhsa_enable_private_segment 0
		.amdhsa_system_sgpr_workgroup_id_x 1
		.amdhsa_system_sgpr_workgroup_id_y 1
		.amdhsa_system_sgpr_workgroup_id_z 0
		.amdhsa_system_sgpr_workgroup_info 0
		.amdhsa_system_vgpr_workitem_id 1
		.amdhsa_next_free_vgpr 93
		.amdhsa_next_free_sgpr 36
		.amdhsa_reserve_vcc 1
		.amdhsa_float_round_mode_32 0
		.amdhsa_float_round_mode_16_64 0
		.amdhsa_float_denorm_mode_32 3
		.amdhsa_float_denorm_mode_16_64 3
		.amdhsa_fp16_overflow 0
		.amdhsa_workgroup_processor_mode 1
		.amdhsa_memory_ordered 1
		.amdhsa_forward_progress 1
		.amdhsa_inst_pref_size 86
		.amdhsa_round_robin_scheduling 0
		.amdhsa_exception_fp_ieee_invalid_op 0
		.amdhsa_exception_fp_denorm_src 0
		.amdhsa_exception_fp_ieee_div_zero 0
		.amdhsa_exception_fp_ieee_overflow 0
		.amdhsa_exception_fp_ieee_underflow 0
		.amdhsa_exception_fp_ieee_inexact 0
		.amdhsa_exception_int_div_zero 0
	.end_amdhsa_kernel
	.section	.text._ZN2at6native12_GLOBAL__N_135GammaBetaBackwardCUDAKernelTemplateIffLj32ELj8ELj64ELb0ELb0ELb0EEEvllPKT_S5_PKT0_S8_PS3_S9_,"axG",@progbits,_ZN2at6native12_GLOBAL__N_135GammaBetaBackwardCUDAKernelTemplateIffLj32ELj8ELj64ELb0ELb0ELb0EEEvllPKT_S5_PKT0_S8_PS3_S9_,comdat
.Lfunc_end65:
	.size	_ZN2at6native12_GLOBAL__N_135GammaBetaBackwardCUDAKernelTemplateIffLj32ELj8ELj64ELb0ELb0ELb0EEEvllPKT_S5_PKT0_S8_PS3_S9_, .Lfunc_end65-_ZN2at6native12_GLOBAL__N_135GammaBetaBackwardCUDAKernelTemplateIffLj32ELj8ELj64ELb0ELb0ELb0EEEvllPKT_S5_PKT0_S8_PS3_S9_
                                        ; -- End function
	.set _ZN2at6native12_GLOBAL__N_135GammaBetaBackwardCUDAKernelTemplateIffLj32ELj8ELj64ELb0ELb0ELb0EEEvllPKT_S5_PKT0_S8_PS3_S9_.num_vgpr, 93
	.set _ZN2at6native12_GLOBAL__N_135GammaBetaBackwardCUDAKernelTemplateIffLj32ELj8ELj64ELb0ELb0ELb0EEEvllPKT_S5_PKT0_S8_PS3_S9_.num_agpr, 0
	.set _ZN2at6native12_GLOBAL__N_135GammaBetaBackwardCUDAKernelTemplateIffLj32ELj8ELj64ELb0ELb0ELb0EEEvllPKT_S5_PKT0_S8_PS3_S9_.numbered_sgpr, 36
	.set _ZN2at6native12_GLOBAL__N_135GammaBetaBackwardCUDAKernelTemplateIffLj32ELj8ELj64ELb0ELb0ELb0EEEvllPKT_S5_PKT0_S8_PS3_S9_.num_named_barrier, 0
	.set _ZN2at6native12_GLOBAL__N_135GammaBetaBackwardCUDAKernelTemplateIffLj32ELj8ELj64ELb0ELb0ELb0EEEvllPKT_S5_PKT0_S8_PS3_S9_.private_seg_size, 0
	.set _ZN2at6native12_GLOBAL__N_135GammaBetaBackwardCUDAKernelTemplateIffLj32ELj8ELj64ELb0ELb0ELb0EEEvllPKT_S5_PKT0_S8_PS3_S9_.uses_vcc, 1
	.set _ZN2at6native12_GLOBAL__N_135GammaBetaBackwardCUDAKernelTemplateIffLj32ELj8ELj64ELb0ELb0ELb0EEEvllPKT_S5_PKT0_S8_PS3_S9_.uses_flat_scratch, 0
	.set _ZN2at6native12_GLOBAL__N_135GammaBetaBackwardCUDAKernelTemplateIffLj32ELj8ELj64ELb0ELb0ELb0EEEvllPKT_S5_PKT0_S8_PS3_S9_.has_dyn_sized_stack, 0
	.set _ZN2at6native12_GLOBAL__N_135GammaBetaBackwardCUDAKernelTemplateIffLj32ELj8ELj64ELb0ELb0ELb0EEEvllPKT_S5_PKT0_S8_PS3_S9_.has_recursion, 0
	.set _ZN2at6native12_GLOBAL__N_135GammaBetaBackwardCUDAKernelTemplateIffLj32ELj8ELj64ELb0ELb0ELb0EEEvllPKT_S5_PKT0_S8_PS3_S9_.has_indirect_call, 0
	.section	.AMDGPU.csdata,"",@progbits
; Kernel info:
; codeLenInByte = 10932
; TotalNumSgprs: 38
; NumVgprs: 93
; ScratchSize: 0
; MemoryBound: 0
; FloatMode: 240
; IeeeMode: 1
; LDSByteSize: 0 bytes/workgroup (compile time only)
; SGPRBlocks: 0
; VGPRBlocks: 11
; NumSGPRsForWavesPerEU: 38
; NumVGPRsForWavesPerEU: 93
; Occupancy: 16
; WaveLimiterHint : 0
; COMPUTE_PGM_RSRC2:SCRATCH_EN: 0
; COMPUTE_PGM_RSRC2:USER_SGPR: 2
; COMPUTE_PGM_RSRC2:TRAP_HANDLER: 0
; COMPUTE_PGM_RSRC2:TGID_X_EN: 1
; COMPUTE_PGM_RSRC2:TGID_Y_EN: 1
; COMPUTE_PGM_RSRC2:TGID_Z_EN: 0
; COMPUTE_PGM_RSRC2:TIDIG_COMP_CNT: 1
	.section	.text._ZN2at6native12_GLOBAL__N_135GammaBetaBackwardCUDAKernelTemplateIffLj32ELj16ELj128ELb0ELb1ELb0EEEvllPKT_S5_PKT0_S8_PS3_S9_,"axG",@progbits,_ZN2at6native12_GLOBAL__N_135GammaBetaBackwardCUDAKernelTemplateIffLj32ELj16ELj128ELb0ELb1ELb0EEEvllPKT_S5_PKT0_S8_PS3_S9_,comdat
	.globl	_ZN2at6native12_GLOBAL__N_135GammaBetaBackwardCUDAKernelTemplateIffLj32ELj16ELj128ELb0ELb1ELb0EEEvllPKT_S5_PKT0_S8_PS3_S9_ ; -- Begin function _ZN2at6native12_GLOBAL__N_135GammaBetaBackwardCUDAKernelTemplateIffLj32ELj16ELj128ELb0ELb1ELb0EEEvllPKT_S5_PKT0_S8_PS3_S9_
	.p2align	8
	.type	_ZN2at6native12_GLOBAL__N_135GammaBetaBackwardCUDAKernelTemplateIffLj32ELj16ELj128ELb0ELb1ELb0EEEvllPKT_S5_PKT0_S8_PS3_S9_,@function
_ZN2at6native12_GLOBAL__N_135GammaBetaBackwardCUDAKernelTemplateIffLj32ELj16ELj128ELb0ELb1ELb0EEEvllPKT_S5_PKT0_S8_PS3_S9_: ; @_ZN2at6native12_GLOBAL__N_135GammaBetaBackwardCUDAKernelTemplateIffLj32ELj16ELj128ELb0ELb1ELb0EEEvllPKT_S5_PKT0_S8_PS3_S9_
; %bb.0:
	s_load_b128 s[16:19], s[0:1], 0x0
	s_lshl_b32 s2, ttmp7, 7
	s_mov_b32 s3, 0
	v_bfe_u32 v7, v0, 10, 10
	s_wait_kmcnt 0x0
	v_cmp_gt_i64_e64 s4, s[16:17], s[2:3]
	s_and_b32 vcc_lo, exec_lo, s4
	s_cbranch_vccnz .LBB66_2
; %bb.1:
	v_bfe_u32 v1, v0, 10, 10
	s_mov_b32 s4, s3
	s_branch .LBB66_3
.LBB66_2:
	s_mov_b32 s4, -1
                                        ; implicit-def: $vgpr1
.LBB66_3:
	s_load_b128 s[12:15], s[0:1], 0x30
	v_dual_mov_b32 v17, 0 :: v_dual_and_b32 v6, 0x3ff, v0
	v_mov_b32_e32 v0, 0
	s_and_not1_b32 vcc_lo, exec_lo, s4
	s_cbranch_vccnz .LBB66_11
; %bb.4:
	s_load_b32 s20, s[0:1], 0x4c
	v_dual_mov_b32 v1, 0 :: v_dual_lshlrev_b32 v0, 3, v7
	s_clause 0x1
	s_load_b32 s22, s[0:1], 0x44
	s_load_b256 s[4:11], s[0:1], 0x10
	s_mov_b32 s21, 0
	v_dual_mov_b32 v8, 8 :: v_dual_mov_b32 v9, 4
	v_add_co_u32 v2, s0, v0, s2
	s_delay_alu instid0(VALU_DEP_1) | instskip(SKIP_1) | instid1(VALU_DEP_3)
	v_add_co_ci_u32_e64 v3, null, 0, 0, s0
	v_lshl_add_u32 v0, ttmp9, 5, v6
	v_mul_lo_u32 v14, s19, v2
	v_mad_co_u64_u32 v[4:5], null, s18, v2, 0
	s_delay_alu instid0(VALU_DEP_4) | instskip(NEXT) | instid1(VALU_DEP_4)
	v_mul_lo_u32 v17, s18, v3
	v_lshlrev_b64_e32 v[15:16], 2, v[0:1]
	v_dual_mov_b32 v10, 12 :: v_dual_mov_b32 v11, 16
	v_mov_b32_e32 v0, 0
	s_wait_kmcnt 0x0
	s_and_b32 s0, s20, 0xffff
	s_lshl_b32 s20, s22, 7
	s_wait_alu 0xfffe
	v_mad_u32_u24 v13, v7, s0, v6
	v_mov_b32_e32 v12, 20
	v_add3_u32 v5, v5, v17, v14
	s_mul_u64 s[24:25], s[18:19], s[20:21]
	s_delay_alu instid0(VALU_DEP_3) | instskip(SKIP_1) | instid1(VALU_DEP_3)
	v_dual_mov_b32 v14, 28 :: v_dual_and_b32 v19, 31, v13
	v_mov_b32_e32 v13, 24
	v_lshlrev_b64_e32 v[17:18], 2, v[4:5]
	s_lshl_b64 s[22:23], s[20:21], 2
	s_lshl_b64 s[24:25], s[24:25], 2
	v_add_co_u32 v2, vcc_lo, v2, v19
	s_delay_alu instid0(VALU_DEP_1) | instskip(NEXT) | instid1(VALU_DEP_3)
	v_add_co_ci_u32_e64 v3, null, 0, v3, vcc_lo
	v_add_co_u32 v15, vcc_lo, v17, v15
	v_cmp_gt_u32_e64 s0, 8, v19
	s_delay_alu instid0(VALU_DEP_3)
	v_lshlrev_b64_e32 v[4:5], 2, v[2:3]
	s_wait_alu 0xfffd
	v_add_co_ci_u32_e64 v16, null, v18, v16, vcc_lo
	v_mov_b32_e32 v17, 0
	s_lshl_b64 s[18:19], s[18:19], 2
	s_branch .LBB66_7
.LBB66_5:                               ;   in Loop: Header=BB66_7 Depth=1
	s_or_b32 exec_lo, exec_lo, s26
.LBB66_6:                               ;   in Loop: Header=BB66_7 Depth=1
	s_wait_alu 0xfffe
	s_or_b32 exec_lo, exec_lo, s1
	v_add_co_u32 v20, vcc_lo, s4, v15
	s_wait_alu 0xfffd
	v_add_co_ci_u32_e64 v21, null, s5, v16, vcc_lo
	v_add_co_u32 v22, vcc_lo, s6, v15
	s_wait_alu 0xfffd
	v_add_co_ci_u32_e64 v23, null, s7, v16, vcc_lo
	global_load_b32 v30, v[20:21], off
	v_add_co_u32 v20, vcc_lo, v20, s18
	s_wait_alu 0xfffd
	v_add_co_ci_u32_e64 v21, null, s19, v21, vcc_lo
	v_add_co_u32 v24, vcc_lo, v22, s18
	s_wait_alu 0xfffd
	v_add_co_ci_u32_e64 v25, null, s19, v23, vcc_lo
	;; [unrolled: 3-line block ×4, first 2 shown]
	global_load_b32 v31, v[22:23], off
	global_load_b32 v32, v[20:21], off
	global_load_b32 v33, v[24:25], off
	global_load_b32 v34, v[26:27], off
	global_load_b32 v35, v[28:29], off
	v_add_co_u32 v20, vcc_lo, v28, s18
	s_wait_alu 0xfffd
	v_add_co_ci_u32_e64 v21, null, s19, v29, vcc_lo
	v_add_co_u32 v22, vcc_lo, v26, s18
	s_wait_alu 0xfffd
	v_add_co_ci_u32_e64 v23, null, s19, v27, vcc_lo
	global_load_b32 v36, v[20:21], off
	v_add_co_u32 v24, vcc_lo, v22, s18
	s_wait_alu 0xfffd
	v_add_co_ci_u32_e64 v25, null, s19, v23, vcc_lo
	v_add_co_u32 v20, vcc_lo, v20, s18
	s_wait_alu 0xfffd
	v_add_co_ci_u32_e64 v21, null, s19, v21, vcc_lo
	;; [unrolled: 3-line block ×4, first 2 shown]
	s_clause 0x1
	global_load_b32 v37, v[22:23], off
	global_load_b32 v24, v[24:25], off
	;; [unrolled: 1-line block ×5, first 2 shown]
	v_add_co_u32 v20, vcc_lo, v28, s18
	s_wait_alu 0xfffd
	v_add_co_ci_u32_e64 v21, null, s19, v29, vcc_lo
	v_add_co_u32 v22, vcc_lo, v26, s18
	s_wait_alu 0xfffd
	v_add_co_ci_u32_e64 v23, null, s19, v27, vcc_lo
	global_load_b32 v26, v[20:21], off
	v_add_co_u32 v20, vcc_lo, v20, s18
	s_wait_alu 0xfffd
	v_add_co_ci_u32_e64 v21, null, s19, v21, vcc_lo
	global_load_b32 v27, v[22:23], off
	global_load_b32 v28, v[20:21], off
	v_add_co_u32 v20, vcc_lo, v22, s18
	s_wait_alu 0xfffd
	v_add_co_ci_u32_e64 v21, null, s19, v23, vcc_lo
	s_wait_loadcnt 0x10
	ds_bpermute_b32 v22, v9, v19
	s_wait_loadcnt 0xf
	ds_bpermute_b32 v23, v1, v18
	ds_bpermute_b32 v29, v8, v19
	global_load_b32 v20, v[20:21], off
	ds_bpermute_b32 v21, v1, v19
	ds_bpermute_b32 v40, v9, v18
	;; [unrolled: 1-line block ×5, first 2 shown]
	v_add_co_u32 v4, vcc_lo, v4, s22
	s_add_nc_u64 s[2:3], s[2:3], s[20:21]
	s_wait_alu 0xfffd
	v_add_co_ci_u32_e64 v5, null, s23, v5, vcc_lo
	v_add_co_u32 v2, vcc_lo, v2, s20
	s_wait_alu 0xfffe
	v_cmp_lt_i64_e64 s1, s[2:3], s[16:17]
	s_wait_alu 0xfffd
	v_add_co_ci_u32_e64 v3, null, 0, v3, vcc_lo
	v_add_co_u32 v15, vcc_lo, v15, s24
	s_wait_alu 0xfffd
	v_add_co_ci_u32_e64 v16, null, s25, v16, vcc_lo
	s_and_b32 vcc_lo, exec_lo, s1
	s_wait_loadcnt 0xf
	v_add_f32_e32 v17, v17, v30
	s_wait_loadcnt_dscnt 0xe04
	v_sub_f32_e32 v21, v31, v21
	ds_bpermute_b32 v31, v8, v18
	s_wait_loadcnt 0xc
	v_sub_f32_e32 v22, v33, v22
	ds_bpermute_b32 v33, v10, v18
	v_mul_f32_e32 v21, v30, v21
	ds_bpermute_b32 v30, v12, v18
	v_dual_fmac_f32 v0, v21, v23 :: v_dual_mul_f32 v21, v32, v22
	s_wait_loadcnt 0xa
	v_sub_f32_e32 v22, v35, v29
	ds_bpermute_b32 v23, v11, v18
	ds_bpermute_b32 v29, v13, v19
	v_add_f32_e32 v17, v17, v32
	s_wait_dscnt 0x8
	v_dual_fmac_f32 v0, v21, v40 :: v_dual_mul_f32 v21, v34, v22
	s_wait_loadcnt_dscnt 0x907
	v_sub_f32_e32 v22, v36, v41
	ds_bpermute_b32 v19, v14, v19
	v_add_f32_e32 v17, v17, v34
	s_wait_dscnt 0x5
	v_fmac_f32_e32 v0, v21, v31
	s_wait_loadcnt 0x8
	v_mul_f32_e32 v21, v37, v22
	s_wait_loadcnt 0x6
	v_sub_f32_e32 v22, v25, v42
	ds_bpermute_b32 v25, v13, v18
	ds_bpermute_b32 v18, v14, v18
	s_wait_dscnt 0x6
	v_dual_fmac_f32 v0, v21, v33 :: v_dual_mul_f32 v21, v24, v22
	s_wait_loadcnt 0x4
	v_sub_f32_e32 v22, v39, v43
	s_wait_dscnt 0x4
	s_delay_alu instid0(VALU_DEP_1) | instskip(SKIP_2) | instid1(VALU_DEP_2)
	v_dual_fmac_f32 v0, v21, v23 :: v_dual_mul_f32 v21, v38, v22
	s_wait_loadcnt_dscnt 0x303
	v_sub_f32_e32 v22, v26, v29
	v_fmac_f32_e32 v0, v21, v30
	s_wait_loadcnt 0x2
	s_delay_alu instid0(VALU_DEP_2) | instskip(SKIP_1) | instid1(VALU_DEP_1)
	v_mul_f32_e32 v21, v27, v22
	s_wait_loadcnt_dscnt 0x101
	v_dual_sub_f32 v19, v28, v19 :: v_dual_fmac_f32 v0, v21, v25
	s_wait_loadcnt 0x0
	s_delay_alu instid0(VALU_DEP_1) | instskip(SKIP_1) | instid1(VALU_DEP_1)
	v_mul_f32_e32 v19, v20, v19
	s_wait_dscnt 0x0
	v_dual_add_f32 v17, v17, v37 :: v_dual_fmac_f32 v0, v19, v18
	s_delay_alu instid0(VALU_DEP_1) | instskip(NEXT) | instid1(VALU_DEP_1)
	v_add_f32_e32 v17, v17, v24
	v_add_f32_e32 v17, v17, v38
	s_delay_alu instid0(VALU_DEP_1) | instskip(NEXT) | instid1(VALU_DEP_1)
	v_add_f32_e32 v17, v17, v27
	v_add_f32_e32 v17, v17, v20
	s_wait_alu 0xfffe
	s_cbranch_vccz .LBB66_10
.LBB66_7:                               ; =>This Inner Loop Header: Depth=1
	v_dual_mov_b32 v18, 0 :: v_dual_mov_b32 v19, 0
	s_and_saveexec_b32 s1, s0
	s_cbranch_execz .LBB66_6
; %bb.8:                                ;   in Loop: Header=BB66_7 Depth=1
	v_dual_mov_b32 v19, 0 :: v_dual_mov_b32 v18, 0
	s_mov_b32 s26, exec_lo
	v_cmpx_gt_i64_e64 s[16:17], v[2:3]
	s_cbranch_execz .LBB66_5
; %bb.9:                                ;   in Loop: Header=BB66_7 Depth=1
	v_add_co_u32 v18, vcc_lo, s8, v4
	s_wait_alu 0xfffd
	v_add_co_ci_u32_e64 v19, null, s9, v5, vcc_lo
	v_add_co_u32 v20, vcc_lo, s10, v4
	s_wait_alu 0xfffd
	v_add_co_ci_u32_e64 v21, null, s11, v5, vcc_lo
	global_load_b32 v19, v[18:19], off
	global_load_b32 v18, v[20:21], off
	s_branch .LBB66_5
.LBB66_10:
	v_mov_b32_e32 v1, v7
.LBB66_11:
	s_delay_alu instid0(VALU_DEP_1) | instskip(SKIP_2) | instid1(VALU_DEP_2)
	v_mad_u32_u24 v2, v1, 33, v6
	v_lshrrev_b32_e32 v3, 5, v6
	s_mov_b32 s0, exec_lo
	v_lshl_add_u32 v4, v2, 2, 0
	s_delay_alu instid0(VALU_DEP_2)
	v_add_nc_u32_e32 v2, v3, v1
	ds_store_b32 v4, v0
	ds_store_b32 v4, v17 offset:2112
	s_wait_dscnt 0x0
	s_barrier_signal -1
	s_barrier_wait -1
	global_inv scope:SCOPE_SE
	v_cmpx_gt_u32_e32 32, v2
	s_cbranch_execz .LBB66_27
; %bb.12:
	v_and_b32_e32 v0, 31, v6
                                        ; implicit-def: $vgpr1
	s_delay_alu instid0(VALU_DEP_1)
	v_cmp_gt_u32_e64 s0, 16, v0
	v_mul_u32_u24_e32 v3, 33, v0
                                        ; implicit-def: $vgpr0
	s_wait_alu 0xfffe
	s_and_saveexec_b32 s1, s0
	s_cbranch_execz .LBB66_14
; %bb.13:
	s_delay_alu instid0(VALU_DEP_1) | instskip(NEXT) | instid1(VALU_DEP_1)
	v_add_nc_u32_e32 v0, v2, v3
	v_lshl_add_u32 v0, v0, 2, 0
	ds_load_b32 v1, v0
	ds_load_b32 v0, v0 offset:2112
.LBB66_14:
	s_wait_alu 0xfffe
	s_or_b32 exec_lo, exec_lo, s1
	v_mbcnt_lo_u32_b32 v8, -1, 0
	s_mov_b32 s2, ttmp9
	s_mov_b32 s3, 0
	v_cmp_eq_u32_e64 s1, 0, v6
	s_wait_alu 0xfffe
	s_lshl_b64 s[2:3], s[2:3], 5
	v_xor_b32_e32 v4, 8, v8
	v_xor_b32_e32 v5, 4, v8
	;; [unrolled: 1-line block ×3, first 2 shown]
	s_wait_kmcnt 0x0
	s_cmp_lg_u64 s[12:13], 0
	s_cselect_b32 s5, -1, 0
	v_cmp_gt_i32_e32 vcc_lo, 32, v4
	s_cmp_lg_u64 s[14:15], 0
	s_cselect_b32 s4, -1, 0
	s_wait_alu 0xfffd
	v_cndmask_b32_e32 v4, v8, v4, vcc_lo
	v_cmp_gt_i32_e32 vcc_lo, 32, v5
	s_wait_alu 0xfffd
	v_cndmask_b32_e32 v5, v8, v5, vcc_lo
	s_delay_alu instid0(VALU_DEP_1)
	v_lshlrev_b32_e32 v5, 2, v5
	v_lshlrev_b32_e32 v4, 2, v4
	s_wait_dscnt 0x1
	ds_bpermute_b32 v7, v4, v1
	s_wait_dscnt 0x0
	v_add_f32_e32 v1, v1, v7
	ds_bpermute_b32 v9, v4, v0
	v_xor_b32_e32 v7, 2, v8
	s_delay_alu instid0(VALU_DEP_1) | instskip(SKIP_4) | instid1(VALU_DEP_2)
	v_cmp_gt_i32_e32 vcc_lo, 32, v7
	s_wait_alu 0xfffd
	v_cndmask_b32_e32 v7, v8, v7, vcc_lo
	v_cmp_gt_i32_e32 vcc_lo, 32, v11
	s_wait_dscnt 0x0
	v_dual_add_f32 v0, v0, v9 :: v_dual_lshlrev_b32 v7, 2, v7
	ds_bpermute_b32 v9, v5, v1
	ds_bpermute_b32 v10, v5, v0
	s_wait_dscnt 0x0
	v_dual_add_f32 v1, v1, v9 :: v_dual_add_f32 v0, v0, v10
	ds_bpermute_b32 v9, v7, v1
	s_wait_alu 0xfffd
	v_cndmask_b32_e32 v8, v8, v11, vcc_lo
	ds_bpermute_b32 v10, v7, v0
	s_wait_dscnt 0x1
	v_dual_add_f32 v1, v1, v9 :: v_dual_lshlrev_b32 v8, 2, v8
	s_wait_dscnt 0x0
	v_add_f32_e32 v0, v0, v10
	ds_bpermute_b32 v9, v8, v1
	ds_bpermute_b32 v10, v8, v0
	s_wait_dscnt 0x0
	v_dual_add_f32 v6, v1, v9 :: v_dual_add_f32 v9, v0, v10
	s_and_saveexec_b32 s6, s1
	s_cbranch_execz .LBB66_19
; %bb.15:
	s_wait_alu 0xfffe
	v_mov_b32_e32 v1, s3
	v_or_b32_e32 v0, s2, v2
	s_and_not1_b32 vcc_lo, exec_lo, s5
	s_delay_alu instid0(VALU_DEP_1)
	v_lshlrev_b64_e32 v[0:1], 2, v[0:1]
	s_wait_alu 0xfffe
	s_cbranch_vccnz .LBB66_17
; %bb.16:
	s_delay_alu instid0(VALU_DEP_1) | instskip(SKIP_1) | instid1(VALU_DEP_2)
	v_add_co_u32 v10, vcc_lo, s12, v0
	s_wait_alu 0xfffd
	v_add_co_ci_u32_e64 v11, null, s13, v1, vcc_lo
	global_store_b32 v[10:11], v6, off
.LBB66_17:
	s_and_not1_b32 vcc_lo, exec_lo, s4
	s_wait_alu 0xfffe
	s_cbranch_vccnz .LBB66_19
; %bb.18:
	v_add_co_u32 v0, vcc_lo, s14, v0
	s_wait_alu 0xfffd
	v_add_co_ci_u32_e64 v1, null, s15, v1, vcc_lo
	global_store_b32 v[0:1], v9, off
.LBB66_19:
	s_wait_alu 0xfffe
	s_or_b32 exec_lo, exec_lo, s6
	v_cmp_gt_u32_e32 vcc_lo, 16, v2
	s_and_b32 exec_lo, exec_lo, vcc_lo
	s_cbranch_execz .LBB66_27
; %bb.20:
	s_and_saveexec_b32 s6, s0
	s_cbranch_execz .LBB66_22
; %bb.21:
	v_add_nc_u32_e32 v0, v2, v3
	s_delay_alu instid0(VALU_DEP_1)
	v_lshl_add_u32 v0, v0, 2, 0
	ds_load_b32 v6, v0 offset:64
	ds_load_b32 v9, v0 offset:2176
.LBB66_22:
	s_wait_alu 0xfffe
	s_or_b32 exec_lo, exec_lo, s6
	s_wait_dscnt 0x1
	ds_bpermute_b32 v0, v4, v6
	s_wait_dscnt 0x1
	ds_bpermute_b32 v1, v4, v9
	s_wait_dscnt 0x0
	v_dual_add_f32 v0, v6, v0 :: v_dual_add_f32 v1, v9, v1
	ds_bpermute_b32 v3, v5, v0
	ds_bpermute_b32 v4, v5, v1
	s_wait_dscnt 0x0
	v_dual_add_f32 v0, v0, v3 :: v_dual_add_f32 v1, v1, v4
	ds_bpermute_b32 v3, v7, v0
	;; [unrolled: 4-line block ×3, first 2 shown]
	ds_bpermute_b32 v1, v8, v0
	s_and_b32 exec_lo, exec_lo, s1
	s_cbranch_execz .LBB66_27
; %bb.23:
	s_and_not1_b32 vcc_lo, exec_lo, s5
	s_wait_alu 0xfffe
	s_cbranch_vccnz .LBB66_25
; %bb.24:
	v_add_co_u32 v5, s0, s2, v2
	s_wait_alu 0xf1ff
	v_add_co_ci_u32_e64 v6, null, s3, 0, s0
	s_wait_dscnt 0x1
	v_add_f32_e32 v7, v3, v4
	s_delay_alu instid0(VALU_DEP_2) | instskip(NEXT) | instid1(VALU_DEP_1)
	v_lshlrev_b64_e32 v[5:6], 2, v[5:6]
	v_add_co_u32 v3, vcc_lo, s12, v5
	s_wait_alu 0xfffd
	s_delay_alu instid0(VALU_DEP_2)
	v_add_co_ci_u32_e64 v4, null, s13, v6, vcc_lo
	global_store_b32 v[3:4], v7, off offset:64
.LBB66_25:
	s_and_not1_b32 vcc_lo, exec_lo, s4
	s_wait_alu 0xfffe
	s_cbranch_vccnz .LBB66_27
; %bb.26:
	v_add_co_u32 v2, s0, s2, v2
	s_wait_alu 0xf1ff
	v_add_co_ci_u32_e64 v3, null, s3, 0, s0
	s_wait_dscnt 0x0
	v_add_f32_e32 v4, v0, v1
	s_delay_alu instid0(VALU_DEP_2) | instskip(NEXT) | instid1(VALU_DEP_1)
	v_lshlrev_b64_e32 v[2:3], 2, v[2:3]
	v_add_co_u32 v0, vcc_lo, s14, v2
	s_wait_alu 0xfffd
	s_delay_alu instid0(VALU_DEP_2)
	v_add_co_ci_u32_e64 v1, null, s15, v3, vcc_lo
	global_store_b32 v[0:1], v4, off offset:64
.LBB66_27:
	s_endpgm
	.section	.rodata,"a",@progbits
	.p2align	6, 0x0
	.amdhsa_kernel _ZN2at6native12_GLOBAL__N_135GammaBetaBackwardCUDAKernelTemplateIffLj32ELj16ELj128ELb0ELb1ELb0EEEvllPKT_S5_PKT0_S8_PS3_S9_
		.amdhsa_group_segment_fixed_size 0
		.amdhsa_private_segment_fixed_size 0
		.amdhsa_kernarg_size 320
		.amdhsa_user_sgpr_count 2
		.amdhsa_user_sgpr_dispatch_ptr 0
		.amdhsa_user_sgpr_queue_ptr 0
		.amdhsa_user_sgpr_kernarg_segment_ptr 1
		.amdhsa_user_sgpr_dispatch_id 0
		.amdhsa_user_sgpr_private_segment_size 0
		.amdhsa_wavefront_size32 1
		.amdhsa_uses_dynamic_stack 0
		.amdhsa_enable_private_segment 0
		.amdhsa_system_sgpr_workgroup_id_x 1
		.amdhsa_system_sgpr_workgroup_id_y 1
		.amdhsa_system_sgpr_workgroup_id_z 0
		.amdhsa_system_sgpr_workgroup_info 0
		.amdhsa_system_vgpr_workitem_id 1
		.amdhsa_next_free_vgpr 44
		.amdhsa_next_free_sgpr 27
		.amdhsa_reserve_vcc 1
		.amdhsa_float_round_mode_32 0
		.amdhsa_float_round_mode_16_64 0
		.amdhsa_float_denorm_mode_32 3
		.amdhsa_float_denorm_mode_16_64 3
		.amdhsa_fp16_overflow 0
		.amdhsa_workgroup_processor_mode 1
		.amdhsa_memory_ordered 1
		.amdhsa_forward_progress 1
		.amdhsa_inst_pref_size 19
		.amdhsa_round_robin_scheduling 0
		.amdhsa_exception_fp_ieee_invalid_op 0
		.amdhsa_exception_fp_denorm_src 0
		.amdhsa_exception_fp_ieee_div_zero 0
		.amdhsa_exception_fp_ieee_overflow 0
		.amdhsa_exception_fp_ieee_underflow 0
		.amdhsa_exception_fp_ieee_inexact 0
		.amdhsa_exception_int_div_zero 0
	.end_amdhsa_kernel
	.section	.text._ZN2at6native12_GLOBAL__N_135GammaBetaBackwardCUDAKernelTemplateIffLj32ELj16ELj128ELb0ELb1ELb0EEEvllPKT_S5_PKT0_S8_PS3_S9_,"axG",@progbits,_ZN2at6native12_GLOBAL__N_135GammaBetaBackwardCUDAKernelTemplateIffLj32ELj16ELj128ELb0ELb1ELb0EEEvllPKT_S5_PKT0_S8_PS3_S9_,comdat
.Lfunc_end66:
	.size	_ZN2at6native12_GLOBAL__N_135GammaBetaBackwardCUDAKernelTemplateIffLj32ELj16ELj128ELb0ELb1ELb0EEEvllPKT_S5_PKT0_S8_PS3_S9_, .Lfunc_end66-_ZN2at6native12_GLOBAL__N_135GammaBetaBackwardCUDAKernelTemplateIffLj32ELj16ELj128ELb0ELb1ELb0EEEvllPKT_S5_PKT0_S8_PS3_S9_
                                        ; -- End function
	.set _ZN2at6native12_GLOBAL__N_135GammaBetaBackwardCUDAKernelTemplateIffLj32ELj16ELj128ELb0ELb1ELb0EEEvllPKT_S5_PKT0_S8_PS3_S9_.num_vgpr, 44
	.set _ZN2at6native12_GLOBAL__N_135GammaBetaBackwardCUDAKernelTemplateIffLj32ELj16ELj128ELb0ELb1ELb0EEEvllPKT_S5_PKT0_S8_PS3_S9_.num_agpr, 0
	.set _ZN2at6native12_GLOBAL__N_135GammaBetaBackwardCUDAKernelTemplateIffLj32ELj16ELj128ELb0ELb1ELb0EEEvllPKT_S5_PKT0_S8_PS3_S9_.numbered_sgpr, 27
	.set _ZN2at6native12_GLOBAL__N_135GammaBetaBackwardCUDAKernelTemplateIffLj32ELj16ELj128ELb0ELb1ELb0EEEvllPKT_S5_PKT0_S8_PS3_S9_.num_named_barrier, 0
	.set _ZN2at6native12_GLOBAL__N_135GammaBetaBackwardCUDAKernelTemplateIffLj32ELj16ELj128ELb0ELb1ELb0EEEvllPKT_S5_PKT0_S8_PS3_S9_.private_seg_size, 0
	.set _ZN2at6native12_GLOBAL__N_135GammaBetaBackwardCUDAKernelTemplateIffLj32ELj16ELj128ELb0ELb1ELb0EEEvllPKT_S5_PKT0_S8_PS3_S9_.uses_vcc, 1
	.set _ZN2at6native12_GLOBAL__N_135GammaBetaBackwardCUDAKernelTemplateIffLj32ELj16ELj128ELb0ELb1ELb0EEEvllPKT_S5_PKT0_S8_PS3_S9_.uses_flat_scratch, 0
	.set _ZN2at6native12_GLOBAL__N_135GammaBetaBackwardCUDAKernelTemplateIffLj32ELj16ELj128ELb0ELb1ELb0EEEvllPKT_S5_PKT0_S8_PS3_S9_.has_dyn_sized_stack, 0
	.set _ZN2at6native12_GLOBAL__N_135GammaBetaBackwardCUDAKernelTemplateIffLj32ELj16ELj128ELb0ELb1ELb0EEEvllPKT_S5_PKT0_S8_PS3_S9_.has_recursion, 0
	.set _ZN2at6native12_GLOBAL__N_135GammaBetaBackwardCUDAKernelTemplateIffLj32ELj16ELj128ELb0ELb1ELb0EEEvllPKT_S5_PKT0_S8_PS3_S9_.has_indirect_call, 0
	.section	.AMDGPU.csdata,"",@progbits
; Kernel info:
; codeLenInByte = 2332
; TotalNumSgprs: 29
; NumVgprs: 44
; ScratchSize: 0
; MemoryBound: 0
; FloatMode: 240
; IeeeMode: 1
; LDSByteSize: 0 bytes/workgroup (compile time only)
; SGPRBlocks: 0
; VGPRBlocks: 5
; NumSGPRsForWavesPerEU: 29
; NumVGPRsForWavesPerEU: 44
; Occupancy: 16
; WaveLimiterHint : 0
; COMPUTE_PGM_RSRC2:SCRATCH_EN: 0
; COMPUTE_PGM_RSRC2:USER_SGPR: 2
; COMPUTE_PGM_RSRC2:TRAP_HANDLER: 0
; COMPUTE_PGM_RSRC2:TGID_X_EN: 1
; COMPUTE_PGM_RSRC2:TGID_Y_EN: 1
; COMPUTE_PGM_RSRC2:TGID_Z_EN: 0
; COMPUTE_PGM_RSRC2:TIDIG_COMP_CNT: 1
	.section	.text._ZN2at6native12_GLOBAL__N_135GammaBetaBackwardCUDAKernelTemplateIffLj32ELj16ELj128ELb0ELb0ELb0EEEvllPKT_S5_PKT0_S8_PS3_S9_,"axG",@progbits,_ZN2at6native12_GLOBAL__N_135GammaBetaBackwardCUDAKernelTemplateIffLj32ELj16ELj128ELb0ELb0ELb0EEEvllPKT_S5_PKT0_S8_PS3_S9_,comdat
	.globl	_ZN2at6native12_GLOBAL__N_135GammaBetaBackwardCUDAKernelTemplateIffLj32ELj16ELj128ELb0ELb0ELb0EEEvllPKT_S5_PKT0_S8_PS3_S9_ ; -- Begin function _ZN2at6native12_GLOBAL__N_135GammaBetaBackwardCUDAKernelTemplateIffLj32ELj16ELj128ELb0ELb0ELb0EEEvllPKT_S5_PKT0_S8_PS3_S9_
	.p2align	8
	.type	_ZN2at6native12_GLOBAL__N_135GammaBetaBackwardCUDAKernelTemplateIffLj32ELj16ELj128ELb0ELb0ELb0EEEvllPKT_S5_PKT0_S8_PS3_S9_,@function
_ZN2at6native12_GLOBAL__N_135GammaBetaBackwardCUDAKernelTemplateIffLj32ELj16ELj128ELb0ELb0ELb0EEEvllPKT_S5_PKT0_S8_PS3_S9_: ; @_ZN2at6native12_GLOBAL__N_135GammaBetaBackwardCUDAKernelTemplateIffLj32ELj16ELj128ELb0ELb0ELb0EEEvllPKT_S5_PKT0_S8_PS3_S9_
; %bb.0:
	s_clause 0x1
	s_load_b256 s[4:11], s[0:1], 0x0
	s_load_b128 s[12:15], s[0:1], 0x20
	s_lshl_b32 s30, ttmp9, 5
	s_mov_b32 s17, 0
	s_or_b32 s16, s30, 31
	s_wait_kmcnt 0x0
	v_cmp_le_i64_e64 s2, s[6:7], s[16:17]
	s_lshl_b32 s16, ttmp7, 7
	s_wait_alu 0xfffe
	v_cmp_gt_i64_e64 s31, s[4:5], s[16:17]
	s_and_b32 vcc_lo, exec_lo, s2
	v_cndmask_b32_e64 v1, 0, 1, s31
	s_delay_alu instid0(VALU_DEP_1)
	v_cmp_ne_u32_e64 s2, 1, v1
	s_cbranch_vccz .LBB67_49
; %bb.1:
	v_mov_b32_e32 v48, 0
	v_mov_b32_e32 v56, 0
	s_and_b32 vcc_lo, exec_lo, s2
	s_cbranch_vccnz .LBB67_50
; %bb.2:
	v_bfe_u32 v20, v0, 10, 10
	v_dual_mov_b32 v1, 0 :: v_dual_and_b32 v22, 0x3ff, v0
	s_load_b32 s3, s[0:1], 0x44
	s_mov_b32 s19, 0
	s_delay_alu instid0(VALU_DEP_2) | instskip(NEXT) | instid1(VALU_DEP_2)
	v_dual_mov_b32 v48, 0 :: v_dual_lshlrev_b32 v21, 3, v20
	v_dual_mov_b32 v3, v1 :: v_dual_add_nc_u32 v2, s30, v22
	s_mov_b32 s23, s19
	s_delay_alu instid0(VALU_DEP_2) | instskip(NEXT) | instid1(VALU_DEP_1)
	v_add_co_u32 v10, s2, v21, s16
	v_add_co_ci_u32_e64 v11, null, 0, 0, s2
	s_delay_alu instid0(VALU_DEP_3) | instskip(NEXT) | instid1(VALU_DEP_3)
	v_cmp_gt_i64_e64 s2, s[6:7], v[2:3]
	v_mul_lo_u32 v6, s7, v10
	v_mad_co_u64_u32 v[4:5], null, s6, v10, 0
	s_delay_alu instid0(VALU_DEP_4) | instskip(SKIP_1) | instid1(VALU_DEP_1)
	v_mul_lo_u32 v7, s6, v11
	v_add_co_u32 v8, vcc_lo, v10, 7
	v_add_co_ci_u32_e64 v9, null, 0, v11, vcc_lo
	v_lshlrev_b64_e32 v[18:19], 2, v[2:3]
	s_delay_alu instid0(VALU_DEP_3)
	v_mul_lo_u32 v12, s7, v8
	s_wait_kmcnt 0x0
	s_lshl_b32 s22, s3, 7
	v_add3_u32 v5, v5, v7, v6
	v_mad_co_u64_u32 v[6:7], null, s6, v8, 0
	v_add_co_u32 v8, vcc_lo, v10, 6
	v_mul_lo_u32 v13, s6, v9
	s_wait_alu 0xfffd
	v_add_co_ci_u32_e64 v9, null, 0, v11, vcc_lo
	v_lshlrev_b64_e32 v[2:3], 2, v[4:5]
	v_mul_lo_u32 v14, s7, v8
	v_mov_b32_e32 v57, 0
	s_delay_alu instid0(VALU_DEP_4)
	v_mul_lo_u32 v15, s6, v9
	v_mad_co_u64_u32 v[8:9], null, s6, v8, 0
	v_add_co_u32 v23, vcc_lo, s8, v2
	s_wait_alu 0xfffd
	v_add_co_ci_u32_e64 v24, null, s9, v3, vcc_lo
	v_add_co_u32 v25, vcc_lo, s10, v2
	v_add3_u32 v7, v7, v13, v12
	s_wait_alu 0xfffd
	v_add_co_ci_u32_e64 v26, null, s11, v3, vcc_lo
	v_add_co_u32 v12, vcc_lo, v10, 5
	v_add3_u32 v9, v9, v15, v14
	s_wait_alu 0xfffd
	v_add_co_ci_u32_e64 v13, null, 0, v11, vcc_lo
	v_lshlrev_b64_e32 v[2:3], 2, v[6:7]
	v_mul_lo_u32 v14, s7, v12
	v_lshlrev_b64_e32 v[6:7], 2, v[8:9]
	s_delay_alu instid0(VALU_DEP_4)
	v_mul_lo_u32 v13, s6, v13
	v_mad_co_u64_u32 v[8:9], null, s6, v12, 0
	v_add_co_u32 v27, vcc_lo, s8, v2
	s_wait_alu 0xfffd
	v_add_co_ci_u32_e64 v28, null, s9, v3, vcc_lo
	v_add_co_u32 v29, vcc_lo, s10, v2
	s_wait_alu 0xfffd
	v_add_co_ci_u32_e64 v30, null, s11, v3, vcc_lo
	v_add_co_u32 v31, vcc_lo, s8, v6
	v_add3_u32 v9, v9, v13, v14
	s_wait_alu 0xfffd
	v_add_co_ci_u32_e64 v32, null, s9, v7, vcc_lo
	v_add_co_u32 v12, vcc_lo, v10, 4
	v_add_co_u32 v33, s3, s10, v6
	s_wait_alu 0xfffd
	v_add_co_ci_u32_e64 v6, null, 0, v11, vcc_lo
	v_lshlrev_b64_e32 v[2:3], 2, v[8:9]
	v_add_co_u32 v8, vcc_lo, v10, 3
	s_wait_alu 0xfffd
	v_add_co_ci_u32_e64 v9, null, 0, v11, vcc_lo
	s_wait_alu 0xf1ff
	v_add_co_ci_u32_e64 v34, null, s11, v7, s3
	v_mul_lo_u32 v13, s7, v12
	v_mul_lo_u32 v14, s6, v6
	v_mad_co_u64_u32 v[6:7], null, s6, v12, 0
	v_mul_lo_u32 v12, s7, v8
	v_mul_lo_u32 v15, s6, v9
	v_mad_co_u64_u32 v[8:9], null, s6, v8, 0
	v_add_co_u32 v35, vcc_lo, s8, v2
	s_wait_alu 0xfffd
	v_add_co_ci_u32_e64 v36, null, s9, v3, vcc_lo
	v_add3_u32 v7, v7, v14, v13
	v_add_co_u32 v37, vcc_lo, s10, v2
	s_wait_alu 0xfffd
	v_add_co_ci_u32_e64 v38, null, s11, v3, vcc_lo
	v_add_co_u32 v10, vcc_lo, v10, 2
	v_add3_u32 v9, v9, v15, v12
	s_wait_alu 0xfffd
	v_add_co_ci_u32_e64 v11, null, 0, v11, vcc_lo
	v_lshlrev_b64_e32 v[2:3], 2, v[6:7]
	v_mul_lo_u32 v12, s7, v10
	v_lshlrev_b64_e32 v[6:7], 2, v[8:9]
	s_delay_alu instid0(VALU_DEP_4)
	v_mul_lo_u32 v11, s6, v11
	v_mad_co_u64_u32 v[8:9], null, s6, v10, 0
	v_add_co_u32 v39, vcc_lo, s8, v2
	s_wait_alu 0xfffd
	v_add_co_ci_u32_e64 v40, null, s9, v3, vcc_lo
	v_add_co_u32 v41, vcc_lo, s10, v2
	s_wait_alu 0xfffd
	v_add_co_ci_u32_e64 v42, null, s11, v3, vcc_lo
	;; [unrolled: 3-line block ×3, first 2 shown]
	v_add3_u32 v9, v9, v11, v12
	v_add_co_u32 v45, vcc_lo, s10, v6
	s_wait_alu 0xfffd
	v_add_co_ci_u32_e64 v46, null, s11, v7, vcc_lo
	v_add_co_u32 v4, vcc_lo, v4, s6
	s_wait_alu 0xfffd
	v_add_co_ci_u32_e64 v5, null, s7, v5, vcc_lo
	v_lshlrev_b64_e32 v[2:3], 2, v[8:9]
	s_mul_u64 s[24:25], s[6:7], s[22:23]
	s_add_nc_u64 s[20:21], s[0:1], 64
	s_delay_alu instid0(VALU_DEP_2)
	v_lshlrev_b64_e32 v[4:5], 2, v[4:5]
	s_lshl_b64 s[24:25], s[24:25], 2
	s_add_nc_u64 s[26:27], s[16:17], 0x7f
	v_add_co_u32 v47, vcc_lo, s8, v2
	s_wait_alu 0xfffd
	v_add_co_ci_u32_e64 v49, null, s9, v3, vcc_lo
	v_add_co_u32 v50, vcc_lo, s10, v2
	s_wait_alu 0xfffd
	v_add_co_ci_u32_e64 v51, null, s11, v3, vcc_lo
	;; [unrolled: 3-line block ×4, first 2 shown]
	s_mov_b64 s[28:29], s[16:17]
.LBB67_3:                               ; =>This Inner Loop Header: Depth=1
	v_cmp_ge_i64_e64 s3, s[26:27], s[4:5]
	v_add_co_u32 v58, s18, v21, s26
	s_wait_alu 0xf1ff
	v_add_co_ci_u32_e64 v59, null, 0, s27, s18
                                        ; implicit-def: $vgpr2_vgpr3_vgpr4_vgpr5_vgpr6_vgpr7_vgpr8_vgpr9
                                        ; implicit-def: $vgpr61
                                        ; implicit-def: $vgpr10_vgpr11_vgpr12_vgpr13_vgpr14_vgpr15_vgpr16_vgpr17
                                        ; implicit-def: $vgpr2
	s_and_b32 vcc_lo, exec_lo, s3
	s_mov_b32 s3, -1
                                        ; implicit-def: $vgpr3
                                        ; implicit-def: $vgpr56
	s_wait_alu 0xfffe
	s_cbranch_vccz .LBB67_25
; %bb.4:                                ;   in Loop: Header=BB67_3 Depth=1
	s_load_b32 s3, s[20:21], 0xc
	v_dual_mov_b32 v60, 0 :: v_dual_mov_b32 v61, 0
	s_wait_kmcnt 0x0
	s_and_b32 s3, s3, 0xffff
	s_wait_alu 0xfffe
	v_mad_u32_u24 v2, v20, s3, v22
	s_mov_b32 s3, exec_lo
	s_delay_alu instid0(VALU_DEP_1) | instskip(NEXT) | instid1(VALU_DEP_1)
	v_and_b32_e32 v2, 31, v2
	v_cmpx_gt_u32_e32 8, v2
	s_cbranch_execz .LBB67_8
; %bb.5:                                ;   in Loop: Header=BB67_3 Depth=1
	v_add_co_u32 v2, vcc_lo, v58, v2
	s_wait_alu 0xfffd
	v_add_co_ci_u32_e64 v3, null, 0, v59, vcc_lo
	v_dual_mov_b32 v60, 0 :: v_dual_mov_b32 v61, 0
	s_delay_alu instid0(VALU_DEP_3) | instskip(SKIP_1) | instid1(VALU_DEP_3)
	v_add_co_u32 v2, vcc_lo, 0xffffff81, v2
	s_wait_alu 0xfffd
	v_add_co_ci_u32_e64 v3, null, -1, v3, vcc_lo
	s_mov_b32 s18, exec_lo
	v_cmpx_gt_i64_e64 s[4:5], v[2:3]
	s_cbranch_execz .LBB67_7
; %bb.6:                                ;   in Loop: Header=BB67_3 Depth=1
	v_lshlrev_b64_e32 v[2:3], 2, v[2:3]
	s_delay_alu instid0(VALU_DEP_1) | instskip(SKIP_1) | instid1(VALU_DEP_2)
	v_add_co_u32 v4, vcc_lo, s12, v2
	s_wait_alu 0xfffd
	v_add_co_ci_u32_e64 v5, null, s13, v3, vcc_lo
	v_add_co_u32 v2, vcc_lo, s14, v2
	s_wait_alu 0xfffd
	v_add_co_ci_u32_e64 v3, null, s15, v3, vcc_lo
	global_load_b32 v60, v[4:5], off
	global_load_b32 v61, v[2:3], off
.LBB67_7:                               ;   in Loop: Header=BB67_3 Depth=1
	s_wait_alu 0xfffe
	s_or_b32 exec_lo, exec_lo, s18
.LBB67_8:                               ;   in Loop: Header=BB67_3 Depth=1
	s_wait_alu 0xfffe
	s_or_b32 exec_lo, exec_lo, s3
	v_add_co_u32 v9, vcc_lo, 0xffffff81, v58
	s_wait_alu 0xfffd
	v_add_co_ci_u32_e64 v10, null, -1, v59, vcc_lo
	v_mov_b32_e32 v8, v1
	v_dual_mov_b32 v2, v1 :: v_dual_mov_b32 v3, v1
	v_dual_mov_b32 v4, v1 :: v_dual_mov_b32 v5, v1
	;; [unrolled: 1-line block ×3, first 2 shown]
	v_cmp_gt_i64_e32 vcc_lo, s[4:5], v[9:10]
	s_delay_alu instid0(VALU_DEP_3) | instskip(NEXT) | instid1(VALU_DEP_3)
	v_dual_mov_b32 v17, v8 :: v_dual_mov_b32 v14, v5
	v_dual_mov_b32 v15, v6 :: v_dual_mov_b32 v16, v7
	v_dual_mov_b32 v13, v4 :: v_dual_mov_b32 v12, v3
	v_dual_mov_b32 v11, v2 :: v_dual_mov_b32 v10, v1
	v_mov_b32_e32 v9, v8
	v_mov_b32_e32 v8, v7
	;; [unrolled: 1-line block ×8, first 2 shown]
	s_and_b32 s18, s2, vcc_lo
	s_wait_alu 0xfffe
	s_and_saveexec_b32 s3, s18
	s_cbranch_execz .LBB67_10
; %bb.9:                                ;   in Loop: Header=BB67_3 Depth=1
	v_add_co_u32 v2, vcc_lo, v23, v18
	s_wait_alu 0xfffd
	v_add_co_ci_u32_e64 v3, null, v24, v19, vcc_lo
	v_add_co_u32 v4, vcc_lo, v25, v18
	s_wait_alu 0xfffd
	v_add_co_ci_u32_e64 v5, null, v26, v19, vcc_lo
	global_load_b32 v2, v[2:3], off
	global_load_b32 v10, v[4:5], off
	v_dual_mov_b32 v3, v1 :: v_dual_mov_b32 v4, v1
	v_dual_mov_b32 v5, v1 :: v_dual_mov_b32 v6, v1
	;; [unrolled: 1-line block ×6, first 2 shown]
	v_mov_b32_e32 v15, v1
	v_mov_b32_e32 v17, v1
.LBB67_10:                              ;   in Loop: Header=BB67_3 Depth=1
	s_wait_alu 0xfffe
	s_or_b32 exec_lo, exec_lo, s3
	v_add_co_u32 v62, vcc_lo, 0xffffff82, v58
	s_wait_alu 0xfffd
	v_add_co_ci_u32_e64 v63, null, -1, v59, vcc_lo
	s_delay_alu instid0(VALU_DEP_1)
	v_cmp_gt_i64_e32 vcc_lo, s[4:5], v[62:63]
	s_and_b32 s18, s2, vcc_lo
	s_wait_alu 0xfffe
	s_and_saveexec_b32 s3, s18
	s_cbranch_execz .LBB67_12
; %bb.11:                               ;   in Loop: Header=BB67_3 Depth=1
	v_add_co_u32 v62, vcc_lo, v52, v18
	s_wait_alu 0xfffd
	v_add_co_ci_u32_e64 v63, null, v53, v19, vcc_lo
	v_add_co_u32 v64, vcc_lo, v54, v18
	s_wait_alu 0xfffd
	v_add_co_ci_u32_e64 v65, null, v55, v19, vcc_lo
	global_load_b32 v3, v[62:63], off
	global_load_b32 v11, v[64:65], off
.LBB67_12:                              ;   in Loop: Header=BB67_3 Depth=1
	s_wait_alu 0xfffe
	s_or_b32 exec_lo, exec_lo, s3
	v_add_co_u32 v62, vcc_lo, 0xffffff83, v58
	s_wait_alu 0xfffd
	v_add_co_ci_u32_e64 v63, null, -1, v59, vcc_lo
	s_delay_alu instid0(VALU_DEP_1)
	v_cmp_gt_i64_e32 vcc_lo, s[4:5], v[62:63]
	s_and_b32 s18, s2, vcc_lo
	s_wait_alu 0xfffe
	s_and_saveexec_b32 s3, s18
	s_cbranch_execz .LBB67_14
; %bb.13:                               ;   in Loop: Header=BB67_3 Depth=1
	v_add_co_u32 v62, vcc_lo, v47, v18
	s_wait_alu 0xfffd
	v_add_co_ci_u32_e64 v63, null, v49, v19, vcc_lo
	v_add_co_u32 v64, vcc_lo, v50, v18
	s_wait_alu 0xfffd
	v_add_co_ci_u32_e64 v65, null, v51, v19, vcc_lo
	global_load_b32 v4, v[62:63], off
	global_load_b32 v12, v[64:65], off
.LBB67_14:                              ;   in Loop: Header=BB67_3 Depth=1
	s_wait_alu 0xfffe
	s_or_b32 exec_lo, exec_lo, s3
	v_add_co_u32 v62, vcc_lo, 0xffffff84, v58
	s_wait_alu 0xfffd
	v_add_co_ci_u32_e64 v63, null, -1, v59, vcc_lo
	s_delay_alu instid0(VALU_DEP_1)
	v_cmp_gt_i64_e32 vcc_lo, s[4:5], v[62:63]
	s_and_b32 s18, s2, vcc_lo
	s_wait_alu 0xfffe
	s_and_saveexec_b32 s3, s18
	s_cbranch_execz .LBB67_16
; %bb.15:                               ;   in Loop: Header=BB67_3 Depth=1
	v_add_co_u32 v62, vcc_lo, v43, v18
	s_wait_alu 0xfffd
	v_add_co_ci_u32_e64 v63, null, v44, v19, vcc_lo
	v_add_co_u32 v64, vcc_lo, v45, v18
	s_wait_alu 0xfffd
	v_add_co_ci_u32_e64 v65, null, v46, v19, vcc_lo
	global_load_b32 v5, v[62:63], off
	global_load_b32 v13, v[64:65], off
.LBB67_16:                              ;   in Loop: Header=BB67_3 Depth=1
	s_wait_alu 0xfffe
	s_or_b32 exec_lo, exec_lo, s3
	v_add_co_u32 v62, vcc_lo, 0xffffff85, v58
	s_wait_alu 0xfffd
	v_add_co_ci_u32_e64 v63, null, -1, v59, vcc_lo
	s_delay_alu instid0(VALU_DEP_1)
	v_cmp_gt_i64_e32 vcc_lo, s[4:5], v[62:63]
	s_and_b32 s18, s2, vcc_lo
	s_wait_alu 0xfffe
	s_and_saveexec_b32 s3, s18
	s_cbranch_execz .LBB67_18
; %bb.17:                               ;   in Loop: Header=BB67_3 Depth=1
	v_add_co_u32 v62, vcc_lo, v39, v18
	s_wait_alu 0xfffd
	v_add_co_ci_u32_e64 v63, null, v40, v19, vcc_lo
	v_add_co_u32 v64, vcc_lo, v41, v18
	s_wait_alu 0xfffd
	v_add_co_ci_u32_e64 v65, null, v42, v19, vcc_lo
	global_load_b32 v6, v[62:63], off
	global_load_b32 v14, v[64:65], off
.LBB67_18:                              ;   in Loop: Header=BB67_3 Depth=1
	s_wait_alu 0xfffe
	s_or_b32 exec_lo, exec_lo, s3
	v_add_co_u32 v62, vcc_lo, 0xffffff86, v58
	s_wait_alu 0xfffd
	v_add_co_ci_u32_e64 v63, null, -1, v59, vcc_lo
	s_delay_alu instid0(VALU_DEP_1)
	v_cmp_gt_i64_e32 vcc_lo, s[4:5], v[62:63]
	s_and_b32 s18, s2, vcc_lo
	s_wait_alu 0xfffe
	s_and_saveexec_b32 s3, s18
	s_cbranch_execz .LBB67_20
; %bb.19:                               ;   in Loop: Header=BB67_3 Depth=1
	v_add_co_u32 v62, vcc_lo, v35, v18
	s_wait_alu 0xfffd
	v_add_co_ci_u32_e64 v63, null, v36, v19, vcc_lo
	v_add_co_u32 v64, vcc_lo, v37, v18
	s_wait_alu 0xfffd
	v_add_co_ci_u32_e64 v65, null, v38, v19, vcc_lo
	global_load_b32 v7, v[62:63], off
	global_load_b32 v15, v[64:65], off
.LBB67_20:                              ;   in Loop: Header=BB67_3 Depth=1
	s_wait_alu 0xfffe
	s_or_b32 exec_lo, exec_lo, s3
	v_add_co_u32 v62, vcc_lo, 0xffffff87, v58
	s_wait_alu 0xfffd
	v_add_co_ci_u32_e64 v63, null, -1, v59, vcc_lo
	s_delay_alu instid0(VALU_DEP_1)
	v_cmp_gt_i64_e32 vcc_lo, s[4:5], v[62:63]
	s_and_b32 s18, s2, vcc_lo
	s_wait_alu 0xfffe
	s_and_saveexec_b32 s3, s18
	s_cbranch_execz .LBB67_22
; %bb.21:                               ;   in Loop: Header=BB67_3 Depth=1
	v_add_co_u32 v62, vcc_lo, v31, v18
	s_wait_alu 0xfffd
	v_add_co_ci_u32_e64 v63, null, v32, v19, vcc_lo
	v_add_co_u32 v64, vcc_lo, v33, v18
	s_wait_alu 0xfffd
	v_add_co_ci_u32_e64 v65, null, v34, v19, vcc_lo
	global_load_b32 v8, v[62:63], off
	global_load_b32 v16, v[64:65], off
.LBB67_22:                              ;   in Loop: Header=BB67_3 Depth=1
	s_wait_alu 0xfffe
	s_or_b32 exec_lo, exec_lo, s3
	v_add_co_u32 v62, vcc_lo, 0xffffff88, v58
	s_wait_alu 0xfffd
	v_add_co_ci_u32_e64 v63, null, -1, v59, vcc_lo
	s_delay_alu instid0(VALU_DEP_1)
	v_cmp_gt_i64_e32 vcc_lo, s[4:5], v[62:63]
	s_and_b32 s18, s2, vcc_lo
	s_wait_alu 0xfffe
	s_and_saveexec_b32 s3, s18
	s_cbranch_execz .LBB67_24
; %bb.23:                               ;   in Loop: Header=BB67_3 Depth=1
	v_add_co_u32 v62, vcc_lo, v27, v18
	s_wait_alu 0xfffd
	v_add_co_ci_u32_e64 v63, null, v28, v19, vcc_lo
	v_add_co_u32 v64, vcc_lo, v29, v18
	s_wait_alu 0xfffd
	v_add_co_ci_u32_e64 v65, null, v30, v19, vcc_lo
	global_load_b32 v9, v[62:63], off
	global_load_b32 v17, v[64:65], off
.LBB67_24:                              ;   in Loop: Header=BB67_3 Depth=1
	s_wait_alu 0xfffe
	s_or_b32 exec_lo, exec_lo, s3
	s_wait_loadcnt 0x1
	ds_bpermute_b32 v56, v1, v60
	ds_bpermute_b32 v62, v1, v60 offset:4
	ds_bpermute_b32 v63, v1, v60 offset:8
	s_wait_loadcnt 0x0
	ds_bpermute_b32 v64, v1, v61
	ds_bpermute_b32 v65, v1, v60 offset:12
	ds_bpermute_b32 v66, v1, v61 offset:4
	ds_bpermute_b32 v67, v1, v60 offset:16
	ds_bpermute_b32 v68, v1, v61 offset:8
	ds_bpermute_b32 v70, v1, v61 offset:12
	ds_bpermute_b32 v71, v1, v60 offset:20
	s_mov_b32 s3, 0
	s_wait_dscnt 0x9
	v_dual_add_f32 v69, v48, v2 :: v_dual_sub_f32 v10, v10, v56
	s_wait_dscnt 0x7
	v_dual_sub_f32 v11, v11, v62 :: v_dual_sub_f32 v12, v12, v63
	ds_bpermute_b32 v62, v1, v60 offset:24
	ds_bpermute_b32 v63, v1, v61 offset:20
	v_dual_mul_f32 v2, v2, v10 :: v_dual_mul_f32 v11, v3, v11
	ds_bpermute_b32 v10, v1, v61 offset:16
	v_dual_mul_f32 v12, v4, v12 :: v_dual_add_f32 v3, v3, v69
	s_wait_dscnt 0x9
	v_fma_f32 v56, v2, v64, v57
	s_wait_dscnt 0x8
	v_sub_f32_e32 v2, v13, v65
	ds_bpermute_b32 v64, v1, v61 offset:24
	ds_bpermute_b32 v61, v1, v61 offset:28
	s_wait_dscnt 0x9
	v_dual_add_f32 v3, v4, v3 :: v_dual_fmac_f32 v56, v11, v66
	s_wait_dscnt 0x8
	v_sub_f32_e32 v11, v14, v67
	v_mul_f32_e32 v13, v5, v2
	ds_bpermute_b32 v2, v1, v60 offset:28
	s_wait_dscnt 0x6
	v_sub_f32_e32 v4, v15, v71
	v_dual_fmac_f32 v56, v12, v68 :: v_dual_mul_f32 v11, v6, v11
	v_add_f32_e32 v3, v5, v3
	s_wait_dscnt 0x5
	s_delay_alu instid0(VALU_DEP_3) | instskip(NEXT) | instid1(VALU_DEP_2)
	v_dual_sub_f32 v5, v16, v62 :: v_dual_mul_f32 v4, v7, v4
	v_dual_fmac_f32 v56, v13, v70 :: v_dual_add_f32 v3, v6, v3
	s_wait_dscnt 0x3
	s_delay_alu instid0(VALU_DEP_1) | instskip(NEXT) | instid1(VALU_DEP_1)
	v_dual_mul_f32 v5, v8, v5 :: v_dual_fmac_f32 v56, v11, v10
	v_fmac_f32_e32 v56, v4, v63
	s_wait_dscnt 0x2
	s_delay_alu instid0(VALU_DEP_1) | instskip(NEXT) | instid1(VALU_DEP_1)
	v_dual_add_f32 v3, v7, v3 :: v_dual_fmac_f32 v56, v5, v64
	v_add_f32_e32 v3, v8, v3
.LBB67_25:                              ;   in Loop: Header=BB67_3 Depth=1
	s_wait_alu 0xfffe
	s_and_b32 vcc_lo, exec_lo, s3
	s_wait_alu 0xfffe
	s_cbranch_vccz .LBB67_40
; %bb.26:                               ;   in Loop: Header=BB67_3 Depth=1
	s_load_b32 s3, s[20:21], 0x0
	v_mov_b32_e32 v60, 0
	v_mov_b32_e32 v56, 0
	s_wait_kmcnt 0x0
	s_cmp_lt_u32 ttmp9, s3
	s_cselect_b32 s18, 12, 18
	s_wait_alu 0xfffe
	s_add_nc_u64 s[34:35], s[20:21], s[18:19]
	s_load_u16 s3, s[34:35], 0x0
	s_wait_dscnt 0x0
	s_wait_kmcnt 0x0
	v_mad_u32_u24 v2, v20, s3, v22
	s_mov_b32 s3, exec_lo
	s_delay_alu instid0(VALU_DEP_1) | instskip(NEXT) | instid1(VALU_DEP_1)
	v_and_b32_e32 v2, 31, v2
	v_cmpx_gt_u32_e32 8, v2
	s_cbranch_execz .LBB67_30
; %bb.27:                               ;   in Loop: Header=BB67_3 Depth=1
	v_add_co_u32 v2, vcc_lo, v58, v2
	s_wait_alu 0xfffd
	v_add_co_ci_u32_e64 v3, null, 0, v59, vcc_lo
	v_mov_b32_e32 v56, 0
	s_delay_alu instid0(VALU_DEP_3) | instskip(SKIP_1) | instid1(VALU_DEP_3)
	v_add_co_u32 v2, vcc_lo, 0xffffff81, v2
	s_wait_alu 0xfffd
	v_add_co_ci_u32_e64 v3, null, -1, v3, vcc_lo
	v_mov_b32_e32 v60, 0
	s_mov_b32 s18, exec_lo
	s_delay_alu instid0(VALU_DEP_2)
	v_cmpx_gt_i64_e64 s[4:5], v[2:3]
	s_cbranch_execz .LBB67_29
; %bb.28:                               ;   in Loop: Header=BB67_3 Depth=1
	v_lshlrev_b64_e32 v[2:3], 2, v[2:3]
	s_delay_alu instid0(VALU_DEP_1) | instskip(SKIP_1) | instid1(VALU_DEP_2)
	v_add_co_u32 v4, vcc_lo, s12, v2
	s_wait_alu 0xfffd
	v_add_co_ci_u32_e64 v5, null, s13, v3, vcc_lo
	v_add_co_u32 v2, vcc_lo, s14, v2
	s_wait_alu 0xfffd
	v_add_co_ci_u32_e64 v3, null, s15, v3, vcc_lo
	global_load_b32 v56, v[4:5], off
	global_load_b32 v60, v[2:3], off
.LBB67_29:                              ;   in Loop: Header=BB67_3 Depth=1
	s_wait_alu 0xfffe
	s_or_b32 exec_lo, exec_lo, s18
.LBB67_30:                              ;   in Loop: Header=BB67_3 Depth=1
	s_wait_alu 0xfffe
	s_or_b32 exec_lo, exec_lo, s3
	v_mov_b32_e32 v8, v1
	v_dual_mov_b32 v2, v1 :: v_dual_mov_b32 v3, v1
	v_dual_mov_b32 v4, v1 :: v_dual_mov_b32 v5, v1
	;; [unrolled: 1-line block ×3, first 2 shown]
	s_delay_alu instid0(VALU_DEP_4) | instskip(NEXT) | instid1(VALU_DEP_3)
	v_mov_b32_e32 v17, v8
	v_dual_mov_b32 v13, v4 :: v_dual_mov_b32 v12, v3
	s_delay_alu instid0(VALU_DEP_3) | instskip(NEXT) | instid1(VALU_DEP_4)
	v_dual_mov_b32 v15, v6 :: v_dual_mov_b32 v14, v5
	v_dual_mov_b32 v16, v7 :: v_dual_mov_b32 v11, v2
	;; [unrolled: 1-line block ×3, first 2 shown]
	v_mov_b32_e32 v8, v7
	v_mov_b32_e32 v7, v6
	;; [unrolled: 1-line block ×7, first 2 shown]
	s_and_saveexec_b32 s3, s2
	s_cbranch_execnz .LBB67_42
; %bb.31:                               ;   in Loop: Header=BB67_3 Depth=1
	s_wait_alu 0xfffe
	s_or_b32 exec_lo, exec_lo, s3
	s_and_saveexec_b32 s3, s2
	s_cbranch_execnz .LBB67_43
.LBB67_32:                              ;   in Loop: Header=BB67_3 Depth=1
	s_wait_alu 0xfffe
	s_or_b32 exec_lo, exec_lo, s3
	s_and_saveexec_b32 s3, s2
	s_cbranch_execnz .LBB67_44
.LBB67_33:                              ;   in Loop: Header=BB67_3 Depth=1
	s_wait_alu 0xfffe
	s_or_b32 exec_lo, exec_lo, s3
	s_and_saveexec_b32 s3, s2
	s_cbranch_execnz .LBB67_45
.LBB67_34:                              ;   in Loop: Header=BB67_3 Depth=1
	s_wait_alu 0xfffe
	s_or_b32 exec_lo, exec_lo, s3
	s_and_saveexec_b32 s3, s2
	s_cbranch_execnz .LBB67_46
.LBB67_35:                              ;   in Loop: Header=BB67_3 Depth=1
	s_wait_alu 0xfffe
	s_or_b32 exec_lo, exec_lo, s3
	s_and_saveexec_b32 s3, s2
	s_cbranch_execnz .LBB67_47
.LBB67_36:                              ;   in Loop: Header=BB67_3 Depth=1
	s_wait_alu 0xfffe
	s_or_b32 exec_lo, exec_lo, s3
	s_and_saveexec_b32 s3, s2
	s_cbranch_execnz .LBB67_48
.LBB67_37:                              ;   in Loop: Header=BB67_3 Depth=1
	s_wait_alu 0xfffe
	s_or_b32 exec_lo, exec_lo, s3
	s_and_saveexec_b32 s3, s2
	s_cbranch_execz .LBB67_39
.LBB67_38:                              ;   in Loop: Header=BB67_3 Depth=1
	v_add_co_u32 v58, vcc_lo, v27, v18
	s_wait_alu 0xfffd
	v_add_co_ci_u32_e64 v59, null, v28, v19, vcc_lo
	v_add_co_u32 v61, vcc_lo, v29, v18
	s_wait_alu 0xfffd
	v_add_co_ci_u32_e64 v62, null, v30, v19, vcc_lo
	global_load_b32 v9, v[58:59], off
	global_load_b32 v17, v[61:62], off
.LBB67_39:                              ;   in Loop: Header=BB67_3 Depth=1
	s_wait_alu 0xfffe
	s_or_b32 exec_lo, exec_lo, s3
	s_wait_loadcnt 0x1
	ds_bpermute_b32 v58, v1, v56
	ds_bpermute_b32 v59, v1, v56 offset:4
	ds_bpermute_b32 v61, v1, v56 offset:8
	s_wait_loadcnt 0x0
	ds_bpermute_b32 v62, v1, v60
	ds_bpermute_b32 v63, v1, v56 offset:12
	ds_bpermute_b32 v64, v1, v60 offset:4
	;; [unrolled: 1-line block ×5, first 2 shown]
	s_wait_dscnt 0x7
	v_dual_sub_f32 v10, v10, v58 :: v_dual_sub_f32 v11, v11, v59
	ds_bpermute_b32 v58, v1, v60 offset:12
	ds_bpermute_b32 v59, v1, v60 offset:20
	s_wait_dscnt 0x6
	v_dual_sub_f32 v13, v13, v63 :: v_dual_mul_f32 v10, v2, v10
	v_dual_mul_f32 v11, v3, v11 :: v_dual_add_f32 v2, v48, v2
	ds_bpermute_b32 v48, v1, v60 offset:16
	v_dual_sub_f32 v12, v12, v61 :: v_dual_fmac_f32 v57, v10, v62
	ds_bpermute_b32 v10, v1, v56 offset:24
	s_wait_dscnt 0x6
	v_dual_add_f32 v2, v3, v2 :: v_dual_sub_f32 v3, v14, v65
	v_mul_f32_e32 v12, v4, v12
	v_fmac_f32_e32 v57, v11, v64
	s_delay_alu instid0(VALU_DEP_3)
	v_dual_mul_f32 v11, v5, v13 :: v_dual_add_f32 v4, v4, v2
	ds_bpermute_b32 v61, v1, v60 offset:28
	ds_bpermute_b32 v2, v1, v56 offset:28
	s_wait_dscnt 0x7
	v_fmac_f32_e32 v57, v12, v66
	ds_bpermute_b32 v12, v1, v60 offset:24
	s_wait_dscnt 0x7
	v_dual_add_f32 v4, v5, v4 :: v_dual_sub_f32 v13, v15, v67
	s_wait_dscnt 0x6
	s_delay_alu instid0(VALU_DEP_1) | instskip(SKIP_1) | instid1(VALU_DEP_3)
	v_dual_fmac_f32 v57, v11, v58 :: v_dual_add_f32 v4, v6, v4
	v_mul_f32_e32 v3, v6, v3
	v_mul_f32_e32 v5, v7, v13
	s_delay_alu instid0(VALU_DEP_3) | instskip(SKIP_1) | instid1(VALU_DEP_3)
	v_add_f32_e32 v4, v7, v4
	s_wait_dscnt 0x4
	v_fmac_f32_e32 v57, v3, v48
	s_wait_dscnt 0x3
	v_sub_f32_e32 v3, v16, v10
	s_delay_alu instid0(VALU_DEP_2) | instskip(NEXT) | instid1(VALU_DEP_2)
	v_fmac_f32_e32 v57, v5, v59
	v_mul_f32_e32 v3, v8, v3
	s_wait_dscnt 0x0
	s_delay_alu instid0(VALU_DEP_1) | instskip(NEXT) | instid1(VALU_DEP_1)
	v_fmac_f32_e32 v57, v3, v12
	v_dual_add_f32 v3, v8, v4 :: v_dual_mov_b32 v56, v57
.LBB67_40:                              ;   in Loop: Header=BB67_3 Depth=1
	v_add_co_u32 v23, vcc_lo, v23, s24
	s_wait_alu 0xfffd
	v_add_co_ci_u32_e64 v24, null, s25, v24, vcc_lo
	v_add_co_u32 v25, vcc_lo, v25, s24
	s_wait_alu 0xfffd
	v_add_co_ci_u32_e64 v26, null, s25, v26, vcc_lo
	;; [unrolled: 3-line block ×10, first 2 shown]
	v_add_co_u32 v43, vcc_lo, v43, s24
	s_wait_dscnt 0x0
	v_sub_f32_e32 v2, v17, v2
	s_wait_alu 0xfffd
	v_add_co_ci_u32_e64 v44, null, s25, v44, vcc_lo
	v_add_co_u32 v45, vcc_lo, v45, s24
	s_wait_alu 0xfffd
	v_add_co_ci_u32_e64 v46, null, s25, v46, vcc_lo
	v_add_co_u32 v47, vcc_lo, v47, s24
	;; [unrolled: 3-line block ×3, first 2 shown]
	s_add_nc_u64 s[28:29], s[28:29], s[22:23]
	v_mul_f32_e32 v2, v9, v2
	s_wait_alu 0xfffd
	v_add_co_ci_u32_e64 v51, null, s25, v51, vcc_lo
	v_add_co_u32 v52, vcc_lo, v52, s24
	s_wait_alu 0xfffe
	v_cmp_lt_i64_e64 s3, s[28:29], s[4:5]
	s_wait_alu 0xfffd
	v_add_co_ci_u32_e64 v53, null, s25, v53, vcc_lo
	v_add_co_u32 v54, vcc_lo, v54, s24
	v_add_f32_e32 v48, v3, v9
	v_fmac_f32_e32 v56, v2, v61
	s_wait_alu 0xfffd
	v_add_co_ci_u32_e64 v55, null, s25, v55, vcc_lo
	s_and_b32 vcc_lo, exec_lo, s3
	s_add_nc_u64 s[26:27], s[26:27], s[22:23]
	s_wait_alu 0xfffe
	s_cbranch_vccz .LBB67_50
; %bb.41:                               ;   in Loop: Header=BB67_3 Depth=1
	v_mov_b32_e32 v57, v56
	s_branch .LBB67_3
.LBB67_42:                              ;   in Loop: Header=BB67_3 Depth=1
	v_add_co_u32 v2, vcc_lo, v23, v18
	s_wait_alu 0xfffd
	v_add_co_ci_u32_e64 v3, null, v24, v19, vcc_lo
	v_add_co_u32 v4, vcc_lo, v25, v18
	s_wait_alu 0xfffd
	v_add_co_ci_u32_e64 v5, null, v26, v19, vcc_lo
	global_load_b32 v2, v[2:3], off
	global_load_b32 v10, v[4:5], off
	v_dual_mov_b32 v3, v1 :: v_dual_mov_b32 v4, v1
	v_dual_mov_b32 v5, v1 :: v_dual_mov_b32 v6, v1
	;; [unrolled: 1-line block ×6, first 2 shown]
	v_mov_b32_e32 v15, v1
	v_mov_b32_e32 v17, v1
	s_wait_alu 0xfffe
	s_or_b32 exec_lo, exec_lo, s3
	s_and_saveexec_b32 s3, s2
	s_cbranch_execz .LBB67_32
.LBB67_43:                              ;   in Loop: Header=BB67_3 Depth=1
	v_add_co_u32 v58, vcc_lo, v52, v18
	s_wait_alu 0xfffd
	v_add_co_ci_u32_e64 v59, null, v53, v19, vcc_lo
	v_add_co_u32 v61, vcc_lo, v54, v18
	s_wait_alu 0xfffd
	v_add_co_ci_u32_e64 v62, null, v55, v19, vcc_lo
	global_load_b32 v3, v[58:59], off
	global_load_b32 v11, v[61:62], off
	s_wait_alu 0xfffe
	s_or_b32 exec_lo, exec_lo, s3
	s_and_saveexec_b32 s3, s2
	s_cbranch_execz .LBB67_33
.LBB67_44:                              ;   in Loop: Header=BB67_3 Depth=1
	v_add_co_u32 v58, vcc_lo, v47, v18
	s_wait_alu 0xfffd
	v_add_co_ci_u32_e64 v59, null, v49, v19, vcc_lo
	v_add_co_u32 v61, vcc_lo, v50, v18
	s_wait_alu 0xfffd
	v_add_co_ci_u32_e64 v62, null, v51, v19, vcc_lo
	global_load_b32 v4, v[58:59], off
	global_load_b32 v12, v[61:62], off
	s_wait_alu 0xfffe
	s_or_b32 exec_lo, exec_lo, s3
	s_and_saveexec_b32 s3, s2
	s_cbranch_execz .LBB67_34
.LBB67_45:                              ;   in Loop: Header=BB67_3 Depth=1
	v_add_co_u32 v58, vcc_lo, v43, v18
	s_wait_alu 0xfffd
	v_add_co_ci_u32_e64 v59, null, v44, v19, vcc_lo
	v_add_co_u32 v61, vcc_lo, v45, v18
	s_wait_alu 0xfffd
	v_add_co_ci_u32_e64 v62, null, v46, v19, vcc_lo
	global_load_b32 v5, v[58:59], off
	global_load_b32 v13, v[61:62], off
	s_wait_alu 0xfffe
	s_or_b32 exec_lo, exec_lo, s3
	s_and_saveexec_b32 s3, s2
	s_cbranch_execz .LBB67_35
.LBB67_46:                              ;   in Loop: Header=BB67_3 Depth=1
	v_add_co_u32 v58, vcc_lo, v39, v18
	s_wait_alu 0xfffd
	v_add_co_ci_u32_e64 v59, null, v40, v19, vcc_lo
	v_add_co_u32 v61, vcc_lo, v41, v18
	s_wait_alu 0xfffd
	v_add_co_ci_u32_e64 v62, null, v42, v19, vcc_lo
	global_load_b32 v6, v[58:59], off
	global_load_b32 v14, v[61:62], off
	s_wait_alu 0xfffe
	s_or_b32 exec_lo, exec_lo, s3
	s_and_saveexec_b32 s3, s2
	s_cbranch_execz .LBB67_36
.LBB67_47:                              ;   in Loop: Header=BB67_3 Depth=1
	v_add_co_u32 v58, vcc_lo, v35, v18
	s_wait_alu 0xfffd
	v_add_co_ci_u32_e64 v59, null, v36, v19, vcc_lo
	v_add_co_u32 v61, vcc_lo, v37, v18
	s_wait_alu 0xfffd
	v_add_co_ci_u32_e64 v62, null, v38, v19, vcc_lo
	global_load_b32 v7, v[58:59], off
	global_load_b32 v15, v[61:62], off
	s_wait_alu 0xfffe
	s_or_b32 exec_lo, exec_lo, s3
	s_and_saveexec_b32 s3, s2
	s_cbranch_execz .LBB67_37
.LBB67_48:                              ;   in Loop: Header=BB67_3 Depth=1
	v_add_co_u32 v58, vcc_lo, v31, v18
	s_wait_alu 0xfffd
	v_add_co_ci_u32_e64 v59, null, v32, v19, vcc_lo
	v_add_co_u32 v61, vcc_lo, v33, v18
	s_wait_alu 0xfffd
	v_add_co_ci_u32_e64 v62, null, v34, v19, vcc_lo
	global_load_b32 v8, v[58:59], off
	global_load_b32 v16, v[61:62], off
	s_wait_alu 0xfffe
	s_or_b32 exec_lo, exec_lo, s3
	s_and_saveexec_b32 s3, s2
	s_cbranch_execnz .LBB67_38
	s_branch .LBB67_39
.LBB67_49:
                                        ; implicit-def: $vgpr48
                                        ; implicit-def: $vgpr56
	s_branch .LBB67_51
.LBB67_50:
	s_cbranch_execnz .LBB67_82
.LBB67_51:
	v_mov_b32_e32 v48, 0
	v_mov_b32_e32 v56, 0
	s_and_not1_b32 vcc_lo, exec_lo, s31
	s_wait_alu 0xfffe
	s_cbranch_vccnz .LBB67_82
; %bb.52:
	v_bfe_u32 v49, v0, 10, 10
	v_and_b32_e32 v51, 0x3ff, v0
	s_lshl_b64 s[20:21], s[16:17], 2
	s_mov_b32 s3, 0
	s_delay_alu instid0(VALU_DEP_2)
	v_dual_mov_b32 v1, 0 :: v_dual_lshlrev_b32 v50, 3, v49
	v_lshlrev_b32_e32 v8, 5, v49
	v_add_nc_u32_e32 v4, s30, v51
	s_wait_alu 0xfffe
	s_mov_b32 s19, s3
	v_mov_b32_e32 v5, v1
	v_add_co_u32 v10, s2, v50, s16
	s_wait_alu 0xf1ff
	v_add_co_ci_u32_e64 v11, null, 0, 0, s2
	s_load_b32 s2, s[0:1], 0x44
	v_mul_lo_u32 v6, s7, v10
	v_mad_co_u64_u32 v[2:3], null, s6, v10, 0
	v_mul_lo_u32 v7, s6, v11
	v_lshlrev_b64_e32 v[18:19], 2, v[4:5]
	s_delay_alu instid0(VALU_DEP_2) | instskip(SKIP_3) | instid1(VALU_DEP_3)
	v_add3_u32 v3, v3, v7, v6
	v_add_co_u32 v6, s18, v8, s20
	s_wait_alu 0xf1ff
	v_add_co_ci_u32_e64 v7, null, 0, s21, s18
	v_lshlrev_b64_e32 v[4:5], 2, v[2:3]
	s_delay_alu instid0(VALU_DEP_3) | instskip(SKIP_1) | instid1(VALU_DEP_3)
	v_add_co_u32 v8, vcc_lo, v6, 4
	s_wait_alu 0xfffd
	v_add_co_ci_u32_e64 v9, null, 0, v7, vcc_lo
	s_wait_kmcnt 0x0
	s_lshl_b32 s18, s2, 7
	v_add_co_u32 v52, vcc_lo, s8, v4
	s_wait_alu 0xfffd
	v_add_co_ci_u32_e64 v53, null, s9, v5, vcc_lo
	v_add_co_u32 v54, vcc_lo, s10, v4
	s_wait_alu 0xfffd
	v_add_co_ci_u32_e64 v55, null, s11, v5, vcc_lo
	;; [unrolled: 3-line block ×5, first 2 shown]
	v_add_co_u32 v42, vcc_lo, v6, 20
	v_mad_co_u64_u32 v[22:23], null, s6, v4, s[8:9]
	v_mul_lo_u32 v5, s6, v5
	v_mul_lo_u32 v15, s7, v4
	v_mad_co_u64_u32 v[36:37], null, s6, v4, s[10:11]
	s_wait_alu 0xfffd
	v_add_co_ci_u32_e64 v30, null, 0, v7, vcc_lo
	v_add_co_u32 v44, vcc_lo, v6, 24
	s_wait_alu 0xfffd
	v_add_co_ci_u32_e64 v32, null, 0, v7, vcc_lo
	v_add_co_u32 v6, vcc_lo, v6, 28
	v_mad_co_u64_u32 v[20:21], null, s6, v8, s[8:9]
	v_mul_lo_u32 v9, s6, v9
	v_mul_lo_u32 v12, s7, v8
	v_mad_co_u64_u32 v[34:35], null, s6, v8, s[10:11]
	s_wait_alu 0xfffd
	v_add_co_ci_u32_e64 v7, null, 0, v7, vcc_lo
	v_add_co_u32 v4, vcc_lo, v10, 7
	v_add3_u32 v23, v15, v23, v5
	v_add3_u32 v37, v15, v37, v5
	s_wait_alu 0xfffd
	v_add_co_ci_u32_e64 v5, null, 0, v11, vcc_lo
	v_mul_lo_u32 v61, s6, v7
	v_add_co_u32 v7, vcc_lo, v10, 6
	v_add3_u32 v21, v12, v21, v9
	v_add3_u32 v35, v12, v35, v9
	s_wait_alu 0xfffd
	v_add_co_ci_u32_e64 v12, null, 0, v11, vcc_lo
	v_mul_lo_u32 v8, s7, v4
	v_mul_lo_u32 v9, s6, v5
	v_mad_co_u64_u32 v[4:5], null, s6, v4, 0
	v_mad_co_u64_u32 v[24:25], null, s6, v13, s[8:9]
	v_mul_lo_u32 v17, s7, v13
	v_mul_lo_u32 v59, s6, v32
	v_mad_co_u64_u32 v[32:33], null, s6, v6, s[8:9]
	v_mul_lo_u32 v62, s7, v6
	v_mad_co_u64_u32 v[38:39], null, s6, v13, s[10:11]
	v_mad_co_u64_u32 v[46:47], null, s6, v6, s[10:11]
	v_mul_lo_u32 v13, s7, v7
	v_mul_lo_u32 v12, s6, v12
	v_mad_co_u64_u32 v[6:7], null, s6, v7, 0
	v_add3_u32 v5, v5, v9, v8
	v_add_co_u32 v8, vcc_lo, v10, 5
	v_mul_lo_u32 v48, s6, v28
	v_mad_co_u64_u32 v[28:29], null, s6, v42, s[8:9]
	v_mul_lo_u32 v57, s6, v30
	v_mul_lo_u32 v58, s7, v42
	v_mad_co_u64_u32 v[42:43], null, s6, v42, s[10:11]
	s_wait_alu 0xfffd
	v_add_co_ci_u32_e64 v9, null, 0, v11, vcc_lo
	v_add3_u32 v7, v7, v12, v13
	v_mad_co_u64_u32 v[30:31], null, s6, v44, s[8:9]
	v_mul_lo_u32 v60, s7, v44
	v_mad_co_u64_u32 v[44:45], null, s6, v44, s[10:11]
	v_lshlrev_b64_e32 v[4:5], 2, v[4:5]
	v_mul_lo_u32 v12, s7, v8
	v_mul_lo_u32 v13, s6, v9
	v_mad_co_u64_u32 v[8:9], null, s6, v8, 0
	v_lshlrev_b64_e32 v[6:7], 2, v[6:7]
	v_add3_u32 v29, v58, v29, v57
	v_add3_u32 v43, v58, v43, v57
	v_add_co_u32 v57, vcc_lo, s8, v4
	v_add3_u32 v31, v60, v31, v59
	v_add3_u32 v45, v60, v45, v59
	s_wait_alu 0xfffd
	v_add_co_ci_u32_e64 v58, null, s9, v5, vcc_lo
	v_add_co_u32 v59, vcc_lo, s10, v4
	v_add3_u32 v33, v62, v33, v61
	v_add3_u32 v47, v62, v47, v61
	s_wait_alu 0xfffd
	v_add_co_ci_u32_e64 v60, null, s11, v5, vcc_lo
	v_add_co_u32 v61, vcc_lo, s8, v6
	v_mul_lo_u32 v14, s6, v14
	v_add3_u32 v9, v9, v13, v12
	s_wait_alu 0xfffd
	v_add_co_ci_u32_e64 v62, null, s9, v7, vcc_lo
	v_add_co_u32 v12, vcc_lo, v10, 4
	v_add_co_u32 v63, s2, s10, v6
	s_wait_alu 0xfffd
	v_add_co_ci_u32_e64 v6, null, 0, v11, vcc_lo
	v_lshlrev_b64_e32 v[4:5], 2, v[8:9]
	v_add_co_u32 v8, vcc_lo, v10, 3
	s_wait_alu 0xfffd
	v_add_co_ci_u32_e64 v9, null, 0, v11, vcc_lo
	v_add3_u32 v25, v17, v25, v14
	v_add3_u32 v39, v17, v39, v14
	s_wait_alu 0xf1ff
	v_add_co_ci_u32_e64 v64, null, s11, v7, s2
	v_mul_lo_u32 v13, s7, v12
	v_mul_lo_u32 v14, s6, v6
	v_mad_co_u64_u32 v[6:7], null, s6, v12, 0
	v_mul_lo_u32 v12, s7, v8
	v_mul_lo_u32 v15, s6, v9
	v_mad_co_u64_u32 v[8:9], null, s6, v8, 0
	v_add_co_u32 v65, vcc_lo, s8, v4
	s_wait_alu 0xfffd
	v_add_co_ci_u32_e64 v66, null, s9, v5, vcc_lo
	v_add3_u32 v7, v7, v14, v13
	v_add_co_u32 v67, vcc_lo, s10, v4
	s_wait_alu 0xfffd
	v_add_co_ci_u32_e64 v68, null, s11, v5, vcc_lo
	v_add_co_u32 v10, vcc_lo, v10, 2
	v_add3_u32 v9, v9, v15, v12
	s_wait_alu 0xfffd
	v_add_co_ci_u32_e64 v11, null, 0, v11, vcc_lo
	v_lshlrev_b64_e32 v[4:5], 2, v[6:7]
	v_mul_lo_u32 v12, s7, v10
	v_lshlrev_b64_e32 v[6:7], 2, v[8:9]
	s_delay_alu instid0(VALU_DEP_4)
	v_mul_lo_u32 v11, s6, v11
	v_mad_co_u64_u32 v[8:9], null, s6, v10, 0
	v_add_co_u32 v69, vcc_lo, s8, v4
	s_wait_alu 0xfffd
	v_add_co_ci_u32_e64 v70, null, s9, v5, vcc_lo
	v_add_co_u32 v71, vcc_lo, s10, v4
	s_wait_alu 0xfffd
	v_add_co_ci_u32_e64 v72, null, s11, v5, vcc_lo
	;; [unrolled: 3-line block ×3, first 2 shown]
	v_add3_u32 v9, v9, v11, v12
	v_add_co_u32 v75, vcc_lo, s10, v6
	s_wait_alu 0xfffd
	v_add_co_ci_u32_e64 v76, null, s11, v7, vcc_lo
	v_add_co_u32 v2, vcc_lo, v2, s6
	s_wait_alu 0xfffd
	v_add_co_ci_u32_e64 v3, null, s7, v3, vcc_lo
	v_lshlrev_b64_e32 v[4:5], 2, v[8:9]
	v_mad_co_u64_u32 v[26:27], null, s6, v16, s[8:9]
	s_delay_alu instid0(VALU_DEP_3)
	v_lshlrev_b64_e32 v[2:3], 2, v[2:3]
	v_mul_lo_u32 v56, s7, v16
	v_mad_co_u64_u32 v[40:41], null, s6, v16, s[10:11]
	v_add_co_u32 v77, vcc_lo, s8, v4
	s_wait_alu 0xfffd
	v_add_co_ci_u32_e64 v78, null, s9, v5, vcc_lo
	v_add_co_u32 v79, vcc_lo, s10, v4
	s_wait_alu 0xfffd
	v_add_co_ci_u32_e64 v80, null, s11, v5, vcc_lo
	;; [unrolled: 3-line block ×3, first 2 shown]
	v_add_co_u32 v83, vcc_lo, s10, v2
	v_add3_u32 v27, v56, v27, v48
	v_add3_u32 v41, v56, v41, v48
	s_wait_alu 0xfffd
	v_add_co_ci_u32_e64 v84, null, s11, v3, vcc_lo
	v_mov_b32_e32 v56, 0
	v_mov_b32_e32 v48, 0
	s_wait_alu 0xfffe
	s_mul_u64 s[20:21], s[6:7], s[18:19]
	s_add_nc_u64 s[8:9], s[0:1], 64
	s_wait_alu 0xfffe
	s_lshl_b64 s[10:11], s[20:21], 2
	s_add_nc_u64 s[20:21], s[16:17], 0x7f
	s_branch .LBB67_56
.LBB67_53:                              ;   in Loop: Header=BB67_56 Depth=1
	s_wait_alu 0xfffe
	s_or_b32 exec_lo, exec_lo, s22
.LBB67_54:                              ;   in Loop: Header=BB67_56 Depth=1
	s_wait_alu 0xfffe
	s_or_b32 exec_lo, exec_lo, s2
	v_add_co_u32 v2, vcc_lo, v52, v18
	s_wait_alu 0xfffd
	v_add_co_ci_u32_e64 v3, null, v53, v19, vcc_lo
	s_wait_loadcnt 0x1
	ds_bpermute_b32 v88, v1, v4
	global_load_b32 v6, v[2:3], off
	v_add_co_u32 v2, vcc_lo, v54, v18
	s_wait_alu 0xfffd
	v_add_co_ci_u32_e64 v3, null, v55, v19, vcc_lo
	global_load_b32 v7, v[2:3], off
	v_add_co_u32 v2, vcc_lo, v20, v18
	s_wait_alu 0xfffd
	v_add_co_ci_u32_e64 v3, null, v21, v19, vcc_lo
	;; [unrolled: 4-line block ×15, first 2 shown]
	global_load_b32 v3, v[2:3], off
	s_wait_loadcnt 0x10
	ds_bpermute_b32 v2, v1, v5
	s_wait_loadcnt_dscnt 0xe01
	v_sub_f32_e32 v7, v7, v88
	s_delay_alu instid0(VALU_DEP_1) | instskip(SKIP_1) | instid1(VALU_DEP_1)
	v_mul_f32_e32 v7, v6, v7
	s_wait_dscnt 0x0
	v_fmac_f32_e32 v56, v7, v2
	ds_bpermute_b32 v7, v1, v4 offset:4
	v_add_f32_e32 v2, v48, v6
	ds_bpermute_b32 v6, v1, v5 offset:4
	s_wait_loadcnt 0xd
	v_add_f32_e32 v2, v2, v8
	s_wait_loadcnt 0xb
	s_delay_alu instid0(VALU_DEP_1) | instskip(SKIP_3) | instid1(VALU_DEP_1)
	v_add_f32_e32 v2, v2, v11
	s_wait_dscnt 0x1
	v_sub_f32_e32 v7, v10, v7
	s_wait_loadcnt 0x9
	v_dual_mul_f32 v7, v8, v7 :: v_dual_add_f32 v2, v2, v13
	s_wait_dscnt 0x0
	s_delay_alu instid0(VALU_DEP_1)
	v_fmac_f32_e32 v56, v7, v6
	ds_bpermute_b32 v7, v1, v4 offset:8
	ds_bpermute_b32 v6, v1, v5 offset:8
	s_wait_loadcnt 0x7
	v_add_f32_e32 v2, v2, v15
	s_wait_dscnt 0x1
	v_sub_f32_e32 v7, v12, v7
	s_delay_alu instid0(VALU_DEP_1) | instskip(SKIP_1) | instid1(VALU_DEP_1)
	v_mul_f32_e32 v7, v11, v7
	s_wait_dscnt 0x0
	v_fmac_f32_e32 v56, v7, v6
	ds_bpermute_b32 v7, v1, v4 offset:12
	ds_bpermute_b32 v6, v1, v5 offset:12
	s_wait_loadcnt 0x5
	v_add_f32_e32 v2, v2, v17
	s_wait_loadcnt 0x3
	s_delay_alu instid0(VALU_DEP_1) | instskip(SKIP_2) | instid1(VALU_DEP_1)
	v_add_f32_e32 v2, v2, v86
	s_wait_dscnt 0x1
	v_sub_f32_e32 v7, v14, v7
	v_mul_f32_e32 v7, v13, v7
	s_wait_dscnt 0x0
	s_delay_alu instid0(VALU_DEP_1) | instskip(SKIP_4) | instid1(VALU_DEP_1)
	v_fmac_f32_e32 v56, v7, v6
	ds_bpermute_b32 v7, v1, v4 offset:16
	ds_bpermute_b32 v6, v1, v5 offset:16
	s_wait_dscnt 0x1
	v_sub_f32_e32 v7, v16, v7
	v_mul_f32_e32 v7, v15, v7
	s_wait_dscnt 0x0
	s_delay_alu instid0(VALU_DEP_1) | instskip(SKIP_4) | instid1(VALU_DEP_1)
	v_fmac_f32_e32 v56, v7, v6
	ds_bpermute_b32 v7, v1, v4 offset:20
	ds_bpermute_b32 v6, v1, v5 offset:20
	s_wait_dscnt 0x1
	v_sub_f32_e32 v7, v85, v7
	v_mul_f32_e32 v7, v17, v7
	s_wait_dscnt 0x0
	s_delay_alu instid0(VALU_DEP_1)
	v_fmac_f32_e32 v56, v7, v6
	ds_bpermute_b32 v7, v1, v4 offset:24
	ds_bpermute_b32 v4, v1, v4 offset:28
	;; [unrolled: 1-line block ×4, first 2 shown]
	s_wait_loadcnt_dscnt 0x203
	v_sub_f32_e32 v7, v87, v7
	s_wait_loadcnt_dscnt 0x2
	v_sub_f32_e32 v3, v3, v4
	s_delay_alu instid0(VALU_DEP_2) | instskip(SKIP_1) | instid1(VALU_DEP_1)
	v_mul_f32_e32 v7, v86, v7
	s_wait_dscnt 0x1
	v_dual_mul_f32 v3, v9, v3 :: v_dual_fmac_f32 v56, v7, v6
	s_wait_dscnt 0x0
	s_delay_alu instid0(VALU_DEP_1)
	v_dual_mul_f32 v3, v3, v5 :: v_dual_mov_b32 v10, v56
.LBB67_55:                              ;   in Loop: Header=BB67_56 Depth=1
	v_add_co_u32 v52, vcc_lo, v52, s10
	s_wait_alu 0xfffd
	v_add_co_ci_u32_e64 v53, null, s11, v53, vcc_lo
	v_add_co_u32 v54, vcc_lo, v54, s10
	s_wait_alu 0xfffd
	v_add_co_ci_u32_e64 v55, null, s11, v55, vcc_lo
	;; [unrolled: 3-line block ×27, first 2 shown]
	v_add_co_u32 v79, vcc_lo, v79, s10
	s_add_nc_u64 s[16:17], s[16:17], s[18:19]
	s_wait_alu 0xfffd
	v_add_co_ci_u32_e64 v80, null, s11, v80, vcc_lo
	v_add_co_u32 v81, vcc_lo, v81, s10
	s_wait_alu 0xfffe
	v_cmp_ge_i64_e64 s2, s[16:17], s[4:5]
	s_wait_alu 0xfffd
	v_add_co_ci_u32_e64 v82, null, s11, v82, vcc_lo
	v_add_co_u32 v83, vcc_lo, v83, s10
	v_add_f32_e32 v56, v10, v3
	v_add_f32_e32 v48, v2, v9
	s_wait_alu 0xfffd
	v_add_co_ci_u32_e64 v84, null, s11, v84, vcc_lo
	s_and_b32 vcc_lo, exec_lo, s2
	s_add_nc_u64 s[20:21], s[20:21], s[18:19]
	s_wait_alu 0xfffe
	s_cbranch_vccnz .LBB67_82
.LBB67_56:                              ; =>This Inner Loop Header: Depth=1
	s_wait_alu 0xfffe
	v_cmp_ge_i64_e64 s2, s[20:21], s[4:5]
	v_add_co_u32 v85, s22, v50, s20
	s_wait_alu 0xf1ff
	v_add_co_ci_u32_e64 v86, null, 0, s21, s22
                                        ; implicit-def: $vgpr9
                                        ; implicit-def: $vgpr3
                                        ; implicit-def: $vgpr2
                                        ; implicit-def: $vgpr10
	s_and_b32 vcc_lo, exec_lo, s2
	s_mov_b32 s2, -1
	s_wait_alu 0xfffe
	s_cbranch_vccz .LBB67_78
; %bb.57:                               ;   in Loop: Header=BB67_56 Depth=1
	s_load_b32 s2, s[8:9], 0xc
	v_dual_mov_b32 v88, 0 :: v_dual_mov_b32 v87, 0
	s_wait_kmcnt 0x0
	s_and_b32 s2, s2, 0xffff
	s_wait_alu 0xfffe
	v_mad_u32_u24 v2, v49, s2, v51
	s_mov_b32 s2, exec_lo
	s_delay_alu instid0(VALU_DEP_1) | instskip(NEXT) | instid1(VALU_DEP_1)
	v_and_b32_e32 v2, 31, v2
	v_cmpx_gt_u32_e32 8, v2
	s_cbranch_execz .LBB67_61
; %bb.58:                               ;   in Loop: Header=BB67_56 Depth=1
	v_add_co_u32 v2, vcc_lo, v85, v2
	s_wait_alu 0xfffd
	v_add_co_ci_u32_e64 v3, null, 0, v86, vcc_lo
	v_dual_mov_b32 v87, 0 :: v_dual_mov_b32 v88, 0
	s_delay_alu instid0(VALU_DEP_3) | instskip(SKIP_1) | instid1(VALU_DEP_3)
	v_add_co_u32 v2, vcc_lo, 0xffffff81, v2
	s_wait_alu 0xfffd
	v_add_co_ci_u32_e64 v3, null, -1, v3, vcc_lo
	s_mov_b32 s22, exec_lo
	v_cmpx_gt_i64_e64 s[4:5], v[2:3]
	s_cbranch_execz .LBB67_60
; %bb.59:                               ;   in Loop: Header=BB67_56 Depth=1
	v_lshlrev_b64_e32 v[2:3], 2, v[2:3]
	s_delay_alu instid0(VALU_DEP_1) | instskip(SKIP_1) | instid1(VALU_DEP_2)
	v_add_co_u32 v4, vcc_lo, s12, v2
	s_wait_alu 0xfffd
	v_add_co_ci_u32_e64 v5, null, s13, v3, vcc_lo
	v_add_co_u32 v2, vcc_lo, s14, v2
	s_wait_alu 0xfffd
	v_add_co_ci_u32_e64 v3, null, s15, v3, vcc_lo
	global_load_b32 v87, v[4:5], off
	global_load_b32 v88, v[2:3], off
.LBB67_60:                              ;   in Loop: Header=BB67_56 Depth=1
	s_wait_alu 0xfffe
	s_or_b32 exec_lo, exec_lo, s22
.LBB67_61:                              ;   in Loop: Header=BB67_56 Depth=1
	s_wait_alu 0xfffe
	s_or_b32 exec_lo, exec_lo, s2
	v_add_co_u32 v9, vcc_lo, 0xffffff81, v85
	s_wait_alu 0xfffd
	v_add_co_ci_u32_e64 v10, null, -1, v86, vcc_lo
	v_mov_b32_e32 v8, v1
	v_dual_mov_b32 v2, v1 :: v_dual_mov_b32 v3, v1
	v_dual_mov_b32 v4, v1 :: v_dual_mov_b32 v5, v1
	;; [unrolled: 1-line block ×3, first 2 shown]
	v_cmp_gt_i64_e32 vcc_lo, s[4:5], v[9:10]
	s_delay_alu instid0(VALU_DEP_3) | instskip(NEXT) | instid1(VALU_DEP_3)
	v_dual_mov_b32 v17, v8 :: v_dual_mov_b32 v14, v5
	v_dual_mov_b32 v15, v6 :: v_dual_mov_b32 v16, v7
	;; [unrolled: 1-line block ×4, first 2 shown]
	v_mov_b32_e32 v9, v8
	v_mov_b32_e32 v8, v7
	;; [unrolled: 1-line block ×8, first 2 shown]
	s_and_saveexec_b32 s2, vcc_lo
	s_cbranch_execz .LBB67_63
; %bb.62:                               ;   in Loop: Header=BB67_56 Depth=1
	v_add_co_u32 v2, vcc_lo, v52, v18
	s_wait_alu 0xfffd
	v_add_co_ci_u32_e64 v3, null, v53, v19, vcc_lo
	v_add_co_u32 v4, vcc_lo, v54, v18
	s_wait_alu 0xfffd
	v_add_co_ci_u32_e64 v5, null, v55, v19, vcc_lo
	global_load_b32 v2, v[2:3], off
	global_load_b32 v10, v[4:5], off
	v_dual_mov_b32 v3, v1 :: v_dual_mov_b32 v4, v1
	v_dual_mov_b32 v5, v1 :: v_dual_mov_b32 v6, v1
	;; [unrolled: 1-line block ×6, first 2 shown]
	v_mov_b32_e32 v15, v1
	v_mov_b32_e32 v17, v1
.LBB67_63:                              ;   in Loop: Header=BB67_56 Depth=1
	s_wait_alu 0xfffe
	s_or_b32 exec_lo, exec_lo, s2
	v_add_co_u32 v89, vcc_lo, 0xffffff82, v85
	s_wait_alu 0xfffd
	v_add_co_ci_u32_e64 v90, null, -1, v86, vcc_lo
	s_mov_b32 s2, exec_lo
	v_cmpx_gt_i64_e64 s[4:5], v[89:90]
	s_cbranch_execz .LBB67_65
; %bb.64:                               ;   in Loop: Header=BB67_56 Depth=1
	v_add_co_u32 v89, vcc_lo, v81, v18
	s_wait_alu 0xfffd
	v_add_co_ci_u32_e64 v90, null, v82, v19, vcc_lo
	v_add_co_u32 v91, vcc_lo, v83, v18
	s_wait_alu 0xfffd
	v_add_co_ci_u32_e64 v92, null, v84, v19, vcc_lo
	global_load_b32 v3, v[89:90], off
	global_load_b32 v11, v[91:92], off
.LBB67_65:                              ;   in Loop: Header=BB67_56 Depth=1
	s_wait_alu 0xfffe
	s_or_b32 exec_lo, exec_lo, s2
	v_add_co_u32 v89, vcc_lo, 0xffffff83, v85
	s_wait_alu 0xfffd
	v_add_co_ci_u32_e64 v90, null, -1, v86, vcc_lo
	s_mov_b32 s2, exec_lo
	v_cmpx_gt_i64_e64 s[4:5], v[89:90]
	s_cbranch_execz .LBB67_67
; %bb.66:                               ;   in Loop: Header=BB67_56 Depth=1
	v_add_co_u32 v89, vcc_lo, v77, v18
	s_wait_alu 0xfffd
	v_add_co_ci_u32_e64 v90, null, v78, v19, vcc_lo
	v_add_co_u32 v91, vcc_lo, v79, v18
	s_wait_alu 0xfffd
	v_add_co_ci_u32_e64 v92, null, v80, v19, vcc_lo
	global_load_b32 v4, v[89:90], off
	global_load_b32 v12, v[91:92], off
.LBB67_67:                              ;   in Loop: Header=BB67_56 Depth=1
	;; [unrolled: 18-line block ×7, first 2 shown]
	s_wait_alu 0xfffe
	s_or_b32 exec_lo, exec_lo, s2
	s_wait_loadcnt 0x1
	ds_bpermute_b32 v90, v1, v87
	s_wait_loadcnt 0x0
	ds_bpermute_b32 v89, v1, v88
	s_mov_b32 s2, 0
	s_wait_dscnt 0x1
	v_sub_f32_e32 v10, v10, v90
	ds_bpermute_b32 v90, v1, v87 offset:4
	s_wait_dscnt 0x0
	v_sub_f32_e32 v11, v11, v90
	s_delay_alu instid0(VALU_DEP_1) | instskip(SKIP_1) | instid1(VALU_DEP_2)
	v_dual_mul_f32 v11, v3, v11 :: v_dual_mul_f32 v10, v2, v10
	v_add_f32_e32 v2, v48, v2
	v_fma_f32 v10, v10, v89, v56
	ds_bpermute_b32 v89, v1, v88 offset:4
	v_add_f32_e32 v2, v3, v2
	ds_bpermute_b32 v3, v1, v88 offset:8
	v_add_f32_e32 v2, v4, v2
	s_delay_alu instid0(VALU_DEP_1) | instskip(NEXT) | instid1(VALU_DEP_1)
	v_add_f32_e32 v2, v5, v2
	v_add_f32_e32 v2, v6, v2
	s_wait_dscnt 0x1
	v_fmac_f32_e32 v10, v11, v89
	ds_bpermute_b32 v11, v1, v87 offset:8
	v_add_f32_e32 v2, v7, v2
	s_delay_alu instid0(VALU_DEP_1) | instskip(SKIP_2) | instid1(VALU_DEP_1)
	v_add_f32_e32 v2, v8, v2
	s_wait_dscnt 0x0
	v_sub_f32_e32 v11, v12, v11
	v_mul_f32_e32 v11, v4, v11
	ds_bpermute_b32 v4, v1, v87 offset:12
	v_fmac_f32_e32 v10, v11, v3
	ds_bpermute_b32 v3, v1, v88 offset:12
	s_wait_dscnt 0x1
	v_sub_f32_e32 v4, v13, v4
	s_delay_alu instid0(VALU_DEP_1) | instskip(SKIP_1) | instid1(VALU_DEP_1)
	v_mul_f32_e32 v4, v5, v4
	s_wait_dscnt 0x0
	v_fmac_f32_e32 v10, v4, v3
	ds_bpermute_b32 v4, v1, v87 offset:16
	ds_bpermute_b32 v3, v1, v88 offset:16
	s_wait_dscnt 0x1
	v_sub_f32_e32 v4, v14, v4
	s_delay_alu instid0(VALU_DEP_1) | instskip(SKIP_1) | instid1(VALU_DEP_1)
	v_mul_f32_e32 v4, v6, v4
	s_wait_dscnt 0x0
	v_fmac_f32_e32 v10, v4, v3
	ds_bpermute_b32 v4, v1, v87 offset:20
	;; [unrolled: 8-line block ×4, first 2 shown]
	ds_bpermute_b32 v3, v1, v88 offset:28
	s_wait_dscnt 0x1
	v_sub_f32_e32 v4, v17, v4
	s_delay_alu instid0(VALU_DEP_1) | instskip(SKIP_1) | instid1(VALU_DEP_1)
	v_mul_f32_e32 v4, v9, v4
	s_wait_dscnt 0x0
	v_mul_f32_e32 v3, v4, v3
.LBB67_78:                              ;   in Loop: Header=BB67_56 Depth=1
	s_wait_alu 0xfffe
	s_and_b32 vcc_lo, exec_lo, s2
	s_wait_alu 0xfffe
	s_cbranch_vccz .LBB67_55
; %bb.79:                               ;   in Loop: Header=BB67_56 Depth=1
	s_load_b32 s2, s[8:9], 0x0
	v_dual_mov_b32 v4, 0 :: v_dual_mov_b32 v5, 0
	s_wait_kmcnt 0x0
	s_cmp_lt_u32 ttmp9, s2
	s_cselect_b32 s2, 12, 18
	s_wait_alu 0xfffe
	s_add_nc_u64 s[22:23], s[8:9], s[2:3]
	s_load_u16 s2, s[22:23], 0x0
	s_wait_kmcnt 0x0
	v_mad_u32_u24 v2, v49, s2, v51
	s_mov_b32 s2, exec_lo
	s_delay_alu instid0(VALU_DEP_1) | instskip(NEXT) | instid1(VALU_DEP_1)
	v_and_b32_e32 v2, 31, v2
	v_cmpx_gt_u32_e32 8, v2
	s_cbranch_execz .LBB67_54
; %bb.80:                               ;   in Loop: Header=BB67_56 Depth=1
	v_add_co_u32 v2, vcc_lo, v85, v2
	s_wait_alu 0xfffd
	v_add_co_ci_u32_e64 v3, null, 0, v86, vcc_lo
	v_dual_mov_b32 v4, 0 :: v_dual_mov_b32 v5, 0
	s_delay_alu instid0(VALU_DEP_3) | instskip(SKIP_1) | instid1(VALU_DEP_3)
	v_add_co_u32 v2, vcc_lo, 0xffffff81, v2
	s_wait_alu 0xfffd
	v_add_co_ci_u32_e64 v3, null, -1, v3, vcc_lo
	s_mov_b32 s22, exec_lo
	v_cmpx_gt_i64_e64 s[4:5], v[2:3]
	s_cbranch_execz .LBB67_53
; %bb.81:                               ;   in Loop: Header=BB67_56 Depth=1
	v_lshlrev_b64_e32 v[2:3], 2, v[2:3]
	s_delay_alu instid0(VALU_DEP_1) | instskip(SKIP_1) | instid1(VALU_DEP_2)
	v_add_co_u32 v4, vcc_lo, s12, v2
	s_wait_alu 0xfffd
	v_add_co_ci_u32_e64 v5, null, s13, v3, vcc_lo
	v_add_co_u32 v2, vcc_lo, s14, v2
	s_wait_alu 0xfffd
	v_add_co_ci_u32_e64 v3, null, s15, v3, vcc_lo
	global_load_b32 v4, v[4:5], off
	global_load_b32 v5, v[2:3], off
	s_branch .LBB67_53
.LBB67_82:
	v_and_b32_e32 v6, 0x3ff, v0
	v_bfe_u32 v1, v0, 10, 10
	v_bfe_u32 v0, v0, 5, 5
	s_mov_b32 s2, exec_lo
	s_delay_alu instid0(VALU_DEP_2) | instskip(NEXT) | instid1(VALU_DEP_2)
	v_mad_u32_u24 v3, v1, 33, v6
	v_add_nc_u32_e32 v2, v0, v1
	s_delay_alu instid0(VALU_DEP_2)
	v_lshl_add_u32 v0, v3, 2, 0
	ds_store_b32 v0, v56
	ds_store_b32 v0, v48 offset:2112
	s_wait_dscnt 0x0
	s_barrier_signal -1
	s_barrier_wait -1
	global_inv scope:SCOPE_SE
	v_cmpx_gt_u32_e32 32, v2
	s_cbranch_execz .LBB67_98
; %bb.83:
	s_load_b128 s[8:11], s[0:1], 0x30
	v_and_b32_e32 v0, 31, v6
                                        ; implicit-def: $vgpr1
	s_delay_alu instid0(VALU_DEP_1)
	v_cmp_gt_u32_e64 s0, 16, v0
	v_mul_u32_u24_e32 v3, 33, v0
                                        ; implicit-def: $vgpr0
	s_and_saveexec_b32 s1, s0
	s_cbranch_execz .LBB67_85
; %bb.84:
	s_delay_alu instid0(VALU_DEP_1) | instskip(NEXT) | instid1(VALU_DEP_1)
	v_add_nc_u32_e32 v0, v2, v3
	v_lshl_add_u32 v0, v0, 2, 0
	ds_load_b32 v1, v0
	ds_load_b32 v0, v0 offset:2112
.LBB67_85:
	s_or_b32 exec_lo, exec_lo, s1
	v_mbcnt_lo_u32_b32 v8, -1, 0
	s_mov_b32 s2, ttmp9
	s_mov_b32 s3, 0
	v_cmp_eq_u32_e64 s1, 0, v6
	s_wait_alu 0xfffe
	s_lshl_b64 s[2:3], s[2:3], 5
	v_xor_b32_e32 v4, 8, v8
	v_xor_b32_e32 v5, 4, v8
	;; [unrolled: 1-line block ×3, first 2 shown]
	s_wait_kmcnt 0x0
	s_cmp_lg_u64 s[8:9], 0
	s_cselect_b32 s5, -1, 0
	v_cmp_gt_i32_e32 vcc_lo, 32, v4
	s_cmp_lg_u64 s[10:11], 0
	s_cselect_b32 s4, -1, 0
	s_wait_alu 0xfffd
	v_cndmask_b32_e32 v4, v8, v4, vcc_lo
	v_cmp_gt_i32_e32 vcc_lo, 32, v5
	s_wait_alu 0xfffd
	v_cndmask_b32_e32 v5, v8, v5, vcc_lo
	s_delay_alu instid0(VALU_DEP_1)
	v_lshlrev_b32_e32 v5, 2, v5
	v_lshlrev_b32_e32 v4, 2, v4
	s_wait_dscnt 0x1
	ds_bpermute_b32 v7, v4, v1
	s_wait_dscnt 0x0
	v_add_f32_e32 v1, v1, v7
	ds_bpermute_b32 v9, v4, v0
	v_xor_b32_e32 v7, 2, v8
	s_delay_alu instid0(VALU_DEP_1) | instskip(SKIP_4) | instid1(VALU_DEP_2)
	v_cmp_gt_i32_e32 vcc_lo, 32, v7
	s_wait_alu 0xfffd
	v_cndmask_b32_e32 v7, v8, v7, vcc_lo
	v_cmp_gt_i32_e32 vcc_lo, 32, v11
	s_wait_dscnt 0x0
	v_dual_add_f32 v0, v0, v9 :: v_dual_lshlrev_b32 v7, 2, v7
	ds_bpermute_b32 v9, v5, v1
	ds_bpermute_b32 v10, v5, v0
	s_wait_dscnt 0x0
	v_dual_add_f32 v1, v1, v9 :: v_dual_add_f32 v0, v0, v10
	ds_bpermute_b32 v9, v7, v1
	s_wait_alu 0xfffd
	v_cndmask_b32_e32 v8, v8, v11, vcc_lo
	ds_bpermute_b32 v10, v7, v0
	s_wait_dscnt 0x1
	v_dual_add_f32 v9, v1, v9 :: v_dual_lshlrev_b32 v8, 2, v8
	s_wait_dscnt 0x0
	s_wait_alu 0xfffe
	v_dual_mov_b32 v1, s3 :: v_dual_add_f32 v10, v0, v10
	v_or_b32_e32 v0, s2, v2
	ds_bpermute_b32 v11, v8, v9
	ds_bpermute_b32 v12, v8, v10
	v_cmp_gt_i64_e32 vcc_lo, s[6:7], v[0:1]
	s_and_b32 s13, s1, vcc_lo
	s_wait_dscnt 0x0
	v_dual_add_f32 v6, v9, v11 :: v_dual_add_f32 v9, v10, v12
	s_wait_alu 0xfffe
	s_and_saveexec_b32 s12, s13
	s_cbranch_execz .LBB67_90
; %bb.86:
	v_lshlrev_b64_e32 v[0:1], 2, v[0:1]
	s_and_not1_b32 vcc_lo, exec_lo, s5
	s_wait_alu 0xfffe
	s_cbranch_vccnz .LBB67_88
; %bb.87:
	s_delay_alu instid0(VALU_DEP_1)
	v_add_co_u32 v10, vcc_lo, s8, v0
	s_wait_alu 0xfffd
	v_add_co_ci_u32_e64 v11, null, s9, v1, vcc_lo
	global_store_b32 v[10:11], v6, off
.LBB67_88:
	s_and_not1_b32 vcc_lo, exec_lo, s4
	s_wait_alu 0xfffe
	s_cbranch_vccnz .LBB67_90
; %bb.89:
	v_add_co_u32 v0, vcc_lo, s10, v0
	s_wait_alu 0xfffd
	v_add_co_ci_u32_e64 v1, null, s11, v1, vcc_lo
	global_store_b32 v[0:1], v9, off
.LBB67_90:
	s_wait_alu 0xfffe
	s_or_b32 exec_lo, exec_lo, s12
	v_cmp_gt_u32_e32 vcc_lo, 16, v2
	s_and_b32 exec_lo, exec_lo, vcc_lo
	s_cbranch_execz .LBB67_98
; %bb.91:
	s_and_saveexec_b32 s12, s0
	s_cbranch_execz .LBB67_93
; %bb.92:
	v_add_nc_u32_e32 v0, v2, v3
	s_delay_alu instid0(VALU_DEP_1)
	v_lshl_add_u32 v0, v0, 2, 0
	ds_load_b32 v6, v0 offset:64
	ds_load_b32 v9, v0 offset:2176
.LBB67_93:
	s_wait_alu 0xfffe
	s_or_b32 exec_lo, exec_lo, s12
	s_wait_dscnt 0x1
	ds_bpermute_b32 v0, v4, v6
	s_wait_dscnt 0x1
	ds_bpermute_b32 v1, v4, v9
	s_wait_dscnt 0x0
	v_dual_add_f32 v0, v6, v0 :: v_dual_add_f32 v1, v9, v1
	v_mov_b32_e32 v6, s3
	ds_bpermute_b32 v3, v5, v0
	ds_bpermute_b32 v4, v5, v1
	v_add_nc_u32_e32 v5, 16, v2
	s_delay_alu instid0(VALU_DEP_1) | instskip(NEXT) | instid1(VALU_DEP_1)
	v_or_b32_e32 v5, s2, v5
	v_cmp_gt_i64_e32 vcc_lo, s[6:7], v[5:6]
	s_and_b32 s0, s1, vcc_lo
	s_wait_dscnt 0x0
	v_dual_add_f32 v0, v0, v3 :: v_dual_add_f32 v1, v1, v4
	ds_bpermute_b32 v3, v7, v0
	ds_bpermute_b32 v4, v7, v1
	s_wait_dscnt 0x0
	v_dual_add_f32 v3, v0, v3 :: v_dual_add_f32 v0, v1, v4
	ds_bpermute_b32 v4, v8, v3
	ds_bpermute_b32 v1, v8, v0
	s_and_b32 exec_lo, exec_lo, s0
	s_cbranch_execz .LBB67_98
; %bb.94:
	s_and_not1_b32 vcc_lo, exec_lo, s5
	s_wait_alu 0xfffe
	s_cbranch_vccnz .LBB67_96
; %bb.95:
	v_add_co_u32 v5, s0, s2, v2
	s_delay_alu instid0(VALU_DEP_1) | instskip(SKIP_2) | instid1(VALU_DEP_2)
	v_add_co_ci_u32_e64 v6, null, s3, 0, s0
	s_wait_dscnt 0x1
	v_add_f32_e32 v7, v3, v4
	v_lshlrev_b64_e32 v[5:6], 2, v[5:6]
	s_delay_alu instid0(VALU_DEP_1) | instskip(SKIP_1) | instid1(VALU_DEP_2)
	v_add_co_u32 v3, vcc_lo, s8, v5
	s_wait_alu 0xfffd
	v_add_co_ci_u32_e64 v4, null, s9, v6, vcc_lo
	global_store_b32 v[3:4], v7, off offset:64
.LBB67_96:
	s_and_not1_b32 vcc_lo, exec_lo, s4
	s_wait_alu 0xfffe
	s_cbranch_vccnz .LBB67_98
; %bb.97:
	v_add_co_u32 v2, s0, s2, v2
	s_wait_alu 0xf1ff
	v_add_co_ci_u32_e64 v3, null, s3, 0, s0
	s_wait_dscnt 0x0
	v_add_f32_e32 v4, v0, v1
	s_delay_alu instid0(VALU_DEP_2) | instskip(NEXT) | instid1(VALU_DEP_1)
	v_lshlrev_b64_e32 v[2:3], 2, v[2:3]
	v_add_co_u32 v0, vcc_lo, s10, v2
	s_wait_alu 0xfffd
	s_delay_alu instid0(VALU_DEP_2)
	v_add_co_ci_u32_e64 v1, null, s11, v3, vcc_lo
	global_store_b32 v[0:1], v4, off offset:64
.LBB67_98:
	s_endpgm
	.section	.rodata,"a",@progbits
	.p2align	6, 0x0
	.amdhsa_kernel _ZN2at6native12_GLOBAL__N_135GammaBetaBackwardCUDAKernelTemplateIffLj32ELj16ELj128ELb0ELb0ELb0EEEvllPKT_S5_PKT0_S8_PS3_S9_
		.amdhsa_group_segment_fixed_size 0
		.amdhsa_private_segment_fixed_size 0
		.amdhsa_kernarg_size 320
		.amdhsa_user_sgpr_count 2
		.amdhsa_user_sgpr_dispatch_ptr 0
		.amdhsa_user_sgpr_queue_ptr 0
		.amdhsa_user_sgpr_kernarg_segment_ptr 1
		.amdhsa_user_sgpr_dispatch_id 0
		.amdhsa_user_sgpr_private_segment_size 0
		.amdhsa_wavefront_size32 1
		.amdhsa_uses_dynamic_stack 0
		.amdhsa_enable_private_segment 0
		.amdhsa_system_sgpr_workgroup_id_x 1
		.amdhsa_system_sgpr_workgroup_id_y 1
		.amdhsa_system_sgpr_workgroup_id_z 0
		.amdhsa_system_sgpr_workgroup_info 0
		.amdhsa_system_vgpr_workitem_id 1
		.amdhsa_next_free_vgpr 93
		.amdhsa_next_free_sgpr 36
		.amdhsa_reserve_vcc 1
		.amdhsa_float_round_mode_32 0
		.amdhsa_float_round_mode_16_64 0
		.amdhsa_float_denorm_mode_32 3
		.amdhsa_float_denorm_mode_16_64 3
		.amdhsa_fp16_overflow 0
		.amdhsa_workgroup_processor_mode 1
		.amdhsa_memory_ordered 1
		.amdhsa_forward_progress 1
		.amdhsa_inst_pref_size 81
		.amdhsa_round_robin_scheduling 0
		.amdhsa_exception_fp_ieee_invalid_op 0
		.amdhsa_exception_fp_denorm_src 0
		.amdhsa_exception_fp_ieee_div_zero 0
		.amdhsa_exception_fp_ieee_overflow 0
		.amdhsa_exception_fp_ieee_underflow 0
		.amdhsa_exception_fp_ieee_inexact 0
		.amdhsa_exception_int_div_zero 0
	.end_amdhsa_kernel
	.section	.text._ZN2at6native12_GLOBAL__N_135GammaBetaBackwardCUDAKernelTemplateIffLj32ELj16ELj128ELb0ELb0ELb0EEEvllPKT_S5_PKT0_S8_PS3_S9_,"axG",@progbits,_ZN2at6native12_GLOBAL__N_135GammaBetaBackwardCUDAKernelTemplateIffLj32ELj16ELj128ELb0ELb0ELb0EEEvllPKT_S5_PKT0_S8_PS3_S9_,comdat
.Lfunc_end67:
	.size	_ZN2at6native12_GLOBAL__N_135GammaBetaBackwardCUDAKernelTemplateIffLj32ELj16ELj128ELb0ELb0ELb0EEEvllPKT_S5_PKT0_S8_PS3_S9_, .Lfunc_end67-_ZN2at6native12_GLOBAL__N_135GammaBetaBackwardCUDAKernelTemplateIffLj32ELj16ELj128ELb0ELb0ELb0EEEvllPKT_S5_PKT0_S8_PS3_S9_
                                        ; -- End function
	.set _ZN2at6native12_GLOBAL__N_135GammaBetaBackwardCUDAKernelTemplateIffLj32ELj16ELj128ELb0ELb0ELb0EEEvllPKT_S5_PKT0_S8_PS3_S9_.num_vgpr, 93
	.set _ZN2at6native12_GLOBAL__N_135GammaBetaBackwardCUDAKernelTemplateIffLj32ELj16ELj128ELb0ELb0ELb0EEEvllPKT_S5_PKT0_S8_PS3_S9_.num_agpr, 0
	.set _ZN2at6native12_GLOBAL__N_135GammaBetaBackwardCUDAKernelTemplateIffLj32ELj16ELj128ELb0ELb0ELb0EEEvllPKT_S5_PKT0_S8_PS3_S9_.numbered_sgpr, 36
	.set _ZN2at6native12_GLOBAL__N_135GammaBetaBackwardCUDAKernelTemplateIffLj32ELj16ELj128ELb0ELb0ELb0EEEvllPKT_S5_PKT0_S8_PS3_S9_.num_named_barrier, 0
	.set _ZN2at6native12_GLOBAL__N_135GammaBetaBackwardCUDAKernelTemplateIffLj32ELj16ELj128ELb0ELb0ELb0EEEvllPKT_S5_PKT0_S8_PS3_S9_.private_seg_size, 0
	.set _ZN2at6native12_GLOBAL__N_135GammaBetaBackwardCUDAKernelTemplateIffLj32ELj16ELj128ELb0ELb0ELb0EEEvllPKT_S5_PKT0_S8_PS3_S9_.uses_vcc, 1
	.set _ZN2at6native12_GLOBAL__N_135GammaBetaBackwardCUDAKernelTemplateIffLj32ELj16ELj128ELb0ELb0ELb0EEEvllPKT_S5_PKT0_S8_PS3_S9_.uses_flat_scratch, 0
	.set _ZN2at6native12_GLOBAL__N_135GammaBetaBackwardCUDAKernelTemplateIffLj32ELj16ELj128ELb0ELb0ELb0EEEvllPKT_S5_PKT0_S8_PS3_S9_.has_dyn_sized_stack, 0
	.set _ZN2at6native12_GLOBAL__N_135GammaBetaBackwardCUDAKernelTemplateIffLj32ELj16ELj128ELb0ELb0ELb0EEEvllPKT_S5_PKT0_S8_PS3_S9_.has_recursion, 0
	.set _ZN2at6native12_GLOBAL__N_135GammaBetaBackwardCUDAKernelTemplateIffLj32ELj16ELj128ELb0ELb0ELb0EEEvllPKT_S5_PKT0_S8_PS3_S9_.has_indirect_call, 0
	.section	.AMDGPU.csdata,"",@progbits
; Kernel info:
; codeLenInByte = 10312
; TotalNumSgprs: 38
; NumVgprs: 93
; ScratchSize: 0
; MemoryBound: 0
; FloatMode: 240
; IeeeMode: 1
; LDSByteSize: 0 bytes/workgroup (compile time only)
; SGPRBlocks: 0
; VGPRBlocks: 11
; NumSGPRsForWavesPerEU: 38
; NumVGPRsForWavesPerEU: 93
; Occupancy: 16
; WaveLimiterHint : 0
; COMPUTE_PGM_RSRC2:SCRATCH_EN: 0
; COMPUTE_PGM_RSRC2:USER_SGPR: 2
; COMPUTE_PGM_RSRC2:TRAP_HANDLER: 0
; COMPUTE_PGM_RSRC2:TGID_X_EN: 1
; COMPUTE_PGM_RSRC2:TGID_Y_EN: 1
; COMPUTE_PGM_RSRC2:TGID_Z_EN: 0
; COMPUTE_PGM_RSRC2:TIDIG_COMP_CNT: 1
	.section	.text._ZN2at6native12_GLOBAL__N_135GammaBetaBackwardCUDAKernelTemplateIffLj32ELj32ELj256ELb0ELb1ELb0EEEvllPKT_S5_PKT0_S8_PS3_S9_,"axG",@progbits,_ZN2at6native12_GLOBAL__N_135GammaBetaBackwardCUDAKernelTemplateIffLj32ELj32ELj256ELb0ELb1ELb0EEEvllPKT_S5_PKT0_S8_PS3_S9_,comdat
	.globl	_ZN2at6native12_GLOBAL__N_135GammaBetaBackwardCUDAKernelTemplateIffLj32ELj32ELj256ELb0ELb1ELb0EEEvllPKT_S5_PKT0_S8_PS3_S9_ ; -- Begin function _ZN2at6native12_GLOBAL__N_135GammaBetaBackwardCUDAKernelTemplateIffLj32ELj32ELj256ELb0ELb1ELb0EEEvllPKT_S5_PKT0_S8_PS3_S9_
	.p2align	8
	.type	_ZN2at6native12_GLOBAL__N_135GammaBetaBackwardCUDAKernelTemplateIffLj32ELj32ELj256ELb0ELb1ELb0EEEvllPKT_S5_PKT0_S8_PS3_S9_,@function
_ZN2at6native12_GLOBAL__N_135GammaBetaBackwardCUDAKernelTemplateIffLj32ELj32ELj256ELb0ELb1ELb0EEEvllPKT_S5_PKT0_S8_PS3_S9_: ; @_ZN2at6native12_GLOBAL__N_135GammaBetaBackwardCUDAKernelTemplateIffLj32ELj32ELj256ELb0ELb1ELb0EEEvllPKT_S5_PKT0_S8_PS3_S9_
; %bb.0:
	s_load_b128 s[16:19], s[0:1], 0x0
	s_lshl_b32 s2, ttmp7, 8
	s_mov_b32 s3, 0
	v_bfe_u32 v7, v0, 10, 10
	s_wait_kmcnt 0x0
	v_cmp_gt_i64_e64 s4, s[16:17], s[2:3]
	s_and_b32 vcc_lo, exec_lo, s4
	s_cbranch_vccnz .LBB68_2
; %bb.1:
	v_bfe_u32 v1, v0, 10, 10
	s_mov_b32 s4, s3
	s_branch .LBB68_3
.LBB68_2:
	s_mov_b32 s4, -1
                                        ; implicit-def: $vgpr1
.LBB68_3:
	s_load_b128 s[12:15], s[0:1], 0x30
	v_dual_mov_b32 v17, 0 :: v_dual_and_b32 v6, 0x3ff, v0
	v_mov_b32_e32 v0, 0
	s_and_not1_b32 vcc_lo, exec_lo, s4
	s_cbranch_vccnz .LBB68_11
; %bb.4:
	s_load_b32 s20, s[0:1], 0x4c
	v_dual_mov_b32 v1, 0 :: v_dual_lshlrev_b32 v0, 3, v7
	s_clause 0x1
	s_load_b32 s22, s[0:1], 0x44
	s_load_b256 s[4:11], s[0:1], 0x10
	s_mov_b32 s21, 0
	v_dual_mov_b32 v8, 4 :: v_dual_mov_b32 v9, 8
	v_add_co_u32 v2, s0, v0, s2
	s_delay_alu instid0(VALU_DEP_1) | instskip(SKIP_1) | instid1(VALU_DEP_3)
	v_add_co_ci_u32_e64 v3, null, 0, 0, s0
	v_lshl_add_u32 v0, ttmp9, 5, v6
	v_mul_lo_u32 v14, s19, v2
	v_mad_co_u64_u32 v[4:5], null, s18, v2, 0
	s_delay_alu instid0(VALU_DEP_4) | instskip(NEXT) | instid1(VALU_DEP_4)
	v_mul_lo_u32 v17, s18, v3
	v_lshlrev_b64_e32 v[15:16], 2, v[0:1]
	v_dual_mov_b32 v10, 12 :: v_dual_mov_b32 v11, 16
	v_mov_b32_e32 v0, 0
	s_wait_kmcnt 0x0
	s_and_b32 s0, s20, 0xffff
	s_lshl_b32 s20, s22, 8
	s_wait_alu 0xfffe
	v_mad_u32_u24 v13, v7, s0, v6
	v_mov_b32_e32 v12, 20
	v_add3_u32 v5, v5, v17, v14
	s_mul_u64 s[24:25], s[18:19], s[20:21]
	s_delay_alu instid0(VALU_DEP_3) | instskip(SKIP_1) | instid1(VALU_DEP_3)
	v_dual_mov_b32 v14, 28 :: v_dual_and_b32 v19, 31, v13
	v_mov_b32_e32 v13, 24
	v_lshlrev_b64_e32 v[17:18], 2, v[4:5]
	s_lshl_b64 s[22:23], s[20:21], 2
	s_lshl_b64 s[24:25], s[24:25], 2
	v_add_co_u32 v2, vcc_lo, v2, v19
	s_delay_alu instid0(VALU_DEP_1) | instskip(NEXT) | instid1(VALU_DEP_3)
	v_add_co_ci_u32_e64 v3, null, 0, v3, vcc_lo
	v_add_co_u32 v15, vcc_lo, v17, v15
	v_cmp_gt_u32_e64 s0, 8, v19
	s_delay_alu instid0(VALU_DEP_3)
	v_lshlrev_b64_e32 v[4:5], 2, v[2:3]
	s_wait_alu 0xfffd
	v_add_co_ci_u32_e64 v16, null, v18, v16, vcc_lo
	v_mov_b32_e32 v17, 0
	s_lshl_b64 s[18:19], s[18:19], 2
	s_branch .LBB68_7
.LBB68_5:                               ;   in Loop: Header=BB68_7 Depth=1
	s_or_b32 exec_lo, exec_lo, s26
.LBB68_6:                               ;   in Loop: Header=BB68_7 Depth=1
	s_wait_alu 0xfffe
	s_or_b32 exec_lo, exec_lo, s1
	v_add_co_u32 v20, vcc_lo, s4, v15
	s_wait_alu 0xfffd
	v_add_co_ci_u32_e64 v21, null, s5, v16, vcc_lo
	v_add_co_u32 v22, vcc_lo, s6, v15
	s_wait_alu 0xfffd
	v_add_co_ci_u32_e64 v23, null, s7, v16, vcc_lo
	global_load_b32 v30, v[20:21], off
	v_add_co_u32 v20, vcc_lo, v20, s18
	s_wait_alu 0xfffd
	v_add_co_ci_u32_e64 v21, null, s19, v21, vcc_lo
	v_add_co_u32 v24, vcc_lo, v22, s18
	s_wait_alu 0xfffd
	v_add_co_ci_u32_e64 v25, null, s19, v23, vcc_lo
	v_add_co_u32 v26, vcc_lo, v20, s18
	s_wait_alu 0xfffd
	v_add_co_ci_u32_e64 v27, null, s19, v21, vcc_lo
	v_add_co_u32 v28, vcc_lo, v24, s18
	s_wait_alu 0xfffd
	v_add_co_ci_u32_e64 v29, null, s19, v25, vcc_lo
	global_load_b32 v31, v[22:23], off
	global_load_b32 v32, v[20:21], off
	;; [unrolled: 1-line block ×5, first 2 shown]
	v_add_co_u32 v20, vcc_lo, v28, s18
	s_wait_alu 0xfffd
	v_add_co_ci_u32_e64 v21, null, s19, v29, vcc_lo
	v_add_co_u32 v22, vcc_lo, v26, s18
	s_wait_alu 0xfffd
	v_add_co_ci_u32_e64 v23, null, s19, v27, vcc_lo
	global_load_b32 v36, v[20:21], off
	v_add_co_u32 v24, vcc_lo, v22, s18
	s_wait_alu 0xfffd
	v_add_co_ci_u32_e64 v25, null, s19, v23, vcc_lo
	v_add_co_u32 v20, vcc_lo, v20, s18
	s_wait_alu 0xfffd
	v_add_co_ci_u32_e64 v21, null, s19, v21, vcc_lo
	;; [unrolled: 3-line block ×4, first 2 shown]
	s_clause 0x1
	global_load_b32 v37, v[22:23], off
	global_load_b32 v24, v[24:25], off
	;; [unrolled: 1-line block ×5, first 2 shown]
	v_add_co_u32 v20, vcc_lo, v28, s18
	s_wait_alu 0xfffd
	v_add_co_ci_u32_e64 v21, null, s19, v29, vcc_lo
	v_add_co_u32 v22, vcc_lo, v26, s18
	s_wait_alu 0xfffd
	v_add_co_ci_u32_e64 v23, null, s19, v27, vcc_lo
	global_load_b32 v26, v[20:21], off
	v_add_co_u32 v20, vcc_lo, v20, s18
	s_wait_alu 0xfffd
	v_add_co_ci_u32_e64 v21, null, s19, v21, vcc_lo
	global_load_b32 v27, v[22:23], off
	global_load_b32 v28, v[20:21], off
	v_add_co_u32 v20, vcc_lo, v22, s18
	s_wait_alu 0xfffd
	v_add_co_ci_u32_e64 v21, null, s19, v23, vcc_lo
	s_wait_loadcnt 0x10
	ds_bpermute_b32 v22, v8, v19
	s_wait_loadcnt 0xf
	ds_bpermute_b32 v23, v1, v18
	ds_bpermute_b32 v29, v9, v19
	global_load_b32 v20, v[20:21], off
	ds_bpermute_b32 v21, v1, v19
	ds_bpermute_b32 v40, v8, v18
	ds_bpermute_b32 v41, v10, v19
	ds_bpermute_b32 v42, v11, v19
	ds_bpermute_b32 v43, v12, v19
	v_add_co_u32 v4, vcc_lo, v4, s22
	s_add_nc_u64 s[2:3], s[2:3], s[20:21]
	s_wait_alu 0xfffd
	v_add_co_ci_u32_e64 v5, null, s23, v5, vcc_lo
	v_add_co_u32 v2, vcc_lo, v2, s20
	s_wait_alu 0xfffe
	v_cmp_lt_i64_e64 s1, s[2:3], s[16:17]
	s_wait_alu 0xfffd
	v_add_co_ci_u32_e64 v3, null, 0, v3, vcc_lo
	v_add_co_u32 v15, vcc_lo, v15, s24
	s_wait_alu 0xfffd
	v_add_co_ci_u32_e64 v16, null, s25, v16, vcc_lo
	s_and_b32 vcc_lo, exec_lo, s1
	s_wait_loadcnt 0xf
	v_add_f32_e32 v17, v17, v30
	s_wait_loadcnt_dscnt 0xe04
	v_sub_f32_e32 v21, v31, v21
	ds_bpermute_b32 v31, v9, v18
	s_wait_loadcnt 0xc
	v_sub_f32_e32 v22, v33, v22
	ds_bpermute_b32 v33, v10, v18
	v_mul_f32_e32 v21, v30, v21
	ds_bpermute_b32 v30, v12, v18
	v_dual_fmac_f32 v0, v21, v23 :: v_dual_mul_f32 v21, v32, v22
	s_wait_loadcnt 0xa
	v_sub_f32_e32 v22, v35, v29
	ds_bpermute_b32 v23, v11, v18
	ds_bpermute_b32 v29, v13, v19
	v_add_f32_e32 v17, v17, v32
	s_wait_dscnt 0x8
	v_dual_fmac_f32 v0, v21, v40 :: v_dual_mul_f32 v21, v34, v22
	s_wait_loadcnt_dscnt 0x907
	v_sub_f32_e32 v22, v36, v41
	ds_bpermute_b32 v19, v14, v19
	v_add_f32_e32 v17, v17, v34
	s_wait_dscnt 0x5
	v_fmac_f32_e32 v0, v21, v31
	s_wait_loadcnt 0x8
	v_mul_f32_e32 v21, v37, v22
	s_wait_loadcnt 0x6
	v_sub_f32_e32 v22, v25, v42
	ds_bpermute_b32 v25, v13, v18
	ds_bpermute_b32 v18, v14, v18
	s_wait_dscnt 0x6
	v_dual_fmac_f32 v0, v21, v33 :: v_dual_mul_f32 v21, v24, v22
	s_wait_loadcnt 0x4
	v_sub_f32_e32 v22, v39, v43
	s_wait_dscnt 0x4
	s_delay_alu instid0(VALU_DEP_1) | instskip(SKIP_2) | instid1(VALU_DEP_2)
	v_dual_fmac_f32 v0, v21, v23 :: v_dual_mul_f32 v21, v38, v22
	s_wait_loadcnt_dscnt 0x303
	v_sub_f32_e32 v22, v26, v29
	v_fmac_f32_e32 v0, v21, v30
	s_wait_loadcnt 0x2
	s_delay_alu instid0(VALU_DEP_2) | instskip(SKIP_1) | instid1(VALU_DEP_1)
	v_mul_f32_e32 v21, v27, v22
	s_wait_loadcnt_dscnt 0x101
	v_dual_sub_f32 v19, v28, v19 :: v_dual_fmac_f32 v0, v21, v25
	s_wait_loadcnt 0x0
	s_delay_alu instid0(VALU_DEP_1) | instskip(SKIP_1) | instid1(VALU_DEP_1)
	v_mul_f32_e32 v19, v20, v19
	s_wait_dscnt 0x0
	v_dual_add_f32 v17, v17, v37 :: v_dual_fmac_f32 v0, v19, v18
	s_delay_alu instid0(VALU_DEP_1) | instskip(NEXT) | instid1(VALU_DEP_1)
	v_add_f32_e32 v17, v17, v24
	v_add_f32_e32 v17, v17, v38
	s_delay_alu instid0(VALU_DEP_1) | instskip(NEXT) | instid1(VALU_DEP_1)
	v_add_f32_e32 v17, v17, v27
	v_add_f32_e32 v17, v17, v20
	s_wait_alu 0xfffe
	s_cbranch_vccz .LBB68_10
.LBB68_7:                               ; =>This Inner Loop Header: Depth=1
	v_dual_mov_b32 v18, 0 :: v_dual_mov_b32 v19, 0
	s_and_saveexec_b32 s1, s0
	s_cbranch_execz .LBB68_6
; %bb.8:                                ;   in Loop: Header=BB68_7 Depth=1
	v_dual_mov_b32 v19, 0 :: v_dual_mov_b32 v18, 0
	s_mov_b32 s26, exec_lo
	v_cmpx_gt_i64_e64 s[16:17], v[2:3]
	s_cbranch_execz .LBB68_5
; %bb.9:                                ;   in Loop: Header=BB68_7 Depth=1
	v_add_co_u32 v18, vcc_lo, s8, v4
	s_wait_alu 0xfffd
	v_add_co_ci_u32_e64 v19, null, s9, v5, vcc_lo
	v_add_co_u32 v20, vcc_lo, s10, v4
	s_wait_alu 0xfffd
	v_add_co_ci_u32_e64 v21, null, s11, v5, vcc_lo
	global_load_b32 v19, v[18:19], off
	global_load_b32 v18, v[20:21], off
	s_branch .LBB68_5
.LBB68_10:
	v_mov_b32_e32 v1, v7
.LBB68_11:
	s_delay_alu instid0(VALU_DEP_1) | instskip(SKIP_2) | instid1(VALU_DEP_2)
	v_mad_u32_u24 v2, v1, 33, v6
	v_lshrrev_b32_e32 v3, 5, v6
	s_mov_b32 s0, exec_lo
	v_lshl_add_u32 v2, v2, 2, 0
	s_delay_alu instid0(VALU_DEP_2)
	v_add_nc_u32_e32 v1, v3, v1
	ds_store_b32 v2, v0
	ds_store_b32 v2, v17 offset:4224
	s_wait_dscnt 0x0
	s_barrier_signal -1
	s_barrier_wait -1
	global_inv scope:SCOPE_SE
	v_cmpx_gt_u32_e32 32, v1
	s_cbranch_execz .LBB68_17
; %bb.12:
	v_mbcnt_lo_u32_b32 v2, -1, 0
	s_delay_alu instid0(VALU_DEP_1) | instskip(SKIP_1) | instid1(VALU_DEP_2)
	v_xor_b32_e32 v4, 16, v2
	v_xor_b32_e32 v7, 8, v2
	v_cmp_gt_i32_e32 vcc_lo, 32, v4
	s_wait_alu 0xfffd
	v_cndmask_b32_e32 v4, v2, v4, vcc_lo
	s_delay_alu instid0(VALU_DEP_3) | instskip(SKIP_2) | instid1(VALU_DEP_1)
	v_cmp_gt_i32_e32 vcc_lo, 32, v7
	s_wait_alu 0xfffd
	v_dual_cndmask_b32 v7, v2, v7 :: v_dual_and_b32 v0, 31, v6
	v_mad_u32_u24 v0, v0, 33, v1
	s_delay_alu instid0(VALU_DEP_2) | instskip(NEXT) | instid1(VALU_DEP_2)
	v_lshlrev_b32_e32 v7, 2, v7
	v_lshl_add_u32 v0, v0, 2, 0
	ds_load_b32 v3, v0
	ds_load_b32 v0, v0 offset:4224
	v_lshlrev_b32_e32 v4, 2, v4
	s_wait_dscnt 0x1
	ds_bpermute_b32 v5, v4, v3
	s_wait_dscnt 0x0
	v_add_f32_e32 v3, v3, v5
	ds_bpermute_b32 v4, v4, v0
	s_wait_dscnt 0x0
	v_add_f32_e32 v0, v0, v4
	ds_bpermute_b32 v4, v7, v3
	ds_bpermute_b32 v5, v7, v0
	v_xor_b32_e32 v7, 4, v2
	s_delay_alu instid0(VALU_DEP_1) | instskip(SKIP_3) | instid1(VALU_DEP_1)
	v_cmp_gt_i32_e32 vcc_lo, 32, v7
	s_wait_alu 0xfffd
	v_cndmask_b32_e32 v7, v2, v7, vcc_lo
	s_wait_dscnt 0x0
	v_dual_add_f32 v0, v0, v5 :: v_dual_lshlrev_b32 v7, 2, v7
	ds_bpermute_b32 v5, v7, v0
	s_wait_dscnt 0x0
	v_dual_add_f32 v3, v3, v4 :: v_dual_add_f32 v0, v0, v5
	ds_bpermute_b32 v4, v7, v3
	v_xor_b32_e32 v7, 2, v2
	s_delay_alu instid0(VALU_DEP_1) | instskip(SKIP_4) | instid1(VALU_DEP_1)
	v_cmp_gt_i32_e32 vcc_lo, 32, v7
	s_wait_dscnt 0x0
	v_add_f32_e32 v3, v3, v4
	s_wait_alu 0xfffd
	v_cndmask_b32_e32 v7, v2, v7, vcc_lo
	v_lshlrev_b32_e32 v7, 2, v7
	ds_bpermute_b32 v4, v7, v3
	ds_bpermute_b32 v5, v7, v0
	v_xor_b32_e32 v7, 1, v2
	s_delay_alu instid0(VALU_DEP_1) | instskip(SKIP_4) | instid1(VALU_DEP_2)
	v_cmp_gt_i32_e32 vcc_lo, 32, v7
	s_wait_alu 0xfffd
	v_cndmask_b32_e32 v2, v2, v7, vcc_lo
	v_cmp_eq_u32_e32 vcc_lo, 0, v6
	s_wait_dscnt 0x1
	v_dual_add_f32 v4, v3, v4 :: v_dual_lshlrev_b32 v7, 2, v2
	s_wait_dscnt 0x0
	v_add_f32_e32 v2, v0, v5
	ds_bpermute_b32 v5, v7, v4
	ds_bpermute_b32 v3, v7, v2
	s_and_b32 exec_lo, exec_lo, vcc_lo
	s_cbranch_execz .LBB68_17
; %bb.13:
	s_wait_alu 0xfffe
	s_mov_b32 s0, ttmp9
	s_mov_b32 s1, 0
	s_wait_alu 0xfffe
	s_lshl_b64 s[0:1], s[0:1], 5
	s_wait_kmcnt 0x0
	s_cmp_eq_u64 s[12:13], 0
	s_wait_alu 0xfffe
	v_or_b32_e32 v0, s0, v1
	v_mov_b32_e32 v1, s1
	s_delay_alu instid0(VALU_DEP_1)
	v_lshlrev_b64_e32 v[0:1], 2, v[0:1]
	s_cbranch_scc1 .LBB68_15
; %bb.14:
	s_wait_dscnt 0x1
	v_add_f32_e32 v6, v4, v5
	s_delay_alu instid0(VALU_DEP_2)
	v_add_co_u32 v4, vcc_lo, s12, v0
	s_wait_alu 0xfffd
	v_add_co_ci_u32_e64 v5, null, s13, v1, vcc_lo
	global_store_b32 v[4:5], v6, off
.LBB68_15:
	s_cmp_eq_u64 s[14:15], 0
	s_cbranch_scc1 .LBB68_17
; %bb.16:
	s_delay_alu instid0(VALU_DEP_1)
	v_add_co_u32 v0, vcc_lo, s14, v0
	s_wait_dscnt 0x0
	v_add_f32_e32 v2, v2, v3
	s_wait_alu 0xfffd
	v_add_co_ci_u32_e64 v1, null, s15, v1, vcc_lo
	global_store_b32 v[0:1], v2, off
.LBB68_17:
	s_endpgm
	.section	.rodata,"a",@progbits
	.p2align	6, 0x0
	.amdhsa_kernel _ZN2at6native12_GLOBAL__N_135GammaBetaBackwardCUDAKernelTemplateIffLj32ELj32ELj256ELb0ELb1ELb0EEEvllPKT_S5_PKT0_S8_PS3_S9_
		.amdhsa_group_segment_fixed_size 0
		.amdhsa_private_segment_fixed_size 0
		.amdhsa_kernarg_size 320
		.amdhsa_user_sgpr_count 2
		.amdhsa_user_sgpr_dispatch_ptr 0
		.amdhsa_user_sgpr_queue_ptr 0
		.amdhsa_user_sgpr_kernarg_segment_ptr 1
		.amdhsa_user_sgpr_dispatch_id 0
		.amdhsa_user_sgpr_private_segment_size 0
		.amdhsa_wavefront_size32 1
		.amdhsa_uses_dynamic_stack 0
		.amdhsa_enable_private_segment 0
		.amdhsa_system_sgpr_workgroup_id_x 1
		.amdhsa_system_sgpr_workgroup_id_y 1
		.amdhsa_system_sgpr_workgroup_id_z 0
		.amdhsa_system_sgpr_workgroup_info 0
		.amdhsa_system_vgpr_workitem_id 1
		.amdhsa_next_free_vgpr 44
		.amdhsa_next_free_sgpr 27
		.amdhsa_reserve_vcc 1
		.amdhsa_float_round_mode_32 0
		.amdhsa_float_round_mode_16_64 0
		.amdhsa_float_denorm_mode_32 3
		.amdhsa_float_denorm_mode_16_64 3
		.amdhsa_fp16_overflow 0
		.amdhsa_workgroup_processor_mode 1
		.amdhsa_memory_ordered 1
		.amdhsa_forward_progress 1
		.amdhsa_inst_pref_size 16
		.amdhsa_round_robin_scheduling 0
		.amdhsa_exception_fp_ieee_invalid_op 0
		.amdhsa_exception_fp_denorm_src 0
		.amdhsa_exception_fp_ieee_div_zero 0
		.amdhsa_exception_fp_ieee_overflow 0
		.amdhsa_exception_fp_ieee_underflow 0
		.amdhsa_exception_fp_ieee_inexact 0
		.amdhsa_exception_int_div_zero 0
	.end_amdhsa_kernel
	.section	.text._ZN2at6native12_GLOBAL__N_135GammaBetaBackwardCUDAKernelTemplateIffLj32ELj32ELj256ELb0ELb1ELb0EEEvllPKT_S5_PKT0_S8_PS3_S9_,"axG",@progbits,_ZN2at6native12_GLOBAL__N_135GammaBetaBackwardCUDAKernelTemplateIffLj32ELj32ELj256ELb0ELb1ELb0EEEvllPKT_S5_PKT0_S8_PS3_S9_,comdat
.Lfunc_end68:
	.size	_ZN2at6native12_GLOBAL__N_135GammaBetaBackwardCUDAKernelTemplateIffLj32ELj32ELj256ELb0ELb1ELb0EEEvllPKT_S5_PKT0_S8_PS3_S9_, .Lfunc_end68-_ZN2at6native12_GLOBAL__N_135GammaBetaBackwardCUDAKernelTemplateIffLj32ELj32ELj256ELb0ELb1ELb0EEEvllPKT_S5_PKT0_S8_PS3_S9_
                                        ; -- End function
	.set _ZN2at6native12_GLOBAL__N_135GammaBetaBackwardCUDAKernelTemplateIffLj32ELj32ELj256ELb0ELb1ELb0EEEvllPKT_S5_PKT0_S8_PS3_S9_.num_vgpr, 44
	.set _ZN2at6native12_GLOBAL__N_135GammaBetaBackwardCUDAKernelTemplateIffLj32ELj32ELj256ELb0ELb1ELb0EEEvllPKT_S5_PKT0_S8_PS3_S9_.num_agpr, 0
	.set _ZN2at6native12_GLOBAL__N_135GammaBetaBackwardCUDAKernelTemplateIffLj32ELj32ELj256ELb0ELb1ELb0EEEvllPKT_S5_PKT0_S8_PS3_S9_.numbered_sgpr, 27
	.set _ZN2at6native12_GLOBAL__N_135GammaBetaBackwardCUDAKernelTemplateIffLj32ELj32ELj256ELb0ELb1ELb0EEEvllPKT_S5_PKT0_S8_PS3_S9_.num_named_barrier, 0
	.set _ZN2at6native12_GLOBAL__N_135GammaBetaBackwardCUDAKernelTemplateIffLj32ELj32ELj256ELb0ELb1ELb0EEEvllPKT_S5_PKT0_S8_PS3_S9_.private_seg_size, 0
	.set _ZN2at6native12_GLOBAL__N_135GammaBetaBackwardCUDAKernelTemplateIffLj32ELj32ELj256ELb0ELb1ELb0EEEvllPKT_S5_PKT0_S8_PS3_S9_.uses_vcc, 1
	.set _ZN2at6native12_GLOBAL__N_135GammaBetaBackwardCUDAKernelTemplateIffLj32ELj32ELj256ELb0ELb1ELb0EEEvllPKT_S5_PKT0_S8_PS3_S9_.uses_flat_scratch, 0
	.set _ZN2at6native12_GLOBAL__N_135GammaBetaBackwardCUDAKernelTemplateIffLj32ELj32ELj256ELb0ELb1ELb0EEEvllPKT_S5_PKT0_S8_PS3_S9_.has_dyn_sized_stack, 0
	.set _ZN2at6native12_GLOBAL__N_135GammaBetaBackwardCUDAKernelTemplateIffLj32ELj32ELj256ELb0ELb1ELb0EEEvllPKT_S5_PKT0_S8_PS3_S9_.has_recursion, 0
	.set _ZN2at6native12_GLOBAL__N_135GammaBetaBackwardCUDAKernelTemplateIffLj32ELj32ELj256ELb0ELb1ELb0EEEvllPKT_S5_PKT0_S8_PS3_S9_.has_indirect_call, 0
	.section	.AMDGPU.csdata,"",@progbits
; Kernel info:
; codeLenInByte = 1996
; TotalNumSgprs: 29
; NumVgprs: 44
; ScratchSize: 0
; MemoryBound: 0
; FloatMode: 240
; IeeeMode: 1
; LDSByteSize: 0 bytes/workgroup (compile time only)
; SGPRBlocks: 0
; VGPRBlocks: 5
; NumSGPRsForWavesPerEU: 29
; NumVGPRsForWavesPerEU: 44
; Occupancy: 16
; WaveLimiterHint : 0
; COMPUTE_PGM_RSRC2:SCRATCH_EN: 0
; COMPUTE_PGM_RSRC2:USER_SGPR: 2
; COMPUTE_PGM_RSRC2:TRAP_HANDLER: 0
; COMPUTE_PGM_RSRC2:TGID_X_EN: 1
; COMPUTE_PGM_RSRC2:TGID_Y_EN: 1
; COMPUTE_PGM_RSRC2:TGID_Z_EN: 0
; COMPUTE_PGM_RSRC2:TIDIG_COMP_CNT: 1
	.section	.text._ZN2at6native12_GLOBAL__N_135GammaBetaBackwardCUDAKernelTemplateIffLj32ELj32ELj256ELb0ELb0ELb0EEEvllPKT_S5_PKT0_S8_PS3_S9_,"axG",@progbits,_ZN2at6native12_GLOBAL__N_135GammaBetaBackwardCUDAKernelTemplateIffLj32ELj32ELj256ELb0ELb0ELb0EEEvllPKT_S5_PKT0_S8_PS3_S9_,comdat
	.globl	_ZN2at6native12_GLOBAL__N_135GammaBetaBackwardCUDAKernelTemplateIffLj32ELj32ELj256ELb0ELb0ELb0EEEvllPKT_S5_PKT0_S8_PS3_S9_ ; -- Begin function _ZN2at6native12_GLOBAL__N_135GammaBetaBackwardCUDAKernelTemplateIffLj32ELj32ELj256ELb0ELb0ELb0EEEvllPKT_S5_PKT0_S8_PS3_S9_
	.p2align	8
	.type	_ZN2at6native12_GLOBAL__N_135GammaBetaBackwardCUDAKernelTemplateIffLj32ELj32ELj256ELb0ELb0ELb0EEEvllPKT_S5_PKT0_S8_PS3_S9_,@function
_ZN2at6native12_GLOBAL__N_135GammaBetaBackwardCUDAKernelTemplateIffLj32ELj32ELj256ELb0ELb0ELb0EEEvllPKT_S5_PKT0_S8_PS3_S9_: ; @_ZN2at6native12_GLOBAL__N_135GammaBetaBackwardCUDAKernelTemplateIffLj32ELj32ELj256ELb0ELb0ELb0EEEvllPKT_S5_PKT0_S8_PS3_S9_
; %bb.0:
	s_clause 0x1
	s_load_b256 s[4:11], s[0:1], 0x0
	s_load_b128 s[12:15], s[0:1], 0x20
	s_lshl_b32 s30, ttmp9, 5
	s_mov_b32 s17, 0
	s_or_b32 s16, s30, 31
	s_wait_kmcnt 0x0
	v_cmp_le_i64_e64 s2, s[6:7], s[16:17]
	s_lshl_b32 s16, ttmp7, 8
	s_wait_alu 0xfffe
	v_cmp_gt_i64_e64 s31, s[4:5], s[16:17]
	s_and_b32 vcc_lo, exec_lo, s2
	v_cndmask_b32_e64 v1, 0, 1, s31
	s_delay_alu instid0(VALU_DEP_1)
	v_cmp_ne_u32_e64 s2, 1, v1
	s_cbranch_vccz .LBB69_49
; %bb.1:
	v_mov_b32_e32 v48, 0
	v_mov_b32_e32 v56, 0
	s_and_b32 vcc_lo, exec_lo, s2
	s_cbranch_vccnz .LBB69_50
; %bb.2:
	v_bfe_u32 v20, v0, 10, 10
	v_dual_mov_b32 v1, 0 :: v_dual_and_b32 v22, 0x3ff, v0
	s_load_b32 s3, s[0:1], 0x44
	s_mov_b32 s19, 0
	s_delay_alu instid0(VALU_DEP_2) | instskip(NEXT) | instid1(VALU_DEP_2)
	v_dual_mov_b32 v48, 0 :: v_dual_lshlrev_b32 v21, 3, v20
	v_dual_mov_b32 v3, v1 :: v_dual_add_nc_u32 v2, s30, v22
	s_mov_b32 s23, s19
	s_delay_alu instid0(VALU_DEP_2) | instskip(NEXT) | instid1(VALU_DEP_1)
	v_add_co_u32 v10, s2, v21, s16
	v_add_co_ci_u32_e64 v11, null, 0, 0, s2
	s_delay_alu instid0(VALU_DEP_3) | instskip(NEXT) | instid1(VALU_DEP_3)
	v_cmp_gt_i64_e64 s2, s[6:7], v[2:3]
	v_mul_lo_u32 v6, s7, v10
	v_mad_co_u64_u32 v[4:5], null, s6, v10, 0
	s_delay_alu instid0(VALU_DEP_4) | instskip(SKIP_1) | instid1(VALU_DEP_1)
	v_mul_lo_u32 v7, s6, v11
	v_add_co_u32 v8, vcc_lo, v10, 7
	v_add_co_ci_u32_e64 v9, null, 0, v11, vcc_lo
	v_lshlrev_b64_e32 v[18:19], 2, v[2:3]
	s_delay_alu instid0(VALU_DEP_3)
	v_mul_lo_u32 v12, s7, v8
	s_wait_kmcnt 0x0
	s_lshl_b32 s22, s3, 8
	v_add3_u32 v5, v5, v7, v6
	v_mad_co_u64_u32 v[6:7], null, s6, v8, 0
	v_add_co_u32 v8, vcc_lo, v10, 6
	v_mul_lo_u32 v13, s6, v9
	s_wait_alu 0xfffd
	v_add_co_ci_u32_e64 v9, null, 0, v11, vcc_lo
	v_lshlrev_b64_e32 v[2:3], 2, v[4:5]
	v_mul_lo_u32 v14, s7, v8
	v_mov_b32_e32 v57, 0
	s_delay_alu instid0(VALU_DEP_4)
	v_mul_lo_u32 v15, s6, v9
	v_mad_co_u64_u32 v[8:9], null, s6, v8, 0
	v_add_co_u32 v23, vcc_lo, s8, v2
	s_wait_alu 0xfffd
	v_add_co_ci_u32_e64 v24, null, s9, v3, vcc_lo
	v_add_co_u32 v25, vcc_lo, s10, v2
	v_add3_u32 v7, v7, v13, v12
	s_wait_alu 0xfffd
	v_add_co_ci_u32_e64 v26, null, s11, v3, vcc_lo
	v_add_co_u32 v12, vcc_lo, v10, 5
	v_add3_u32 v9, v9, v15, v14
	s_wait_alu 0xfffd
	v_add_co_ci_u32_e64 v13, null, 0, v11, vcc_lo
	v_lshlrev_b64_e32 v[2:3], 2, v[6:7]
	v_mul_lo_u32 v14, s7, v12
	v_lshlrev_b64_e32 v[6:7], 2, v[8:9]
	s_delay_alu instid0(VALU_DEP_4)
	v_mul_lo_u32 v13, s6, v13
	v_mad_co_u64_u32 v[8:9], null, s6, v12, 0
	v_add_co_u32 v27, vcc_lo, s8, v2
	s_wait_alu 0xfffd
	v_add_co_ci_u32_e64 v28, null, s9, v3, vcc_lo
	v_add_co_u32 v29, vcc_lo, s10, v2
	s_wait_alu 0xfffd
	v_add_co_ci_u32_e64 v30, null, s11, v3, vcc_lo
	v_add_co_u32 v31, vcc_lo, s8, v6
	v_add3_u32 v9, v9, v13, v14
	s_wait_alu 0xfffd
	v_add_co_ci_u32_e64 v32, null, s9, v7, vcc_lo
	v_add_co_u32 v12, vcc_lo, v10, 4
	v_add_co_u32 v33, s3, s10, v6
	s_wait_alu 0xfffd
	v_add_co_ci_u32_e64 v6, null, 0, v11, vcc_lo
	v_lshlrev_b64_e32 v[2:3], 2, v[8:9]
	v_add_co_u32 v8, vcc_lo, v10, 3
	s_wait_alu 0xfffd
	v_add_co_ci_u32_e64 v9, null, 0, v11, vcc_lo
	s_wait_alu 0xf1ff
	v_add_co_ci_u32_e64 v34, null, s11, v7, s3
	v_mul_lo_u32 v13, s7, v12
	v_mul_lo_u32 v14, s6, v6
	v_mad_co_u64_u32 v[6:7], null, s6, v12, 0
	v_mul_lo_u32 v12, s7, v8
	v_mul_lo_u32 v15, s6, v9
	v_mad_co_u64_u32 v[8:9], null, s6, v8, 0
	v_add_co_u32 v35, vcc_lo, s8, v2
	s_wait_alu 0xfffd
	v_add_co_ci_u32_e64 v36, null, s9, v3, vcc_lo
	v_add3_u32 v7, v7, v14, v13
	v_add_co_u32 v37, vcc_lo, s10, v2
	s_wait_alu 0xfffd
	v_add_co_ci_u32_e64 v38, null, s11, v3, vcc_lo
	v_add_co_u32 v10, vcc_lo, v10, 2
	v_add3_u32 v9, v9, v15, v12
	s_wait_alu 0xfffd
	v_add_co_ci_u32_e64 v11, null, 0, v11, vcc_lo
	v_lshlrev_b64_e32 v[2:3], 2, v[6:7]
	v_mul_lo_u32 v12, s7, v10
	v_lshlrev_b64_e32 v[6:7], 2, v[8:9]
	s_delay_alu instid0(VALU_DEP_4)
	v_mul_lo_u32 v11, s6, v11
	v_mad_co_u64_u32 v[8:9], null, s6, v10, 0
	v_add_co_u32 v39, vcc_lo, s8, v2
	s_wait_alu 0xfffd
	v_add_co_ci_u32_e64 v40, null, s9, v3, vcc_lo
	v_add_co_u32 v41, vcc_lo, s10, v2
	s_wait_alu 0xfffd
	v_add_co_ci_u32_e64 v42, null, s11, v3, vcc_lo
	;; [unrolled: 3-line block ×3, first 2 shown]
	v_add3_u32 v9, v9, v11, v12
	v_add_co_u32 v45, vcc_lo, s10, v6
	s_wait_alu 0xfffd
	v_add_co_ci_u32_e64 v46, null, s11, v7, vcc_lo
	v_add_co_u32 v4, vcc_lo, v4, s6
	s_wait_alu 0xfffd
	v_add_co_ci_u32_e64 v5, null, s7, v5, vcc_lo
	v_lshlrev_b64_e32 v[2:3], 2, v[8:9]
	s_mul_u64 s[24:25], s[6:7], s[22:23]
	s_add_nc_u64 s[20:21], s[0:1], 64
	s_delay_alu instid0(VALU_DEP_2)
	v_lshlrev_b64_e32 v[4:5], 2, v[4:5]
	s_lshl_b64 s[24:25], s[24:25], 2
	s_add_nc_u64 s[26:27], s[16:17], 0xff
	v_add_co_u32 v47, vcc_lo, s8, v2
	s_wait_alu 0xfffd
	v_add_co_ci_u32_e64 v49, null, s9, v3, vcc_lo
	v_add_co_u32 v50, vcc_lo, s10, v2
	s_wait_alu 0xfffd
	v_add_co_ci_u32_e64 v51, null, s11, v3, vcc_lo
	;; [unrolled: 3-line block ×4, first 2 shown]
	s_mov_b64 s[28:29], s[16:17]
.LBB69_3:                               ; =>This Inner Loop Header: Depth=1
	v_cmp_ge_i64_e64 s3, s[26:27], s[4:5]
	v_add_co_u32 v58, s18, v21, s26
	s_wait_alu 0xf1ff
	v_add_co_ci_u32_e64 v59, null, 0, s27, s18
                                        ; implicit-def: $vgpr2_vgpr3_vgpr4_vgpr5_vgpr6_vgpr7_vgpr8_vgpr9
                                        ; implicit-def: $vgpr61
                                        ; implicit-def: $vgpr10_vgpr11_vgpr12_vgpr13_vgpr14_vgpr15_vgpr16_vgpr17
                                        ; implicit-def: $vgpr2
	s_and_b32 vcc_lo, exec_lo, s3
	s_mov_b32 s3, -1
                                        ; implicit-def: $vgpr3
                                        ; implicit-def: $vgpr56
	s_wait_alu 0xfffe
	s_cbranch_vccz .LBB69_25
; %bb.4:                                ;   in Loop: Header=BB69_3 Depth=1
	s_load_b32 s3, s[20:21], 0xc
	v_dual_mov_b32 v60, 0 :: v_dual_mov_b32 v61, 0
	s_wait_kmcnt 0x0
	s_and_b32 s3, s3, 0xffff
	s_wait_alu 0xfffe
	v_mad_u32_u24 v2, v20, s3, v22
	s_mov_b32 s3, exec_lo
	s_delay_alu instid0(VALU_DEP_1) | instskip(NEXT) | instid1(VALU_DEP_1)
	v_and_b32_e32 v2, 31, v2
	v_cmpx_gt_u32_e32 8, v2
	s_cbranch_execz .LBB69_8
; %bb.5:                                ;   in Loop: Header=BB69_3 Depth=1
	v_add_co_u32 v2, vcc_lo, v58, v2
	s_wait_alu 0xfffd
	v_add_co_ci_u32_e64 v3, null, 0, v59, vcc_lo
	v_dual_mov_b32 v60, 0 :: v_dual_mov_b32 v61, 0
	s_delay_alu instid0(VALU_DEP_3) | instskip(SKIP_1) | instid1(VALU_DEP_3)
	v_add_co_u32 v2, vcc_lo, 0xffffff01, v2
	s_wait_alu 0xfffd
	v_add_co_ci_u32_e64 v3, null, -1, v3, vcc_lo
	s_mov_b32 s18, exec_lo
	v_cmpx_gt_i64_e64 s[4:5], v[2:3]
	s_cbranch_execz .LBB69_7
; %bb.6:                                ;   in Loop: Header=BB69_3 Depth=1
	v_lshlrev_b64_e32 v[2:3], 2, v[2:3]
	s_delay_alu instid0(VALU_DEP_1) | instskip(SKIP_1) | instid1(VALU_DEP_2)
	v_add_co_u32 v4, vcc_lo, s12, v2
	s_wait_alu 0xfffd
	v_add_co_ci_u32_e64 v5, null, s13, v3, vcc_lo
	v_add_co_u32 v2, vcc_lo, s14, v2
	s_wait_alu 0xfffd
	v_add_co_ci_u32_e64 v3, null, s15, v3, vcc_lo
	global_load_b32 v60, v[4:5], off
	global_load_b32 v61, v[2:3], off
.LBB69_7:                               ;   in Loop: Header=BB69_3 Depth=1
	s_wait_alu 0xfffe
	s_or_b32 exec_lo, exec_lo, s18
.LBB69_8:                               ;   in Loop: Header=BB69_3 Depth=1
	s_wait_alu 0xfffe
	s_or_b32 exec_lo, exec_lo, s3
	v_add_co_u32 v9, vcc_lo, 0xffffff01, v58
	s_wait_alu 0xfffd
	v_add_co_ci_u32_e64 v10, null, -1, v59, vcc_lo
	v_mov_b32_e32 v8, v1
	v_dual_mov_b32 v2, v1 :: v_dual_mov_b32 v3, v1
	v_dual_mov_b32 v4, v1 :: v_dual_mov_b32 v5, v1
	;; [unrolled: 1-line block ×3, first 2 shown]
	v_cmp_gt_i64_e32 vcc_lo, s[4:5], v[9:10]
	s_delay_alu instid0(VALU_DEP_3) | instskip(NEXT) | instid1(VALU_DEP_3)
	v_dual_mov_b32 v17, v8 :: v_dual_mov_b32 v14, v5
	v_dual_mov_b32 v15, v6 :: v_dual_mov_b32 v16, v7
	;; [unrolled: 1-line block ×4, first 2 shown]
	v_mov_b32_e32 v9, v8
	v_mov_b32_e32 v8, v7
	;; [unrolled: 1-line block ×8, first 2 shown]
	s_and_b32 s18, s2, vcc_lo
	s_wait_alu 0xfffe
	s_and_saveexec_b32 s3, s18
	s_cbranch_execz .LBB69_10
; %bb.9:                                ;   in Loop: Header=BB69_3 Depth=1
	v_add_co_u32 v2, vcc_lo, v23, v18
	s_wait_alu 0xfffd
	v_add_co_ci_u32_e64 v3, null, v24, v19, vcc_lo
	v_add_co_u32 v4, vcc_lo, v25, v18
	s_wait_alu 0xfffd
	v_add_co_ci_u32_e64 v5, null, v26, v19, vcc_lo
	global_load_b32 v2, v[2:3], off
	global_load_b32 v10, v[4:5], off
	v_dual_mov_b32 v3, v1 :: v_dual_mov_b32 v4, v1
	v_dual_mov_b32 v5, v1 :: v_dual_mov_b32 v6, v1
	;; [unrolled: 1-line block ×6, first 2 shown]
	v_mov_b32_e32 v15, v1
	v_mov_b32_e32 v17, v1
.LBB69_10:                              ;   in Loop: Header=BB69_3 Depth=1
	s_wait_alu 0xfffe
	s_or_b32 exec_lo, exec_lo, s3
	v_add_co_u32 v62, vcc_lo, 0xffffff02, v58
	s_wait_alu 0xfffd
	v_add_co_ci_u32_e64 v63, null, -1, v59, vcc_lo
	s_delay_alu instid0(VALU_DEP_1)
	v_cmp_gt_i64_e32 vcc_lo, s[4:5], v[62:63]
	s_and_b32 s18, s2, vcc_lo
	s_wait_alu 0xfffe
	s_and_saveexec_b32 s3, s18
	s_cbranch_execz .LBB69_12
; %bb.11:                               ;   in Loop: Header=BB69_3 Depth=1
	v_add_co_u32 v62, vcc_lo, v52, v18
	s_wait_alu 0xfffd
	v_add_co_ci_u32_e64 v63, null, v53, v19, vcc_lo
	v_add_co_u32 v64, vcc_lo, v54, v18
	s_wait_alu 0xfffd
	v_add_co_ci_u32_e64 v65, null, v55, v19, vcc_lo
	global_load_b32 v3, v[62:63], off
	global_load_b32 v11, v[64:65], off
.LBB69_12:                              ;   in Loop: Header=BB69_3 Depth=1
	s_wait_alu 0xfffe
	s_or_b32 exec_lo, exec_lo, s3
	v_add_co_u32 v62, vcc_lo, 0xffffff03, v58
	s_wait_alu 0xfffd
	v_add_co_ci_u32_e64 v63, null, -1, v59, vcc_lo
	s_delay_alu instid0(VALU_DEP_1)
	v_cmp_gt_i64_e32 vcc_lo, s[4:5], v[62:63]
	s_and_b32 s18, s2, vcc_lo
	s_wait_alu 0xfffe
	s_and_saveexec_b32 s3, s18
	s_cbranch_execz .LBB69_14
; %bb.13:                               ;   in Loop: Header=BB69_3 Depth=1
	v_add_co_u32 v62, vcc_lo, v47, v18
	s_wait_alu 0xfffd
	v_add_co_ci_u32_e64 v63, null, v49, v19, vcc_lo
	v_add_co_u32 v64, vcc_lo, v50, v18
	s_wait_alu 0xfffd
	v_add_co_ci_u32_e64 v65, null, v51, v19, vcc_lo
	global_load_b32 v4, v[62:63], off
	global_load_b32 v12, v[64:65], off
.LBB69_14:                              ;   in Loop: Header=BB69_3 Depth=1
	;; [unrolled: 21-line block ×7, first 2 shown]
	s_wait_alu 0xfffe
	s_or_b32 exec_lo, exec_lo, s3
	s_wait_loadcnt 0x1
	ds_bpermute_b32 v56, v1, v60
	ds_bpermute_b32 v62, v1, v60 offset:4
	ds_bpermute_b32 v63, v1, v60 offset:8
	s_wait_loadcnt 0x0
	ds_bpermute_b32 v64, v1, v61
	ds_bpermute_b32 v65, v1, v60 offset:12
	ds_bpermute_b32 v66, v1, v61 offset:4
	;; [unrolled: 1-line block ×6, first 2 shown]
	s_mov_b32 s3, 0
	s_wait_dscnt 0x9
	v_dual_add_f32 v69, v48, v2 :: v_dual_sub_f32 v10, v10, v56
	s_wait_dscnt 0x7
	v_dual_sub_f32 v11, v11, v62 :: v_dual_sub_f32 v12, v12, v63
	ds_bpermute_b32 v62, v1, v60 offset:24
	ds_bpermute_b32 v63, v1, v61 offset:20
	v_dual_mul_f32 v2, v2, v10 :: v_dual_mul_f32 v11, v3, v11
	ds_bpermute_b32 v10, v1, v61 offset:16
	v_dual_mul_f32 v12, v4, v12 :: v_dual_add_f32 v3, v3, v69
	s_wait_dscnt 0x9
	v_fma_f32 v56, v2, v64, v57
	s_wait_dscnt 0x8
	v_sub_f32_e32 v2, v13, v65
	ds_bpermute_b32 v64, v1, v61 offset:24
	ds_bpermute_b32 v61, v1, v61 offset:28
	s_wait_dscnt 0x9
	v_dual_add_f32 v3, v4, v3 :: v_dual_fmac_f32 v56, v11, v66
	s_wait_dscnt 0x8
	v_sub_f32_e32 v11, v14, v67
	v_mul_f32_e32 v13, v5, v2
	ds_bpermute_b32 v2, v1, v60 offset:28
	s_wait_dscnt 0x6
	v_sub_f32_e32 v4, v15, v71
	v_dual_fmac_f32 v56, v12, v68 :: v_dual_mul_f32 v11, v6, v11
	v_add_f32_e32 v3, v5, v3
	s_wait_dscnt 0x5
	s_delay_alu instid0(VALU_DEP_3) | instskip(NEXT) | instid1(VALU_DEP_2)
	v_dual_sub_f32 v5, v16, v62 :: v_dual_mul_f32 v4, v7, v4
	v_dual_fmac_f32 v56, v13, v70 :: v_dual_add_f32 v3, v6, v3
	s_wait_dscnt 0x3
	s_delay_alu instid0(VALU_DEP_1) | instskip(NEXT) | instid1(VALU_DEP_1)
	v_dual_mul_f32 v5, v8, v5 :: v_dual_fmac_f32 v56, v11, v10
	v_fmac_f32_e32 v56, v4, v63
	s_wait_dscnt 0x2
	s_delay_alu instid0(VALU_DEP_1) | instskip(NEXT) | instid1(VALU_DEP_1)
	v_dual_add_f32 v3, v7, v3 :: v_dual_fmac_f32 v56, v5, v64
	v_add_f32_e32 v3, v8, v3
.LBB69_25:                              ;   in Loop: Header=BB69_3 Depth=1
	s_wait_alu 0xfffe
	s_and_b32 vcc_lo, exec_lo, s3
	s_wait_alu 0xfffe
	s_cbranch_vccz .LBB69_47
; %bb.26:                               ;   in Loop: Header=BB69_3 Depth=1
	s_load_b32 s3, s[20:21], 0x0
	v_mov_b32_e32 v60, 0
	v_mov_b32_e32 v56, 0
	s_wait_kmcnt 0x0
	s_cmp_lt_u32 ttmp9, s3
	s_cselect_b32 s18, 12, 18
	s_wait_alu 0xfffe
	s_add_nc_u64 s[34:35], s[20:21], s[18:19]
	s_load_u16 s3, s[34:35], 0x0
	s_wait_dscnt 0x0
	s_wait_kmcnt 0x0
	v_mad_u32_u24 v2, v20, s3, v22
	s_mov_b32 s3, exec_lo
	s_delay_alu instid0(VALU_DEP_1) | instskip(NEXT) | instid1(VALU_DEP_1)
	v_and_b32_e32 v2, 31, v2
	v_cmpx_gt_u32_e32 8, v2
	s_cbranch_execz .LBB69_30
; %bb.27:                               ;   in Loop: Header=BB69_3 Depth=1
	v_add_co_u32 v2, vcc_lo, v58, v2
	s_wait_alu 0xfffd
	v_add_co_ci_u32_e64 v3, null, 0, v59, vcc_lo
	v_mov_b32_e32 v56, 0
	s_delay_alu instid0(VALU_DEP_3) | instskip(SKIP_1) | instid1(VALU_DEP_3)
	v_add_co_u32 v2, vcc_lo, 0xffffff01, v2
	s_wait_alu 0xfffd
	v_add_co_ci_u32_e64 v3, null, -1, v3, vcc_lo
	v_mov_b32_e32 v60, 0
	s_mov_b32 s18, exec_lo
	s_delay_alu instid0(VALU_DEP_2)
	v_cmpx_gt_i64_e64 s[4:5], v[2:3]
	s_cbranch_execz .LBB69_29
; %bb.28:                               ;   in Loop: Header=BB69_3 Depth=1
	v_lshlrev_b64_e32 v[2:3], 2, v[2:3]
	s_delay_alu instid0(VALU_DEP_1) | instskip(SKIP_1) | instid1(VALU_DEP_2)
	v_add_co_u32 v4, vcc_lo, s12, v2
	s_wait_alu 0xfffd
	v_add_co_ci_u32_e64 v5, null, s13, v3, vcc_lo
	v_add_co_u32 v2, vcc_lo, s14, v2
	s_wait_alu 0xfffd
	v_add_co_ci_u32_e64 v3, null, s15, v3, vcc_lo
	global_load_b32 v56, v[4:5], off
	global_load_b32 v60, v[2:3], off
.LBB69_29:                              ;   in Loop: Header=BB69_3 Depth=1
	s_wait_alu 0xfffe
	s_or_b32 exec_lo, exec_lo, s18
.LBB69_30:                              ;   in Loop: Header=BB69_3 Depth=1
	s_wait_alu 0xfffe
	s_or_b32 exec_lo, exec_lo, s3
	v_mov_b32_e32 v8, v1
	v_dual_mov_b32 v2, v1 :: v_dual_mov_b32 v3, v1
	v_dual_mov_b32 v4, v1 :: v_dual_mov_b32 v5, v1
	;; [unrolled: 1-line block ×3, first 2 shown]
	s_delay_alu instid0(VALU_DEP_4) | instskip(NEXT) | instid1(VALU_DEP_3)
	v_mov_b32_e32 v17, v8
	v_dual_mov_b32 v13, v4 :: v_dual_mov_b32 v12, v3
	s_delay_alu instid0(VALU_DEP_3) | instskip(NEXT) | instid1(VALU_DEP_4)
	v_dual_mov_b32 v15, v6 :: v_dual_mov_b32 v14, v5
	v_dual_mov_b32 v16, v7 :: v_dual_mov_b32 v11, v2
	;; [unrolled: 1-line block ×3, first 2 shown]
	v_mov_b32_e32 v8, v7
	v_mov_b32_e32 v7, v6
	;; [unrolled: 1-line block ×7, first 2 shown]
	s_and_saveexec_b32 s3, s2
	s_cbranch_execz .LBB69_38
; %bb.31:                               ;   in Loop: Header=BB69_3 Depth=1
	v_add_co_u32 v2, vcc_lo, v23, v18
	s_wait_alu 0xfffd
	v_add_co_ci_u32_e64 v3, null, v24, v19, vcc_lo
	v_add_co_u32 v4, vcc_lo, v25, v18
	s_wait_alu 0xfffd
	v_add_co_ci_u32_e64 v5, null, v26, v19, vcc_lo
	global_load_b32 v2, v[2:3], off
	global_load_b32 v10, v[4:5], off
	v_dual_mov_b32 v3, v1 :: v_dual_mov_b32 v4, v1
	v_dual_mov_b32 v5, v1 :: v_dual_mov_b32 v6, v1
	;; [unrolled: 1-line block ×6, first 2 shown]
	v_mov_b32_e32 v15, v1
	v_mov_b32_e32 v17, v1
	s_wait_alu 0xfffe
	s_or_b32 exec_lo, exec_lo, s3
	s_and_saveexec_b32 s3, s2
	s_cbranch_execnz .LBB69_39
.LBB69_32:                              ;   in Loop: Header=BB69_3 Depth=1
	s_wait_alu 0xfffe
	s_or_b32 exec_lo, exec_lo, s3
	s_and_saveexec_b32 s3, s2
	s_cbranch_execz .LBB69_40
.LBB69_33:                              ;   in Loop: Header=BB69_3 Depth=1
	v_add_co_u32 v58, vcc_lo, v47, v18
	s_wait_alu 0xfffd
	v_add_co_ci_u32_e64 v59, null, v49, v19, vcc_lo
	v_add_co_u32 v61, vcc_lo, v50, v18
	s_wait_alu 0xfffd
	v_add_co_ci_u32_e64 v62, null, v51, v19, vcc_lo
	global_load_b32 v4, v[58:59], off
	global_load_b32 v12, v[61:62], off
	s_wait_alu 0xfffe
	s_or_b32 exec_lo, exec_lo, s3
	s_and_saveexec_b32 s3, s2
	s_cbranch_execnz .LBB69_41
.LBB69_34:                              ;   in Loop: Header=BB69_3 Depth=1
	s_wait_alu 0xfffe
	s_or_b32 exec_lo, exec_lo, s3
	s_and_saveexec_b32 s3, s2
	s_cbranch_execz .LBB69_42
.LBB69_35:                              ;   in Loop: Header=BB69_3 Depth=1
	v_add_co_u32 v58, vcc_lo, v39, v18
	s_wait_alu 0xfffd
	v_add_co_ci_u32_e64 v59, null, v40, v19, vcc_lo
	v_add_co_u32 v61, vcc_lo, v41, v18
	s_wait_alu 0xfffd
	v_add_co_ci_u32_e64 v62, null, v42, v19, vcc_lo
	global_load_b32 v6, v[58:59], off
	global_load_b32 v14, v[61:62], off
	s_wait_alu 0xfffe
	s_or_b32 exec_lo, exec_lo, s3
	s_and_saveexec_b32 s3, s2
	s_cbranch_execnz .LBB69_43
.LBB69_36:                              ;   in Loop: Header=BB69_3 Depth=1
	s_wait_alu 0xfffe
	s_or_b32 exec_lo, exec_lo, s3
	s_and_saveexec_b32 s3, s2
	s_cbranch_execz .LBB69_44
.LBB69_37:                              ;   in Loop: Header=BB69_3 Depth=1
	v_add_co_u32 v58, vcc_lo, v31, v18
	s_wait_alu 0xfffd
	v_add_co_ci_u32_e64 v59, null, v32, v19, vcc_lo
	v_add_co_u32 v61, vcc_lo, v33, v18
	s_wait_alu 0xfffd
	v_add_co_ci_u32_e64 v62, null, v34, v19, vcc_lo
	global_load_b32 v8, v[58:59], off
	global_load_b32 v16, v[61:62], off
	s_wait_alu 0xfffe
	s_or_b32 exec_lo, exec_lo, s3
	s_and_saveexec_b32 s3, s2
	s_cbranch_execnz .LBB69_45
	s_branch .LBB69_46
.LBB69_38:                              ;   in Loop: Header=BB69_3 Depth=1
	s_wait_alu 0xfffe
	s_or_b32 exec_lo, exec_lo, s3
	s_and_saveexec_b32 s3, s2
	s_cbranch_execz .LBB69_32
.LBB69_39:                              ;   in Loop: Header=BB69_3 Depth=1
	v_add_co_u32 v58, vcc_lo, v52, v18
	s_wait_alu 0xfffd
	v_add_co_ci_u32_e64 v59, null, v53, v19, vcc_lo
	v_add_co_u32 v61, vcc_lo, v54, v18
	s_wait_alu 0xfffd
	v_add_co_ci_u32_e64 v62, null, v55, v19, vcc_lo
	global_load_b32 v3, v[58:59], off
	global_load_b32 v11, v[61:62], off
	s_wait_alu 0xfffe
	s_or_b32 exec_lo, exec_lo, s3
	s_and_saveexec_b32 s3, s2
	s_cbranch_execnz .LBB69_33
.LBB69_40:                              ;   in Loop: Header=BB69_3 Depth=1
	s_wait_alu 0xfffe
	s_or_b32 exec_lo, exec_lo, s3
	s_and_saveexec_b32 s3, s2
	s_cbranch_execz .LBB69_34
.LBB69_41:                              ;   in Loop: Header=BB69_3 Depth=1
	v_add_co_u32 v58, vcc_lo, v43, v18
	s_wait_alu 0xfffd
	v_add_co_ci_u32_e64 v59, null, v44, v19, vcc_lo
	v_add_co_u32 v61, vcc_lo, v45, v18
	s_wait_alu 0xfffd
	v_add_co_ci_u32_e64 v62, null, v46, v19, vcc_lo
	global_load_b32 v5, v[58:59], off
	global_load_b32 v13, v[61:62], off
	s_wait_alu 0xfffe
	s_or_b32 exec_lo, exec_lo, s3
	s_and_saveexec_b32 s3, s2
	s_cbranch_execnz .LBB69_35
.LBB69_42:                              ;   in Loop: Header=BB69_3 Depth=1
	s_wait_alu 0xfffe
	s_or_b32 exec_lo, exec_lo, s3
	s_and_saveexec_b32 s3, s2
	s_cbranch_execz .LBB69_36
.LBB69_43:                              ;   in Loop: Header=BB69_3 Depth=1
	v_add_co_u32 v58, vcc_lo, v35, v18
	s_wait_alu 0xfffd
	v_add_co_ci_u32_e64 v59, null, v36, v19, vcc_lo
	v_add_co_u32 v61, vcc_lo, v37, v18
	s_wait_alu 0xfffd
	v_add_co_ci_u32_e64 v62, null, v38, v19, vcc_lo
	global_load_b32 v7, v[58:59], off
	global_load_b32 v15, v[61:62], off
	s_wait_alu 0xfffe
	s_or_b32 exec_lo, exec_lo, s3
	s_and_saveexec_b32 s3, s2
	s_cbranch_execnz .LBB69_37
.LBB69_44:                              ;   in Loop: Header=BB69_3 Depth=1
	s_wait_alu 0xfffe
	s_or_b32 exec_lo, exec_lo, s3
	s_and_saveexec_b32 s3, s2
	s_cbranch_execz .LBB69_46
.LBB69_45:                              ;   in Loop: Header=BB69_3 Depth=1
	v_add_co_u32 v58, vcc_lo, v27, v18
	s_wait_alu 0xfffd
	v_add_co_ci_u32_e64 v59, null, v28, v19, vcc_lo
	v_add_co_u32 v61, vcc_lo, v29, v18
	s_wait_alu 0xfffd
	v_add_co_ci_u32_e64 v62, null, v30, v19, vcc_lo
	global_load_b32 v9, v[58:59], off
	global_load_b32 v17, v[61:62], off
.LBB69_46:                              ;   in Loop: Header=BB69_3 Depth=1
	s_wait_alu 0xfffe
	s_or_b32 exec_lo, exec_lo, s3
	s_wait_loadcnt 0x1
	ds_bpermute_b32 v58, v1, v56
	ds_bpermute_b32 v59, v1, v56 offset:4
	ds_bpermute_b32 v61, v1, v56 offset:8
	s_wait_loadcnt 0x0
	ds_bpermute_b32 v62, v1, v60
	ds_bpermute_b32 v63, v1, v56 offset:12
	ds_bpermute_b32 v64, v1, v60 offset:4
	;; [unrolled: 1-line block ×5, first 2 shown]
	s_wait_dscnt 0x7
	v_dual_sub_f32 v10, v10, v58 :: v_dual_sub_f32 v11, v11, v59
	ds_bpermute_b32 v58, v1, v60 offset:12
	ds_bpermute_b32 v59, v1, v60 offset:20
	s_wait_dscnt 0x6
	v_dual_sub_f32 v13, v13, v63 :: v_dual_mul_f32 v10, v2, v10
	v_dual_mul_f32 v11, v3, v11 :: v_dual_add_f32 v2, v48, v2
	ds_bpermute_b32 v48, v1, v60 offset:16
	v_dual_sub_f32 v12, v12, v61 :: v_dual_fmac_f32 v57, v10, v62
	ds_bpermute_b32 v10, v1, v56 offset:24
	s_wait_dscnt 0x6
	v_dual_add_f32 v2, v3, v2 :: v_dual_sub_f32 v3, v14, v65
	v_mul_f32_e32 v12, v4, v12
	v_fmac_f32_e32 v57, v11, v64
	s_delay_alu instid0(VALU_DEP_3)
	v_dual_mul_f32 v11, v5, v13 :: v_dual_add_f32 v4, v4, v2
	ds_bpermute_b32 v61, v1, v60 offset:28
	ds_bpermute_b32 v2, v1, v56 offset:28
	s_wait_dscnt 0x7
	v_fmac_f32_e32 v57, v12, v66
	ds_bpermute_b32 v12, v1, v60 offset:24
	s_wait_dscnt 0x7
	v_dual_add_f32 v4, v5, v4 :: v_dual_sub_f32 v13, v15, v67
	s_wait_dscnt 0x6
	s_delay_alu instid0(VALU_DEP_1) | instskip(SKIP_1) | instid1(VALU_DEP_3)
	v_dual_fmac_f32 v57, v11, v58 :: v_dual_add_f32 v4, v6, v4
	v_mul_f32_e32 v3, v6, v3
	v_mul_f32_e32 v5, v7, v13
	s_delay_alu instid0(VALU_DEP_3) | instskip(SKIP_1) | instid1(VALU_DEP_3)
	v_add_f32_e32 v4, v7, v4
	s_wait_dscnt 0x4
	v_fmac_f32_e32 v57, v3, v48
	s_wait_dscnt 0x3
	v_sub_f32_e32 v3, v16, v10
	s_delay_alu instid0(VALU_DEP_2) | instskip(NEXT) | instid1(VALU_DEP_2)
	v_fmac_f32_e32 v57, v5, v59
	v_mul_f32_e32 v3, v8, v3
	s_wait_dscnt 0x0
	s_delay_alu instid0(VALU_DEP_1) | instskip(NEXT) | instid1(VALU_DEP_1)
	v_fmac_f32_e32 v57, v3, v12
	v_dual_add_f32 v3, v8, v4 :: v_dual_mov_b32 v56, v57
.LBB69_47:                              ;   in Loop: Header=BB69_3 Depth=1
	v_add_co_u32 v23, vcc_lo, v23, s24
	s_wait_alu 0xfffd
	v_add_co_ci_u32_e64 v24, null, s25, v24, vcc_lo
	v_add_co_u32 v25, vcc_lo, v25, s24
	s_wait_alu 0xfffd
	v_add_co_ci_u32_e64 v26, null, s25, v26, vcc_lo
	;; [unrolled: 3-line block ×10, first 2 shown]
	v_add_co_u32 v43, vcc_lo, v43, s24
	s_wait_dscnt 0x0
	v_sub_f32_e32 v2, v17, v2
	s_wait_alu 0xfffd
	v_add_co_ci_u32_e64 v44, null, s25, v44, vcc_lo
	v_add_co_u32 v45, vcc_lo, v45, s24
	s_wait_alu 0xfffd
	v_add_co_ci_u32_e64 v46, null, s25, v46, vcc_lo
	v_add_co_u32 v47, vcc_lo, v47, s24
	;; [unrolled: 3-line block ×3, first 2 shown]
	s_add_nc_u64 s[28:29], s[28:29], s[22:23]
	v_mul_f32_e32 v2, v9, v2
	s_wait_alu 0xfffd
	v_add_co_ci_u32_e64 v51, null, s25, v51, vcc_lo
	v_add_co_u32 v52, vcc_lo, v52, s24
	s_wait_alu 0xfffe
	v_cmp_lt_i64_e64 s3, s[28:29], s[4:5]
	s_wait_alu 0xfffd
	v_add_co_ci_u32_e64 v53, null, s25, v53, vcc_lo
	v_add_co_u32 v54, vcc_lo, v54, s24
	v_add_f32_e32 v48, v3, v9
	v_fmac_f32_e32 v56, v2, v61
	s_wait_alu 0xfffd
	v_add_co_ci_u32_e64 v55, null, s25, v55, vcc_lo
	s_and_b32 vcc_lo, exec_lo, s3
	s_add_nc_u64 s[26:27], s[26:27], s[22:23]
	s_wait_alu 0xfffe
	s_cbranch_vccz .LBB69_50
; %bb.48:                               ;   in Loop: Header=BB69_3 Depth=1
	v_mov_b32_e32 v57, v56
	s_branch .LBB69_3
.LBB69_49:
                                        ; implicit-def: $vgpr48
                                        ; implicit-def: $vgpr56
	s_branch .LBB69_51
.LBB69_50:
	s_cbranch_execnz .LBB69_82
.LBB69_51:
	v_mov_b32_e32 v48, 0
	v_mov_b32_e32 v56, 0
	s_and_not1_b32 vcc_lo, exec_lo, s31
	s_wait_alu 0xfffe
	s_cbranch_vccnz .LBB69_82
; %bb.52:
	v_bfe_u32 v49, v0, 10, 10
	v_and_b32_e32 v51, 0x3ff, v0
	s_lshl_b64 s[20:21], s[16:17], 2
	s_mov_b32 s3, 0
	s_delay_alu instid0(VALU_DEP_2)
	v_dual_mov_b32 v1, 0 :: v_dual_lshlrev_b32 v50, 3, v49
	v_lshlrev_b32_e32 v8, 5, v49
	v_add_nc_u32_e32 v4, s30, v51
	s_wait_alu 0xfffe
	s_mov_b32 s19, s3
	v_mov_b32_e32 v5, v1
	v_add_co_u32 v10, s2, v50, s16
	s_wait_alu 0xf1ff
	v_add_co_ci_u32_e64 v11, null, 0, 0, s2
	s_load_b32 s2, s[0:1], 0x44
	v_mul_lo_u32 v6, s7, v10
	v_mad_co_u64_u32 v[2:3], null, s6, v10, 0
	v_mul_lo_u32 v7, s6, v11
	v_lshlrev_b64_e32 v[18:19], 2, v[4:5]
	s_delay_alu instid0(VALU_DEP_2) | instskip(SKIP_3) | instid1(VALU_DEP_3)
	v_add3_u32 v3, v3, v7, v6
	v_add_co_u32 v6, s18, v8, s20
	s_wait_alu 0xf1ff
	v_add_co_ci_u32_e64 v7, null, 0, s21, s18
	v_lshlrev_b64_e32 v[4:5], 2, v[2:3]
	s_delay_alu instid0(VALU_DEP_3) | instskip(SKIP_1) | instid1(VALU_DEP_3)
	v_add_co_u32 v8, vcc_lo, v6, 4
	s_wait_alu 0xfffd
	v_add_co_ci_u32_e64 v9, null, 0, v7, vcc_lo
	s_wait_kmcnt 0x0
	s_lshl_b32 s18, s2, 8
	v_add_co_u32 v52, vcc_lo, s8, v4
	s_wait_alu 0xfffd
	v_add_co_ci_u32_e64 v53, null, s9, v5, vcc_lo
	v_add_co_u32 v54, vcc_lo, s10, v4
	s_wait_alu 0xfffd
	v_add_co_ci_u32_e64 v55, null, s11, v5, vcc_lo
	;; [unrolled: 3-line block ×5, first 2 shown]
	v_add_co_u32 v42, vcc_lo, v6, 20
	v_mad_co_u64_u32 v[22:23], null, s6, v4, s[8:9]
	v_mul_lo_u32 v5, s6, v5
	v_mul_lo_u32 v15, s7, v4
	v_mad_co_u64_u32 v[36:37], null, s6, v4, s[10:11]
	s_wait_alu 0xfffd
	v_add_co_ci_u32_e64 v30, null, 0, v7, vcc_lo
	v_add_co_u32 v44, vcc_lo, v6, 24
	s_wait_alu 0xfffd
	v_add_co_ci_u32_e64 v32, null, 0, v7, vcc_lo
	v_add_co_u32 v6, vcc_lo, v6, 28
	v_mad_co_u64_u32 v[20:21], null, s6, v8, s[8:9]
	v_mul_lo_u32 v9, s6, v9
	v_mul_lo_u32 v12, s7, v8
	v_mad_co_u64_u32 v[34:35], null, s6, v8, s[10:11]
	s_wait_alu 0xfffd
	v_add_co_ci_u32_e64 v7, null, 0, v7, vcc_lo
	v_add_co_u32 v4, vcc_lo, v10, 7
	v_add3_u32 v23, v15, v23, v5
	v_add3_u32 v37, v15, v37, v5
	s_wait_alu 0xfffd
	v_add_co_ci_u32_e64 v5, null, 0, v11, vcc_lo
	v_mul_lo_u32 v61, s6, v7
	v_add_co_u32 v7, vcc_lo, v10, 6
	v_add3_u32 v21, v12, v21, v9
	v_add3_u32 v35, v12, v35, v9
	s_wait_alu 0xfffd
	v_add_co_ci_u32_e64 v12, null, 0, v11, vcc_lo
	v_mul_lo_u32 v8, s7, v4
	v_mul_lo_u32 v9, s6, v5
	v_mad_co_u64_u32 v[4:5], null, s6, v4, 0
	v_mad_co_u64_u32 v[24:25], null, s6, v13, s[8:9]
	v_mul_lo_u32 v17, s7, v13
	v_mul_lo_u32 v59, s6, v32
	v_mad_co_u64_u32 v[32:33], null, s6, v6, s[8:9]
	v_mul_lo_u32 v62, s7, v6
	v_mad_co_u64_u32 v[38:39], null, s6, v13, s[10:11]
	v_mad_co_u64_u32 v[46:47], null, s6, v6, s[10:11]
	v_mul_lo_u32 v13, s7, v7
	v_mul_lo_u32 v12, s6, v12
	v_mad_co_u64_u32 v[6:7], null, s6, v7, 0
	v_add3_u32 v5, v5, v9, v8
	v_add_co_u32 v8, vcc_lo, v10, 5
	v_mul_lo_u32 v48, s6, v28
	v_mad_co_u64_u32 v[28:29], null, s6, v42, s[8:9]
	v_mul_lo_u32 v57, s6, v30
	v_mul_lo_u32 v58, s7, v42
	v_mad_co_u64_u32 v[42:43], null, s6, v42, s[10:11]
	s_wait_alu 0xfffd
	v_add_co_ci_u32_e64 v9, null, 0, v11, vcc_lo
	v_add3_u32 v7, v7, v12, v13
	v_mad_co_u64_u32 v[30:31], null, s6, v44, s[8:9]
	v_mul_lo_u32 v60, s7, v44
	v_mad_co_u64_u32 v[44:45], null, s6, v44, s[10:11]
	v_lshlrev_b64_e32 v[4:5], 2, v[4:5]
	v_mul_lo_u32 v12, s7, v8
	v_mul_lo_u32 v13, s6, v9
	v_mad_co_u64_u32 v[8:9], null, s6, v8, 0
	v_lshlrev_b64_e32 v[6:7], 2, v[6:7]
	v_add3_u32 v29, v58, v29, v57
	v_add3_u32 v43, v58, v43, v57
	v_add_co_u32 v57, vcc_lo, s8, v4
	v_add3_u32 v31, v60, v31, v59
	v_add3_u32 v45, v60, v45, v59
	s_wait_alu 0xfffd
	v_add_co_ci_u32_e64 v58, null, s9, v5, vcc_lo
	v_add_co_u32 v59, vcc_lo, s10, v4
	v_add3_u32 v33, v62, v33, v61
	v_add3_u32 v47, v62, v47, v61
	s_wait_alu 0xfffd
	v_add_co_ci_u32_e64 v60, null, s11, v5, vcc_lo
	v_add_co_u32 v61, vcc_lo, s8, v6
	v_mul_lo_u32 v14, s6, v14
	v_add3_u32 v9, v9, v13, v12
	s_wait_alu 0xfffd
	v_add_co_ci_u32_e64 v62, null, s9, v7, vcc_lo
	v_add_co_u32 v12, vcc_lo, v10, 4
	v_add_co_u32 v63, s2, s10, v6
	s_wait_alu 0xfffd
	v_add_co_ci_u32_e64 v6, null, 0, v11, vcc_lo
	v_lshlrev_b64_e32 v[4:5], 2, v[8:9]
	v_add_co_u32 v8, vcc_lo, v10, 3
	s_wait_alu 0xfffd
	v_add_co_ci_u32_e64 v9, null, 0, v11, vcc_lo
	v_add3_u32 v25, v17, v25, v14
	v_add3_u32 v39, v17, v39, v14
	s_wait_alu 0xf1ff
	v_add_co_ci_u32_e64 v64, null, s11, v7, s2
	v_mul_lo_u32 v13, s7, v12
	v_mul_lo_u32 v14, s6, v6
	v_mad_co_u64_u32 v[6:7], null, s6, v12, 0
	v_mul_lo_u32 v12, s7, v8
	v_mul_lo_u32 v15, s6, v9
	v_mad_co_u64_u32 v[8:9], null, s6, v8, 0
	v_add_co_u32 v65, vcc_lo, s8, v4
	s_wait_alu 0xfffd
	v_add_co_ci_u32_e64 v66, null, s9, v5, vcc_lo
	v_add3_u32 v7, v7, v14, v13
	v_add_co_u32 v67, vcc_lo, s10, v4
	s_wait_alu 0xfffd
	v_add_co_ci_u32_e64 v68, null, s11, v5, vcc_lo
	v_add_co_u32 v10, vcc_lo, v10, 2
	v_add3_u32 v9, v9, v15, v12
	s_wait_alu 0xfffd
	v_add_co_ci_u32_e64 v11, null, 0, v11, vcc_lo
	v_lshlrev_b64_e32 v[4:5], 2, v[6:7]
	v_mul_lo_u32 v12, s7, v10
	v_lshlrev_b64_e32 v[6:7], 2, v[8:9]
	s_delay_alu instid0(VALU_DEP_4)
	v_mul_lo_u32 v11, s6, v11
	v_mad_co_u64_u32 v[8:9], null, s6, v10, 0
	v_add_co_u32 v69, vcc_lo, s8, v4
	s_wait_alu 0xfffd
	v_add_co_ci_u32_e64 v70, null, s9, v5, vcc_lo
	v_add_co_u32 v71, vcc_lo, s10, v4
	s_wait_alu 0xfffd
	v_add_co_ci_u32_e64 v72, null, s11, v5, vcc_lo
	;; [unrolled: 3-line block ×3, first 2 shown]
	v_add3_u32 v9, v9, v11, v12
	v_add_co_u32 v75, vcc_lo, s10, v6
	s_wait_alu 0xfffd
	v_add_co_ci_u32_e64 v76, null, s11, v7, vcc_lo
	v_add_co_u32 v2, vcc_lo, v2, s6
	s_wait_alu 0xfffd
	v_add_co_ci_u32_e64 v3, null, s7, v3, vcc_lo
	v_lshlrev_b64_e32 v[4:5], 2, v[8:9]
	v_mad_co_u64_u32 v[26:27], null, s6, v16, s[8:9]
	s_delay_alu instid0(VALU_DEP_3)
	v_lshlrev_b64_e32 v[2:3], 2, v[2:3]
	v_mul_lo_u32 v56, s7, v16
	v_mad_co_u64_u32 v[40:41], null, s6, v16, s[10:11]
	v_add_co_u32 v77, vcc_lo, s8, v4
	s_wait_alu 0xfffd
	v_add_co_ci_u32_e64 v78, null, s9, v5, vcc_lo
	v_add_co_u32 v79, vcc_lo, s10, v4
	s_wait_alu 0xfffd
	v_add_co_ci_u32_e64 v80, null, s11, v5, vcc_lo
	v_add_co_u32 v81, vcc_lo, s8, v2
	s_wait_alu 0xfffd
	v_add_co_ci_u32_e64 v82, null, s9, v3, vcc_lo
	v_add_co_u32 v83, vcc_lo, s10, v2
	v_add3_u32 v27, v56, v27, v48
	v_add3_u32 v41, v56, v41, v48
	s_wait_alu 0xfffd
	v_add_co_ci_u32_e64 v84, null, s11, v3, vcc_lo
	v_mov_b32_e32 v56, 0
	v_mov_b32_e32 v48, 0
	s_wait_alu 0xfffe
	s_mul_u64 s[20:21], s[6:7], s[18:19]
	s_add_nc_u64 s[8:9], s[0:1], 64
	s_wait_alu 0xfffe
	s_lshl_b64 s[10:11], s[20:21], 2
	s_add_nc_u64 s[20:21], s[16:17], 0xff
	s_branch .LBB69_56
.LBB69_53:                              ;   in Loop: Header=BB69_56 Depth=1
	s_wait_alu 0xfffe
	s_or_b32 exec_lo, exec_lo, s22
.LBB69_54:                              ;   in Loop: Header=BB69_56 Depth=1
	s_wait_alu 0xfffe
	s_or_b32 exec_lo, exec_lo, s2
	v_add_co_u32 v2, vcc_lo, v52, v18
	s_wait_alu 0xfffd
	v_add_co_ci_u32_e64 v3, null, v53, v19, vcc_lo
	s_wait_loadcnt 0x1
	ds_bpermute_b32 v88, v1, v4
	global_load_b32 v6, v[2:3], off
	v_add_co_u32 v2, vcc_lo, v54, v18
	s_wait_alu 0xfffd
	v_add_co_ci_u32_e64 v3, null, v55, v19, vcc_lo
	global_load_b32 v7, v[2:3], off
	v_add_co_u32 v2, vcc_lo, v20, v18
	s_wait_alu 0xfffd
	v_add_co_ci_u32_e64 v3, null, v21, v19, vcc_lo
	;; [unrolled: 4-line block ×15, first 2 shown]
	global_load_b32 v3, v[2:3], off
	s_wait_loadcnt 0x10
	ds_bpermute_b32 v2, v1, v5
	s_wait_loadcnt_dscnt 0xe01
	v_sub_f32_e32 v7, v7, v88
	s_delay_alu instid0(VALU_DEP_1) | instskip(SKIP_1) | instid1(VALU_DEP_1)
	v_mul_f32_e32 v7, v6, v7
	s_wait_dscnt 0x0
	v_fmac_f32_e32 v56, v7, v2
	ds_bpermute_b32 v7, v1, v4 offset:4
	v_add_f32_e32 v2, v48, v6
	ds_bpermute_b32 v6, v1, v5 offset:4
	s_wait_loadcnt 0xd
	v_add_f32_e32 v2, v2, v8
	s_wait_loadcnt 0xb
	s_delay_alu instid0(VALU_DEP_1) | instskip(SKIP_3) | instid1(VALU_DEP_1)
	v_add_f32_e32 v2, v2, v11
	s_wait_dscnt 0x1
	v_sub_f32_e32 v7, v10, v7
	s_wait_loadcnt 0x9
	v_dual_mul_f32 v7, v8, v7 :: v_dual_add_f32 v2, v2, v13
	s_wait_dscnt 0x0
	s_delay_alu instid0(VALU_DEP_1)
	v_fmac_f32_e32 v56, v7, v6
	ds_bpermute_b32 v7, v1, v4 offset:8
	ds_bpermute_b32 v6, v1, v5 offset:8
	s_wait_loadcnt 0x7
	v_add_f32_e32 v2, v2, v15
	s_wait_dscnt 0x1
	v_sub_f32_e32 v7, v12, v7
	s_delay_alu instid0(VALU_DEP_1) | instskip(SKIP_1) | instid1(VALU_DEP_1)
	v_mul_f32_e32 v7, v11, v7
	s_wait_dscnt 0x0
	v_fmac_f32_e32 v56, v7, v6
	ds_bpermute_b32 v7, v1, v4 offset:12
	ds_bpermute_b32 v6, v1, v5 offset:12
	s_wait_loadcnt 0x5
	v_add_f32_e32 v2, v2, v17
	s_wait_loadcnt 0x3
	s_delay_alu instid0(VALU_DEP_1) | instskip(SKIP_2) | instid1(VALU_DEP_1)
	v_add_f32_e32 v2, v2, v86
	s_wait_dscnt 0x1
	v_sub_f32_e32 v7, v14, v7
	v_mul_f32_e32 v7, v13, v7
	s_wait_dscnt 0x0
	s_delay_alu instid0(VALU_DEP_1) | instskip(SKIP_4) | instid1(VALU_DEP_1)
	v_fmac_f32_e32 v56, v7, v6
	ds_bpermute_b32 v7, v1, v4 offset:16
	ds_bpermute_b32 v6, v1, v5 offset:16
	s_wait_dscnt 0x1
	v_sub_f32_e32 v7, v16, v7
	v_mul_f32_e32 v7, v15, v7
	s_wait_dscnt 0x0
	s_delay_alu instid0(VALU_DEP_1) | instskip(SKIP_4) | instid1(VALU_DEP_1)
	v_fmac_f32_e32 v56, v7, v6
	ds_bpermute_b32 v7, v1, v4 offset:20
	ds_bpermute_b32 v6, v1, v5 offset:20
	s_wait_dscnt 0x1
	v_sub_f32_e32 v7, v85, v7
	v_mul_f32_e32 v7, v17, v7
	s_wait_dscnt 0x0
	s_delay_alu instid0(VALU_DEP_1)
	v_fmac_f32_e32 v56, v7, v6
	ds_bpermute_b32 v7, v1, v4 offset:24
	ds_bpermute_b32 v4, v1, v4 offset:28
	;; [unrolled: 1-line block ×4, first 2 shown]
	s_wait_loadcnt_dscnt 0x203
	v_sub_f32_e32 v7, v87, v7
	s_wait_loadcnt_dscnt 0x2
	v_sub_f32_e32 v3, v3, v4
	s_delay_alu instid0(VALU_DEP_2) | instskip(SKIP_1) | instid1(VALU_DEP_1)
	v_mul_f32_e32 v7, v86, v7
	s_wait_dscnt 0x1
	v_dual_mul_f32 v3, v9, v3 :: v_dual_fmac_f32 v56, v7, v6
	s_wait_dscnt 0x0
	s_delay_alu instid0(VALU_DEP_1)
	v_dual_mul_f32 v3, v3, v5 :: v_dual_mov_b32 v10, v56
.LBB69_55:                              ;   in Loop: Header=BB69_56 Depth=1
	v_add_co_u32 v52, vcc_lo, v52, s10
	s_wait_alu 0xfffd
	v_add_co_ci_u32_e64 v53, null, s11, v53, vcc_lo
	v_add_co_u32 v54, vcc_lo, v54, s10
	s_wait_alu 0xfffd
	v_add_co_ci_u32_e64 v55, null, s11, v55, vcc_lo
	;; [unrolled: 3-line block ×27, first 2 shown]
	v_add_co_u32 v79, vcc_lo, v79, s10
	s_add_nc_u64 s[16:17], s[16:17], s[18:19]
	s_wait_alu 0xfffd
	v_add_co_ci_u32_e64 v80, null, s11, v80, vcc_lo
	v_add_co_u32 v81, vcc_lo, v81, s10
	s_wait_alu 0xfffe
	v_cmp_ge_i64_e64 s2, s[16:17], s[4:5]
	s_wait_alu 0xfffd
	v_add_co_ci_u32_e64 v82, null, s11, v82, vcc_lo
	v_add_co_u32 v83, vcc_lo, v83, s10
	v_add_f32_e32 v56, v10, v3
	v_add_f32_e32 v48, v2, v9
	s_wait_alu 0xfffd
	v_add_co_ci_u32_e64 v84, null, s11, v84, vcc_lo
	s_and_b32 vcc_lo, exec_lo, s2
	s_add_nc_u64 s[20:21], s[20:21], s[18:19]
	s_wait_alu 0xfffe
	s_cbranch_vccnz .LBB69_82
.LBB69_56:                              ; =>This Inner Loop Header: Depth=1
	s_wait_alu 0xfffe
	v_cmp_ge_i64_e64 s2, s[20:21], s[4:5]
	v_add_co_u32 v85, s22, v50, s20
	s_wait_alu 0xf1ff
	v_add_co_ci_u32_e64 v86, null, 0, s21, s22
                                        ; implicit-def: $vgpr9
                                        ; implicit-def: $vgpr3
                                        ; implicit-def: $vgpr2
                                        ; implicit-def: $vgpr10
	s_and_b32 vcc_lo, exec_lo, s2
	s_mov_b32 s2, -1
	s_wait_alu 0xfffe
	s_cbranch_vccz .LBB69_78
; %bb.57:                               ;   in Loop: Header=BB69_56 Depth=1
	s_load_b32 s2, s[8:9], 0xc
	v_dual_mov_b32 v88, 0 :: v_dual_mov_b32 v87, 0
	s_wait_kmcnt 0x0
	s_and_b32 s2, s2, 0xffff
	s_wait_alu 0xfffe
	v_mad_u32_u24 v2, v49, s2, v51
	s_mov_b32 s2, exec_lo
	s_delay_alu instid0(VALU_DEP_1) | instskip(NEXT) | instid1(VALU_DEP_1)
	v_and_b32_e32 v2, 31, v2
	v_cmpx_gt_u32_e32 8, v2
	s_cbranch_execz .LBB69_61
; %bb.58:                               ;   in Loop: Header=BB69_56 Depth=1
	v_add_co_u32 v2, vcc_lo, v85, v2
	s_wait_alu 0xfffd
	v_add_co_ci_u32_e64 v3, null, 0, v86, vcc_lo
	v_dual_mov_b32 v87, 0 :: v_dual_mov_b32 v88, 0
	s_delay_alu instid0(VALU_DEP_3) | instskip(SKIP_1) | instid1(VALU_DEP_3)
	v_add_co_u32 v2, vcc_lo, 0xffffff01, v2
	s_wait_alu 0xfffd
	v_add_co_ci_u32_e64 v3, null, -1, v3, vcc_lo
	s_mov_b32 s22, exec_lo
	v_cmpx_gt_i64_e64 s[4:5], v[2:3]
	s_cbranch_execz .LBB69_60
; %bb.59:                               ;   in Loop: Header=BB69_56 Depth=1
	v_lshlrev_b64_e32 v[2:3], 2, v[2:3]
	s_delay_alu instid0(VALU_DEP_1) | instskip(SKIP_1) | instid1(VALU_DEP_2)
	v_add_co_u32 v4, vcc_lo, s12, v2
	s_wait_alu 0xfffd
	v_add_co_ci_u32_e64 v5, null, s13, v3, vcc_lo
	v_add_co_u32 v2, vcc_lo, s14, v2
	s_wait_alu 0xfffd
	v_add_co_ci_u32_e64 v3, null, s15, v3, vcc_lo
	global_load_b32 v87, v[4:5], off
	global_load_b32 v88, v[2:3], off
.LBB69_60:                              ;   in Loop: Header=BB69_56 Depth=1
	s_wait_alu 0xfffe
	s_or_b32 exec_lo, exec_lo, s22
.LBB69_61:                              ;   in Loop: Header=BB69_56 Depth=1
	s_wait_alu 0xfffe
	s_or_b32 exec_lo, exec_lo, s2
	v_add_co_u32 v9, vcc_lo, 0xffffff01, v85
	s_wait_alu 0xfffd
	v_add_co_ci_u32_e64 v10, null, -1, v86, vcc_lo
	v_mov_b32_e32 v8, v1
	v_dual_mov_b32 v2, v1 :: v_dual_mov_b32 v3, v1
	v_dual_mov_b32 v4, v1 :: v_dual_mov_b32 v5, v1
	;; [unrolled: 1-line block ×3, first 2 shown]
	v_cmp_gt_i64_e32 vcc_lo, s[4:5], v[9:10]
	s_delay_alu instid0(VALU_DEP_3) | instskip(NEXT) | instid1(VALU_DEP_3)
	v_dual_mov_b32 v17, v8 :: v_dual_mov_b32 v14, v5
	v_dual_mov_b32 v15, v6 :: v_dual_mov_b32 v16, v7
	;; [unrolled: 1-line block ×4, first 2 shown]
	v_mov_b32_e32 v9, v8
	v_mov_b32_e32 v8, v7
	;; [unrolled: 1-line block ×8, first 2 shown]
	s_and_saveexec_b32 s2, vcc_lo
	s_cbranch_execz .LBB69_63
; %bb.62:                               ;   in Loop: Header=BB69_56 Depth=1
	v_add_co_u32 v2, vcc_lo, v52, v18
	s_wait_alu 0xfffd
	v_add_co_ci_u32_e64 v3, null, v53, v19, vcc_lo
	v_add_co_u32 v4, vcc_lo, v54, v18
	s_wait_alu 0xfffd
	v_add_co_ci_u32_e64 v5, null, v55, v19, vcc_lo
	global_load_b32 v2, v[2:3], off
	global_load_b32 v10, v[4:5], off
	v_dual_mov_b32 v3, v1 :: v_dual_mov_b32 v4, v1
	v_dual_mov_b32 v5, v1 :: v_dual_mov_b32 v6, v1
	;; [unrolled: 1-line block ×6, first 2 shown]
	v_mov_b32_e32 v15, v1
	v_mov_b32_e32 v17, v1
.LBB69_63:                              ;   in Loop: Header=BB69_56 Depth=1
	s_wait_alu 0xfffe
	s_or_b32 exec_lo, exec_lo, s2
	v_add_co_u32 v89, vcc_lo, 0xffffff02, v85
	s_wait_alu 0xfffd
	v_add_co_ci_u32_e64 v90, null, -1, v86, vcc_lo
	s_mov_b32 s2, exec_lo
	v_cmpx_gt_i64_e64 s[4:5], v[89:90]
	s_cbranch_execz .LBB69_65
; %bb.64:                               ;   in Loop: Header=BB69_56 Depth=1
	v_add_co_u32 v89, vcc_lo, v81, v18
	s_wait_alu 0xfffd
	v_add_co_ci_u32_e64 v90, null, v82, v19, vcc_lo
	v_add_co_u32 v91, vcc_lo, v83, v18
	s_wait_alu 0xfffd
	v_add_co_ci_u32_e64 v92, null, v84, v19, vcc_lo
	global_load_b32 v3, v[89:90], off
	global_load_b32 v11, v[91:92], off
.LBB69_65:                              ;   in Loop: Header=BB69_56 Depth=1
	s_wait_alu 0xfffe
	s_or_b32 exec_lo, exec_lo, s2
	v_add_co_u32 v89, vcc_lo, 0xffffff03, v85
	s_wait_alu 0xfffd
	v_add_co_ci_u32_e64 v90, null, -1, v86, vcc_lo
	s_mov_b32 s2, exec_lo
	v_cmpx_gt_i64_e64 s[4:5], v[89:90]
	s_cbranch_execz .LBB69_67
; %bb.66:                               ;   in Loop: Header=BB69_56 Depth=1
	v_add_co_u32 v89, vcc_lo, v77, v18
	s_wait_alu 0xfffd
	v_add_co_ci_u32_e64 v90, null, v78, v19, vcc_lo
	v_add_co_u32 v91, vcc_lo, v79, v18
	s_wait_alu 0xfffd
	v_add_co_ci_u32_e64 v92, null, v80, v19, vcc_lo
	global_load_b32 v4, v[89:90], off
	global_load_b32 v12, v[91:92], off
.LBB69_67:                              ;   in Loop: Header=BB69_56 Depth=1
	;; [unrolled: 18-line block ×7, first 2 shown]
	s_wait_alu 0xfffe
	s_or_b32 exec_lo, exec_lo, s2
	s_wait_loadcnt 0x1
	ds_bpermute_b32 v90, v1, v87
	s_wait_loadcnt 0x0
	ds_bpermute_b32 v89, v1, v88
	s_mov_b32 s2, 0
	s_wait_dscnt 0x1
	v_sub_f32_e32 v10, v10, v90
	ds_bpermute_b32 v90, v1, v87 offset:4
	s_wait_dscnt 0x0
	v_sub_f32_e32 v11, v11, v90
	s_delay_alu instid0(VALU_DEP_1) | instskip(SKIP_1) | instid1(VALU_DEP_2)
	v_dual_mul_f32 v11, v3, v11 :: v_dual_mul_f32 v10, v2, v10
	v_add_f32_e32 v2, v48, v2
	v_fma_f32 v10, v10, v89, v56
	ds_bpermute_b32 v89, v1, v88 offset:4
	v_add_f32_e32 v2, v3, v2
	ds_bpermute_b32 v3, v1, v88 offset:8
	v_add_f32_e32 v2, v4, v2
	s_delay_alu instid0(VALU_DEP_1) | instskip(NEXT) | instid1(VALU_DEP_1)
	v_add_f32_e32 v2, v5, v2
	v_add_f32_e32 v2, v6, v2
	s_wait_dscnt 0x1
	v_fmac_f32_e32 v10, v11, v89
	ds_bpermute_b32 v11, v1, v87 offset:8
	v_add_f32_e32 v2, v7, v2
	s_delay_alu instid0(VALU_DEP_1) | instskip(SKIP_2) | instid1(VALU_DEP_1)
	v_add_f32_e32 v2, v8, v2
	s_wait_dscnt 0x0
	v_sub_f32_e32 v11, v12, v11
	v_mul_f32_e32 v11, v4, v11
	ds_bpermute_b32 v4, v1, v87 offset:12
	v_fmac_f32_e32 v10, v11, v3
	ds_bpermute_b32 v3, v1, v88 offset:12
	s_wait_dscnt 0x1
	v_sub_f32_e32 v4, v13, v4
	s_delay_alu instid0(VALU_DEP_1) | instskip(SKIP_1) | instid1(VALU_DEP_1)
	v_mul_f32_e32 v4, v5, v4
	s_wait_dscnt 0x0
	v_fmac_f32_e32 v10, v4, v3
	ds_bpermute_b32 v4, v1, v87 offset:16
	ds_bpermute_b32 v3, v1, v88 offset:16
	s_wait_dscnt 0x1
	v_sub_f32_e32 v4, v14, v4
	s_delay_alu instid0(VALU_DEP_1) | instskip(SKIP_1) | instid1(VALU_DEP_1)
	v_mul_f32_e32 v4, v6, v4
	s_wait_dscnt 0x0
	v_fmac_f32_e32 v10, v4, v3
	ds_bpermute_b32 v4, v1, v87 offset:20
	;; [unrolled: 8-line block ×4, first 2 shown]
	ds_bpermute_b32 v3, v1, v88 offset:28
	s_wait_dscnt 0x1
	v_sub_f32_e32 v4, v17, v4
	s_delay_alu instid0(VALU_DEP_1) | instskip(SKIP_1) | instid1(VALU_DEP_1)
	v_mul_f32_e32 v4, v9, v4
	s_wait_dscnt 0x0
	v_mul_f32_e32 v3, v4, v3
.LBB69_78:                              ;   in Loop: Header=BB69_56 Depth=1
	s_wait_alu 0xfffe
	s_and_b32 vcc_lo, exec_lo, s2
	s_wait_alu 0xfffe
	s_cbranch_vccz .LBB69_55
; %bb.79:                               ;   in Loop: Header=BB69_56 Depth=1
	s_load_b32 s2, s[8:9], 0x0
	v_dual_mov_b32 v4, 0 :: v_dual_mov_b32 v5, 0
	s_wait_kmcnt 0x0
	s_cmp_lt_u32 ttmp9, s2
	s_cselect_b32 s2, 12, 18
	s_wait_alu 0xfffe
	s_add_nc_u64 s[22:23], s[8:9], s[2:3]
	s_load_u16 s2, s[22:23], 0x0
	s_wait_kmcnt 0x0
	v_mad_u32_u24 v2, v49, s2, v51
	s_mov_b32 s2, exec_lo
	s_delay_alu instid0(VALU_DEP_1) | instskip(NEXT) | instid1(VALU_DEP_1)
	v_and_b32_e32 v2, 31, v2
	v_cmpx_gt_u32_e32 8, v2
	s_cbranch_execz .LBB69_54
; %bb.80:                               ;   in Loop: Header=BB69_56 Depth=1
	v_add_co_u32 v2, vcc_lo, v85, v2
	s_wait_alu 0xfffd
	v_add_co_ci_u32_e64 v3, null, 0, v86, vcc_lo
	v_dual_mov_b32 v4, 0 :: v_dual_mov_b32 v5, 0
	s_delay_alu instid0(VALU_DEP_3) | instskip(SKIP_1) | instid1(VALU_DEP_3)
	v_add_co_u32 v2, vcc_lo, 0xffffff01, v2
	s_wait_alu 0xfffd
	v_add_co_ci_u32_e64 v3, null, -1, v3, vcc_lo
	s_mov_b32 s22, exec_lo
	v_cmpx_gt_i64_e64 s[4:5], v[2:3]
	s_cbranch_execz .LBB69_53
; %bb.81:                               ;   in Loop: Header=BB69_56 Depth=1
	v_lshlrev_b64_e32 v[2:3], 2, v[2:3]
	s_delay_alu instid0(VALU_DEP_1) | instskip(SKIP_1) | instid1(VALU_DEP_2)
	v_add_co_u32 v4, vcc_lo, s12, v2
	s_wait_alu 0xfffd
	v_add_co_ci_u32_e64 v5, null, s13, v3, vcc_lo
	v_add_co_u32 v2, vcc_lo, s14, v2
	s_wait_alu 0xfffd
	v_add_co_ci_u32_e64 v3, null, s15, v3, vcc_lo
	global_load_b32 v4, v[4:5], off
	global_load_b32 v5, v[2:3], off
	s_branch .LBB69_53
.LBB69_82:
	v_and_b32_e32 v2, 0x3ff, v0
	v_bfe_u32 v1, v0, 10, 10
	v_bfe_u32 v0, v0, 5, 5
	s_mov_b32 s3, 0
	s_mov_b32 s2, exec_lo
	s_delay_alu instid0(VALU_DEP_2) | instskip(NEXT) | instid1(VALU_DEP_2)
	v_mad_u32_u24 v3, v1, 33, v2
	v_add_nc_u32_e32 v0, v0, v1
	s_delay_alu instid0(VALU_DEP_2)
	v_lshl_add_u32 v1, v3, 2, 0
	ds_store_b32 v1, v56
	ds_store_b32 v1, v48 offset:4224
	s_wait_dscnt 0x0
	s_barrier_signal -1
	s_barrier_wait -1
	global_inv scope:SCOPE_SE
	v_cmpx_gt_u32_e32 32, v0
	s_cbranch_execz .LBB69_88
; %bb.83:
	v_and_b32_e32 v1, 31, v2
	v_mbcnt_lo_u32_b32 v3, -1, 0
	s_mov_b32 s2, ttmp9
	s_wait_alu 0xfffe
	s_lshl_b64 s[2:3], s[2:3], 5
	v_mad_u32_u24 v1, v1, 33, v0
	v_xor_b32_e32 v5, 16, v3
	v_xor_b32_e32 v7, 8, v3
	s_wait_alu 0xfffe
	v_or_b32_e32 v0, s2, v0
	v_cmp_eq_u32_e64 s2, 0, v2
	v_lshl_add_u32 v1, v1, 2, 0
	v_cmp_gt_i32_e32 vcc_lo, 32, v5
	ds_load_b32 v4, v1
	ds_load_b32 v1, v1 offset:4224
	s_wait_alu 0xfffd
	v_cndmask_b32_e32 v5, v3, v5, vcc_lo
	v_cmp_gt_i32_e32 vcc_lo, 32, v7
	s_delay_alu instid0(VALU_DEP_2) | instskip(SKIP_2) | instid1(VALU_DEP_1)
	v_lshlrev_b32_e32 v5, 2, v5
	s_wait_alu 0xfffd
	v_cndmask_b32_e32 v7, v3, v7, vcc_lo
	v_lshlrev_b32_e32 v7, 2, v7
	s_wait_dscnt 0x1
	ds_bpermute_b32 v6, v5, v4
	s_wait_dscnt 0x1
	ds_bpermute_b32 v5, v5, v1
	s_wait_dscnt 0x0
	v_dual_add_f32 v4, v4, v6 :: v_dual_add_f32 v1, v1, v5
	ds_bpermute_b32 v5, v7, v4
	ds_bpermute_b32 v6, v7, v1
	v_xor_b32_e32 v7, 4, v3
	s_delay_alu instid0(VALU_DEP_1) | instskip(SKIP_3) | instid1(VALU_DEP_1)
	v_cmp_gt_i32_e32 vcc_lo, 32, v7
	s_wait_alu 0xfffd
	v_cndmask_b32_e32 v7, v3, v7, vcc_lo
	s_wait_dscnt 0x1
	v_dual_add_f32 v4, v4, v5 :: v_dual_lshlrev_b32 v7, 2, v7
	s_wait_dscnt 0x0
	v_add_f32_e32 v1, v1, v6
	ds_bpermute_b32 v5, v7, v4
	ds_bpermute_b32 v6, v7, v1
	v_xor_b32_e32 v7, 2, v3
	s_delay_alu instid0(VALU_DEP_1) | instskip(SKIP_3) | instid1(VALU_DEP_1)
	v_cmp_gt_i32_e32 vcc_lo, 32, v7
	s_wait_alu 0xfffd
	v_cndmask_b32_e32 v7, v3, v7, vcc_lo
	s_wait_dscnt 0x1
	v_dual_add_f32 v4, v4, v5 :: v_dual_lshlrev_b32 v7, 2, v7
	s_wait_dscnt 0x0
	v_add_f32_e32 v1, v1, v6
	ds_bpermute_b32 v5, v7, v4
	ds_bpermute_b32 v6, v7, v1
	v_xor_b32_e32 v7, 1, v3
	s_delay_alu instid0(VALU_DEP_1) | instskip(SKIP_2) | instid1(VALU_DEP_1)
	v_cmp_gt_i32_e32 vcc_lo, 32, v7
	s_wait_alu 0xfffd
	v_cndmask_b32_e32 v3, v3, v7, vcc_lo
	v_lshlrev_b32_e32 v7, 2, v3
	s_wait_dscnt 0x1
	v_add_f32_e32 v5, v4, v5
	s_wait_dscnt 0x0
	v_add_f32_e32 v3, v1, v6
	v_mov_b32_e32 v1, s3
	ds_bpermute_b32 v6, v7, v5
	ds_bpermute_b32 v4, v7, v3
	v_cmp_gt_i64_e32 vcc_lo, s[6:7], v[0:1]
	s_and_b32 s2, s2, vcc_lo
	s_wait_alu 0xfffe
	s_and_b32 exec_lo, exec_lo, s2
	s_cbranch_execz .LBB69_88
; %bb.84:
	s_load_b128 s[0:3], s[0:1], 0x30
	v_lshlrev_b64_e32 v[0:1], 2, v[0:1]
	s_wait_kmcnt 0x0
	s_cmp_eq_u64 s[0:1], 0
	s_cbranch_scc1 .LBB69_86
; %bb.85:
	s_wait_dscnt 0x1
	v_add_f32_e32 v2, v5, v6
	v_add_co_u32 v5, vcc_lo, s0, v0
	s_wait_alu 0xfffd
	v_add_co_ci_u32_e64 v6, null, s1, v1, vcc_lo
	global_store_b32 v[5:6], v2, off
.LBB69_86:
	s_cmp_eq_u64 s[2:3], 0
	s_cbranch_scc1 .LBB69_88
; %bb.87:
	v_add_co_u32 v0, vcc_lo, s2, v0
	s_wait_dscnt 0x0
	v_add_f32_e32 v2, v3, v4
	s_wait_alu 0xfffd
	v_add_co_ci_u32_e64 v1, null, s3, v1, vcc_lo
	global_store_b32 v[0:1], v2, off
.LBB69_88:
	s_endpgm
	.section	.rodata,"a",@progbits
	.p2align	6, 0x0
	.amdhsa_kernel _ZN2at6native12_GLOBAL__N_135GammaBetaBackwardCUDAKernelTemplateIffLj32ELj32ELj256ELb0ELb0ELb0EEEvllPKT_S5_PKT0_S8_PS3_S9_
		.amdhsa_group_segment_fixed_size 0
		.amdhsa_private_segment_fixed_size 0
		.amdhsa_kernarg_size 320
		.amdhsa_user_sgpr_count 2
		.amdhsa_user_sgpr_dispatch_ptr 0
		.amdhsa_user_sgpr_queue_ptr 0
		.amdhsa_user_sgpr_kernarg_segment_ptr 1
		.amdhsa_user_sgpr_dispatch_id 0
		.amdhsa_user_sgpr_private_segment_size 0
		.amdhsa_wavefront_size32 1
		.amdhsa_uses_dynamic_stack 0
		.amdhsa_enable_private_segment 0
		.amdhsa_system_sgpr_workgroup_id_x 1
		.amdhsa_system_sgpr_workgroup_id_y 1
		.amdhsa_system_sgpr_workgroup_id_z 0
		.amdhsa_system_sgpr_workgroup_info 0
		.amdhsa_system_vgpr_workitem_id 1
		.amdhsa_next_free_vgpr 93
		.amdhsa_next_free_sgpr 36
		.amdhsa_reserve_vcc 1
		.amdhsa_float_round_mode_32 0
		.amdhsa_float_round_mode_16_64 0
		.amdhsa_float_denorm_mode_32 3
		.amdhsa_float_denorm_mode_16_64 3
		.amdhsa_fp16_overflow 0
		.amdhsa_workgroup_processor_mode 1
		.amdhsa_memory_ordered 1
		.amdhsa_forward_progress 1
		.amdhsa_inst_pref_size 78
		.amdhsa_round_robin_scheduling 0
		.amdhsa_exception_fp_ieee_invalid_op 0
		.amdhsa_exception_fp_denorm_src 0
		.amdhsa_exception_fp_ieee_div_zero 0
		.amdhsa_exception_fp_ieee_overflow 0
		.amdhsa_exception_fp_ieee_underflow 0
		.amdhsa_exception_fp_ieee_inexact 0
		.amdhsa_exception_int_div_zero 0
	.end_amdhsa_kernel
	.section	.text._ZN2at6native12_GLOBAL__N_135GammaBetaBackwardCUDAKernelTemplateIffLj32ELj32ELj256ELb0ELb0ELb0EEEvllPKT_S5_PKT0_S8_PS3_S9_,"axG",@progbits,_ZN2at6native12_GLOBAL__N_135GammaBetaBackwardCUDAKernelTemplateIffLj32ELj32ELj256ELb0ELb0ELb0EEEvllPKT_S5_PKT0_S8_PS3_S9_,comdat
.Lfunc_end69:
	.size	_ZN2at6native12_GLOBAL__N_135GammaBetaBackwardCUDAKernelTemplateIffLj32ELj32ELj256ELb0ELb0ELb0EEEvllPKT_S5_PKT0_S8_PS3_S9_, .Lfunc_end69-_ZN2at6native12_GLOBAL__N_135GammaBetaBackwardCUDAKernelTemplateIffLj32ELj32ELj256ELb0ELb0ELb0EEEvllPKT_S5_PKT0_S8_PS3_S9_
                                        ; -- End function
	.set _ZN2at6native12_GLOBAL__N_135GammaBetaBackwardCUDAKernelTemplateIffLj32ELj32ELj256ELb0ELb0ELb0EEEvllPKT_S5_PKT0_S8_PS3_S9_.num_vgpr, 93
	.set _ZN2at6native12_GLOBAL__N_135GammaBetaBackwardCUDAKernelTemplateIffLj32ELj32ELj256ELb0ELb0ELb0EEEvllPKT_S5_PKT0_S8_PS3_S9_.num_agpr, 0
	.set _ZN2at6native12_GLOBAL__N_135GammaBetaBackwardCUDAKernelTemplateIffLj32ELj32ELj256ELb0ELb0ELb0EEEvllPKT_S5_PKT0_S8_PS3_S9_.numbered_sgpr, 36
	.set _ZN2at6native12_GLOBAL__N_135GammaBetaBackwardCUDAKernelTemplateIffLj32ELj32ELj256ELb0ELb0ELb0EEEvllPKT_S5_PKT0_S8_PS3_S9_.num_named_barrier, 0
	.set _ZN2at6native12_GLOBAL__N_135GammaBetaBackwardCUDAKernelTemplateIffLj32ELj32ELj256ELb0ELb0ELb0EEEvllPKT_S5_PKT0_S8_PS3_S9_.private_seg_size, 0
	.set _ZN2at6native12_GLOBAL__N_135GammaBetaBackwardCUDAKernelTemplateIffLj32ELj32ELj256ELb0ELb0ELb0EEEvllPKT_S5_PKT0_S8_PS3_S9_.uses_vcc, 1
	.set _ZN2at6native12_GLOBAL__N_135GammaBetaBackwardCUDAKernelTemplateIffLj32ELj32ELj256ELb0ELb0ELb0EEEvllPKT_S5_PKT0_S8_PS3_S9_.uses_flat_scratch, 0
	.set _ZN2at6native12_GLOBAL__N_135GammaBetaBackwardCUDAKernelTemplateIffLj32ELj32ELj256ELb0ELb0ELb0EEEvllPKT_S5_PKT0_S8_PS3_S9_.has_dyn_sized_stack, 0
	.set _ZN2at6native12_GLOBAL__N_135GammaBetaBackwardCUDAKernelTemplateIffLj32ELj32ELj256ELb0ELb0ELb0EEEvllPKT_S5_PKT0_S8_PS3_S9_.has_recursion, 0
	.set _ZN2at6native12_GLOBAL__N_135GammaBetaBackwardCUDAKernelTemplateIffLj32ELj32ELj256ELb0ELb0ELb0EEEvllPKT_S5_PKT0_S8_PS3_S9_.has_indirect_call, 0
	.section	.AMDGPU.csdata,"",@progbits
; Kernel info:
; codeLenInByte = 9952
; TotalNumSgprs: 38
; NumVgprs: 93
; ScratchSize: 0
; MemoryBound: 0
; FloatMode: 240
; IeeeMode: 1
; LDSByteSize: 0 bytes/workgroup (compile time only)
; SGPRBlocks: 0
; VGPRBlocks: 11
; NumSGPRsForWavesPerEU: 38
; NumVGPRsForWavesPerEU: 93
; Occupancy: 16
; WaveLimiterHint : 0
; COMPUTE_PGM_RSRC2:SCRATCH_EN: 0
; COMPUTE_PGM_RSRC2:USER_SGPR: 2
; COMPUTE_PGM_RSRC2:TRAP_HANDLER: 0
; COMPUTE_PGM_RSRC2:TGID_X_EN: 1
; COMPUTE_PGM_RSRC2:TGID_Y_EN: 1
; COMPUTE_PGM_RSRC2:TGID_Z_EN: 0
; COMPUTE_PGM_RSRC2:TIDIG_COMP_CNT: 1
	.section	.text._ZN2at6native12_GLOBAL__N_118cuComputeGradInputIN3c104HalfEfLb0EEEvPKT_S7_llPKT0_SA_S7_PS5_,"axG",@progbits,_ZN2at6native12_GLOBAL__N_118cuComputeGradInputIN3c104HalfEfLb0EEEvPKT_S7_llPKT0_SA_S7_PS5_,comdat
	.globl	_ZN2at6native12_GLOBAL__N_118cuComputeGradInputIN3c104HalfEfLb0EEEvPKT_S7_llPKT0_SA_S7_PS5_ ; -- Begin function _ZN2at6native12_GLOBAL__N_118cuComputeGradInputIN3c104HalfEfLb0EEEvPKT_S7_llPKT0_SA_S7_PS5_
	.p2align	8
	.type	_ZN2at6native12_GLOBAL__N_118cuComputeGradInputIN3c104HalfEfLb0EEEvPKT_S7_llPKT0_SA_S7_PS5_,@function
_ZN2at6native12_GLOBAL__N_118cuComputeGradInputIN3c104HalfEfLb0EEEvPKT_S7_llPKT0_SA_S7_PS5_: ; @_ZN2at6native12_GLOBAL__N_118cuComputeGradInputIN3c104HalfEfLb0EEEvPKT_S7_llPKT0_SA_S7_PS5_
; %bb.0:
	s_load_b128 s[16:19], s[0:1], 0x10
	s_mov_b32 s4, ttmp7
	s_ashr_i32 s5, ttmp7, 31
	s_wait_kmcnt 0x0
	v_cmp_le_i64_e64 s2, s[16:17], s[4:5]
	s_and_b32 vcc_lo, exec_lo, s2
	s_cbranch_vccnz .LBB70_49
; %bb.1:
	s_clause 0x1
	s_load_b32 s2, s[0:1], 0x4c
	s_load_b256 s[8:15], s[0:1], 0x20
	s_cls_i32 s3, s19
	v_and_b32_e32 v13, 0x3ff, v0
	v_bfe_u32 v14, v0, 10, 10
	v_mov_b32_e32 v0, 0
	s_clause 0x1
	s_load_b32 s35, s[0:1], 0x44
	s_load_b128 s[20:23], s[0:1], 0x0
	v_cmp_gt_i64_e64 s36, s[18:19], 0
	v_mbcnt_lo_u32_b32 v16, -1, 0
	v_cmp_eq_u32_e64 s0, 0, v14
	v_cmp_ne_u32_e64 s1, 0, v14
	s_mov_b32 s28, ttmp7
	v_lshlrev_b32_e32 v7, 3, v13
	v_cndmask_b32_e64 v15, 0, 1, s36
	v_mov_b32_e32 v3, v0
	s_delay_alu instid0(VALU_DEP_3)
	v_add_nc_u32_e32 v19, 0, v7
	s_wait_kmcnt 0x0
	s_lshr_b32 s29, s2, 16
	s_and_b32 s30, s2, 0xffff
	s_cmp_lg_u64 s[12:13], 0
	s_mul_i32 s37, s29, s30
	s_cselect_b32 s31, -1, 0
	s_cmp_gt_u32 s30, 1
	s_cselect_b32 s33, -1, 0
	s_cmp_gt_u32 s29, 1
	s_cselect_b32 s34, -1, 0
	s_xor_b32 s2, s18, s19
	s_add_co_i32 s3, s3, -1
	s_ashr_i32 s2, s2, 31
	s_wait_alu 0xfffe
	s_ashr_i32 s38, s37, 31
	s_add_co_i32 s2, s2, 32
	s_delay_alu instid0(SALU_CYCLE_1) | instskip(NEXT) | instid1(SALU_CYCLE_1)
	s_min_u32 s6, s3, s2
	s_lshl_b64 s[2:3], s[18:19], s6
	s_delay_alu instid0(SALU_CYCLE_1) | instskip(NEXT) | instid1(SALU_CYCLE_1)
	s_min_u32 s2, s2, 1
	s_or_b32 s2, s3, s2
	s_sub_co_i32 s3, 32, s6
	s_cvt_f32_i32 s2, s2
	s_delay_alu instid0(SALU_CYCLE_3) | instskip(NEXT) | instid1(VALU_DEP_1)
	v_ldexp_f32 v12, s2, s3
	v_div_scale_f32 v1, null, v12, v12, 1.0
	v_div_scale_f32 v5, vcc_lo, 1.0, v12, 1.0
	s_delay_alu instid0(VALU_DEP_2)
	v_rcp_f32_e32 v4, v1
	v_xor_b32_e32 v1, 0x80000000, v1
	s_delay_alu instid0(TRANS32_DEP_1) | instid1(VALU_DEP_1)
	v_fma_f32 v2, v1, v4, 1.0
	s_delay_alu instid0(VALU_DEP_1) | instskip(SKIP_1) | instid1(VALU_DEP_2)
	v_fmac_f32_e32 v4, v2, v4
	v_mad_u32_u24 v2, v14, s30, v13
	v_mul_f32_e32 v6, v5, v4
	s_delay_alu instid0(VALU_DEP_2) | instskip(NEXT) | instid1(VALU_DEP_2)
	v_cmp_gt_i64_e64 s2, s[18:19], v[2:3]
	v_fma_f32 v8, v1, v6, v5
	s_delay_alu instid0(VALU_DEP_1) | instskip(SKIP_1) | instid1(VALU_DEP_2)
	v_dual_fmac_f32 v6, v8, v4 :: v_dual_lshlrev_b32 v9, 3, v2
	v_add_nc_u32_e32 v8, s37, v2
	v_add_nc_u32_e32 v17, 0, v9
	s_delay_alu instid0(VALU_DEP_3) | instskip(NEXT) | instid1(VALU_DEP_3)
	v_fmac_f32_e32 v5, v1, v6
	v_ashrrev_i32_e32 v1, 31, v8
	s_delay_alu instid0(VALU_DEP_2) | instskip(SKIP_2) | instid1(VALU_DEP_3)
	v_div_fmas_f32 v6, v5, v4, v6
	v_sub_co_u32 v4, vcc_lo, v8, s37
	s_wait_alu 0xfffd
	v_subrev_co_ci_u32_e64 v5, null, s38, v1, vcc_lo
	s_delay_alu instid0(VALU_DEP_3)
	v_div_fixup_f32 v18, v6, v12, 1.0
	s_branch .LBB70_4
.LBB70_2:                               ;   in Loop: Header=BB70_4 Depth=1
	s_or_b32 exec_lo, exec_lo, s26
.LBB70_3:                               ;   in Loop: Header=BB70_4 Depth=1
	s_add_co_i32 s4, s35, s28
	s_wait_storecnt 0x0
	s_wait_loadcnt_dscnt 0x0
	s_wait_alu 0xfffe
	s_ashr_i32 s5, s4, 31
	s_mov_b32 s28, s4
	s_wait_alu 0xfffe
	v_cmp_le_i64_e64 s3, s[16:17], s[4:5]
	s_barrier_signal -1
	s_barrier_wait -1
	global_inv scope:SCOPE_SE
	s_and_b32 vcc_lo, exec_lo, s3
	s_wait_alu 0xfffe
	s_cbranch_vccnz .LBB70_49
.LBB70_4:                               ; =>This Loop Header: Depth=1
                                        ;     Child Loop BB70_8 Depth 2
                                        ;     Child Loop BB70_20 Depth 2
	;; [unrolled: 1-line block ×6, first 2 shown]
	s_lshl_b64 s[6:7], s[4:5], 2
	s_mul_u64 s[4:5], s[4:5], s[18:19]
	s_wait_alu 0xfffe
	s_add_nc_u64 s[24:25], s[8:9], s[6:7]
	s_add_nc_u64 s[6:7], s[10:11], s[6:7]
	s_load_b32 s39, s[24:25], 0x0
	s_load_b32 s40, s[6:7], 0x0
	v_cmp_ne_u32_e64 s3, 1, v15
	s_lshl_b64 s[26:27], s[4:5], 1
	s_and_not1_b32 vcc_lo, exec_lo, s31
	s_add_nc_u64 s[6:7], s[22:23], s[26:27]
	s_add_nc_u64 s[24:25], s[20:21], s[26:27]
	s_mov_b32 s4, -1
                                        ; implicit-def: $vgpr6_vgpr7
	s_wait_alu 0xfffe
	s_cbranch_vccnz .LBB70_16
; %bb.5:                                ;   in Loop: Header=BB70_4 Depth=1
	s_and_b32 vcc_lo, exec_lo, s3
	s_wait_alu 0xfffe
	s_cbranch_vccnz .LBB70_14
; %bb.6:                                ;   in Loop: Header=BB70_4 Depth=1
	v_dual_mov_b32 v6, 0 :: v_dual_mov_b32 v7, 0
	s_mov_b32 s4, 0
	s_branch .LBB70_8
.LBB70_7:                               ;   in Loop: Header=BB70_8 Depth=2
	s_wait_alu 0xfffe
	s_or_b32 exec_lo, exec_lo, s3
	s_wait_kmcnt 0x0
	v_dual_subrev_f32 v8, s39, v11 :: v_dual_mul_f32 v9, v1, v10
	s_add_co_i32 s4, s4, s37
	s_wait_alu 0xfffe
	s_ashr_i32 s5, s4, 31
	s_delay_alu instid0(VALU_DEP_1) | instskip(SKIP_2) | instid1(VALU_DEP_2)
	v_mul_f32_e32 v8, v8, v9
	s_wait_alu 0xfffe
	v_cmp_le_i64_e64 s3, s[18:19], s[4:5]
	v_dual_fmac_f32 v6, v1, v10 :: v_dual_fmac_f32 v7, s40, v8
	s_and_b32 vcc_lo, exec_lo, s3
	s_wait_alu 0xfffe
	s_cbranch_vccnz .LBB70_15
.LBB70_8:                               ;   Parent Loop BB70_4 Depth=1
                                        ; =>  This Inner Loop Header: Depth=2
	s_wait_alu 0xfffe
	v_dual_mov_b32 v1, 0 :: v_dual_add_nc_u32 v8, s4, v2
	s_delay_alu instid0(VALU_DEP_1) | instskip(NEXT) | instid1(VALU_DEP_1)
	v_ashrrev_i32_e32 v9, 31, v8
	v_cmp_gt_i64_e32 vcc_lo, s[18:19], v[8:9]
	v_lshlrev_b64_e32 v[8:9], 1, v[8:9]
	s_and_saveexec_b32 s5, vcc_lo
	s_cbranch_execz .LBB70_10
; %bb.9:                                ;   in Loop: Header=BB70_8 Depth=2
	s_delay_alu instid0(VALU_DEP_1) | instskip(SKIP_1) | instid1(VALU_DEP_2)
	v_add_co_u32 v10, s3, s12, v8
	s_wait_alu 0xf1ff
	v_add_co_ci_u32_e64 v11, null, s13, v9, s3
	global_load_u16 v1, v[10:11], off
	s_wait_loadcnt 0x0
	v_cvt_f32_f16_e32 v1, v1
.LBB70_10:                              ;   in Loop: Header=BB70_8 Depth=2
	s_wait_alu 0xfffe
	s_or_b32 exec_lo, exec_lo, s5
	v_dual_mov_b32 v10, 0 :: v_dual_mov_b32 v11, 0
	s_and_saveexec_b32 s5, vcc_lo
	s_cbranch_execz .LBB70_12
; %bb.11:                               ;   in Loop: Header=BB70_8 Depth=2
	v_add_co_u32 v20, s3, s6, v8
	s_wait_alu 0xf1ff
	v_add_co_ci_u32_e64 v21, null, s7, v9, s3
	global_load_u16 v11, v[20:21], off
	s_wait_loadcnt 0x0
	v_cvt_f32_f16_e32 v11, v11
.LBB70_12:                              ;   in Loop: Header=BB70_8 Depth=2
	s_wait_alu 0xfffe
	s_or_b32 exec_lo, exec_lo, s5
	s_and_saveexec_b32 s3, vcc_lo
	s_cbranch_execz .LBB70_7
; %bb.13:                               ;   in Loop: Header=BB70_8 Depth=2
	v_add_co_u32 v8, vcc_lo, s24, v8
	s_wait_alu 0xfffd
	v_add_co_ci_u32_e64 v9, null, s25, v9, vcc_lo
	global_load_u16 v8, v[8:9], off
	s_wait_loadcnt 0x0
	v_cvt_f32_f16_e32 v10, v8
	s_branch .LBB70_7
.LBB70_14:                              ;   in Loop: Header=BB70_4 Depth=1
	v_mov_b32_e32 v1, v0
	s_delay_alu instid0(VALU_DEP_1)
	v_dual_mov_b32 v7, v1 :: v_dual_mov_b32 v6, v0
.LBB70_15:                              ;   in Loop: Header=BB70_4 Depth=1
	s_mov_b32 s4, 0
.LBB70_16:                              ;   in Loop: Header=BB70_4 Depth=1
	s_wait_alu 0xfffe
	s_and_not1_b32 vcc_lo, exec_lo, s4
	s_wait_alu 0xfffe
	s_cbranch_vccnz .LBB70_25
; %bb.17:                               ;   in Loop: Header=BB70_4 Depth=1
	s_and_not1_b32 vcc_lo, exec_lo, s36
	s_wait_alu 0xfffe
	s_cbranch_vccnz .LBB70_24
; %bb.18:                               ;   in Loop: Header=BB70_4 Depth=1
	v_dual_mov_b32 v6, 0 :: v_dual_mov_b32 v7, 0
	s_mov_b32 s4, 0
	s_branch .LBB70_20
.LBB70_19:                              ;   in Loop: Header=BB70_20 Depth=2
	s_wait_alu 0xfffe
	s_or_b32 exec_lo, exec_lo, s3
	s_wait_kmcnt 0x0
	v_dual_subrev_f32 v1, s39, v1 :: v_dual_add_f32 v6, v6, v10
	s_add_co_i32 s4, s4, s37
	s_wait_alu 0xfffe
	s_ashr_i32 s5, s4, 31
	s_delay_alu instid0(VALU_DEP_1) | instskip(SKIP_2) | instid1(VALU_DEP_2)
	v_mul_f32_e32 v1, v1, v10
	s_wait_alu 0xfffe
	v_cmp_le_i64_e64 s3, s[18:19], s[4:5]
	v_fmac_f32_e32 v7, s40, v1
	s_and_b32 vcc_lo, exec_lo, s3
	s_wait_alu 0xfffe
	s_cbranch_vccnz .LBB70_25
.LBB70_20:                              ;   Parent Loop BB70_4 Depth=1
                                        ; =>  This Inner Loop Header: Depth=2
	s_wait_alu 0xfffe
	v_dual_mov_b32 v1, 0 :: v_dual_add_nc_u32 v8, s4, v2
	s_delay_alu instid0(VALU_DEP_1) | instskip(NEXT) | instid1(VALU_DEP_1)
	v_ashrrev_i32_e32 v9, 31, v8
	v_cmp_gt_i64_e32 vcc_lo, s[18:19], v[8:9]
	v_lshlrev_b64_e32 v[8:9], 1, v[8:9]
	s_and_saveexec_b32 s5, vcc_lo
	s_cbranch_execz .LBB70_22
; %bb.21:                               ;   in Loop: Header=BB70_20 Depth=2
	s_delay_alu instid0(VALU_DEP_1) | instskip(SKIP_1) | instid1(VALU_DEP_2)
	v_add_co_u32 v10, s3, s6, v8
	s_wait_alu 0xf1ff
	v_add_co_ci_u32_e64 v11, null, s7, v9, s3
	global_load_u16 v1, v[10:11], off
	s_wait_loadcnt 0x0
	v_cvt_f32_f16_e32 v1, v1
.LBB70_22:                              ;   in Loop: Header=BB70_20 Depth=2
	s_wait_alu 0xfffe
	s_or_b32 exec_lo, exec_lo, s5
	v_mov_b32_e32 v10, 0
	s_and_saveexec_b32 s3, vcc_lo
	s_cbranch_execz .LBB70_19
; %bb.23:                               ;   in Loop: Header=BB70_20 Depth=2
	v_add_co_u32 v8, vcc_lo, s24, v8
	s_wait_alu 0xfffd
	v_add_co_ci_u32_e64 v9, null, s25, v9, vcc_lo
	global_load_u16 v8, v[8:9], off
	s_wait_loadcnt 0x0
	v_cvt_f32_f16_e32 v10, v8
	s_branch .LBB70_19
.LBB70_24:                              ;   in Loop: Header=BB70_4 Depth=1
	v_mov_b32_e32 v1, v0
	s_delay_alu instid0(VALU_DEP_1)
	v_dual_mov_b32 v7, v1 :: v_dual_mov_b32 v6, v0
.LBB70_25:                              ;   in Loop: Header=BB70_4 Depth=1
	s_and_not1_b32 vcc_lo, exec_lo, s33
	s_wait_alu 0xfffe
	s_cbranch_vccnz .LBB70_28
; %bb.26:                               ;   in Loop: Header=BB70_4 Depth=1
	s_mov_b32 s3, s30
.LBB70_27:                              ;   Parent Loop BB70_4 Depth=1
                                        ; =>  This Inner Loop Header: Depth=2
	s_wait_alu 0xfffe
	s_lshr_b32 s4, s3, 1
	s_cmp_lt_u32 s3, 4
	s_wait_alu 0xfffe
	v_xor_b32_e32 v1, s4, v16
	s_mov_b32 s3, s4
	s_delay_alu instid0(VALU_DEP_1) | instskip(SKIP_2) | instid1(VALU_DEP_1)
	v_cmp_gt_i32_e32 vcc_lo, 32, v1
	s_wait_alu 0xfffd
	v_cndmask_b32_e32 v1, v16, v1, vcc_lo
	v_lshlrev_b32_e32 v1, 2, v1
	ds_bpermute_b32 v8, v1, v7
	ds_bpermute_b32 v1, v1, v6
	s_wait_dscnt 0x0
	v_dual_add_f32 v7, v7, v8 :: v_dual_add_f32 v6, v6, v1
	s_cbranch_scc0 .LBB70_27
.LBB70_28:                              ;   in Loop: Header=BB70_4 Depth=1
	s_and_not1_b32 vcc_lo, exec_lo, s34
	s_mov_b32 s5, s29
	s_wait_alu 0xfffe
	s_cbranch_vccnz .LBB70_40
.LBB70_29:                              ;   Parent Loop BB70_4 Depth=1
                                        ; =>  This Inner Loop Header: Depth=2
	s_wait_alu 0xfffe
	s_lshr_b32 s41, s5, 1
	s_and_b32 s4, s5, 0xfffe
	s_wait_alu 0xfffe
	v_cmp_le_u32_e64 s3, s41, v14
	v_cmp_gt_u32_e64 s4, s4, v14
	v_cmp_gt_u32_e32 vcc_lo, s41, v14
	s_and_b32 s4, s3, s4
	s_wait_alu 0xfffe
	s_and_saveexec_b32 s3, s4
	s_cbranch_execz .LBB70_31
; %bb.30:                               ;   in Loop: Header=BB70_29 Depth=2
	v_subrev_nc_u32_e32 v1, s41, v14
	s_delay_alu instid0(VALU_DEP_1) | instskip(NEXT) | instid1(VALU_DEP_1)
	v_mad_u32_u24 v1, v1, s30, v13
	v_lshl_add_u32 v1, v1, 3, 0
	ds_store_b64 v1, v[6:7]
.LBB70_31:                              ;   in Loop: Header=BB70_29 Depth=2
	s_wait_alu 0xfffe
	s_or_b32 exec_lo, exec_lo, s3
	s_wait_dscnt 0x0
	s_barrier_signal -1
	s_barrier_wait -1
	global_inv scope:SCOPE_SE
	s_and_saveexec_b32 s3, vcc_lo
	s_cbranch_execz .LBB70_33
; %bb.32:                               ;   in Loop: Header=BB70_29 Depth=2
	ds_load_b64 v[8:9], v17
	s_wait_dscnt 0x0
	v_dual_add_f32 v7, v7, v9 :: v_dual_add_f32 v6, v6, v8
.LBB70_33:                              ;   in Loop: Header=BB70_29 Depth=2
	s_wait_alu 0xfffe
	s_or_b32 exec_lo, exec_lo, s3
	s_cmp_lt_u32 s5, 4
	s_wait_loadcnt 0x0
	s_barrier_signal -1
	s_barrier_wait -1
	global_inv scope:SCOPE_SE
	s_cbranch_scc1 .LBB70_35
; %bb.34:                               ;   in Loop: Header=BB70_29 Depth=2
	s_mov_b32 s5, s41
	s_branch .LBB70_29
.LBB70_35:                              ;   in Loop: Header=BB70_4 Depth=1
	s_and_saveexec_b32 s3, s0
; %bb.36:                               ;   in Loop: Header=BB70_4 Depth=1
	ds_store_b64 v19, v[6:7]
; %bb.37:                               ;   in Loop: Header=BB70_4 Depth=1
	s_wait_alu 0xfffe
	s_or_b32 exec_lo, exec_lo, s3
	s_wait_loadcnt_dscnt 0x0
	s_barrier_signal -1
	s_barrier_wait -1
	global_inv scope:SCOPE_SE
	s_and_saveexec_b32 s3, s1
; %bb.38:                               ;   in Loop: Header=BB70_4 Depth=1
	ds_load_b64 v[6:7], v19
; %bb.39:                               ;   in Loop: Header=BB70_4 Depth=1
	s_wait_alu 0xfffe
	s_or_b32 exec_lo, exec_lo, s3
.LBB70_40:                              ;   in Loop: Header=BB70_4 Depth=1
	s_wait_kmcnt 0x0
	v_mul_f32_e32 v1, s40, v18
	s_and_not1_b32 vcc_lo, exec_lo, s31
	s_add_nc_u64 s[4:5], s[14:15], s[26:27]
	s_wait_alu 0xfffe
	s_cbranch_vccnz .LBB70_45
; %bb.41:                               ;   in Loop: Header=BB70_4 Depth=1
	s_and_saveexec_b32 s26, s2
	s_cbranch_execz .LBB70_44
; %bb.42:                               ;   in Loop: Header=BB70_4 Depth=1
	v_dual_mov_b32 v9, v5 :: v_dual_mov_b32 v8, v4
	v_dual_mov_b32 v11, v3 :: v_dual_mov_b32 v10, v2
	s_mov_b32 s27, 0
.LBB70_43:                              ;   Parent Loop BB70_4 Depth=1
                                        ; =>  This Inner Loop Header: Depth=2
	s_delay_alu instid0(VALU_DEP_1) | instskip(NEXT) | instid1(VALU_DEP_1)
	v_lshlrev_b64_e32 v[20:21], 1, v[10:11]
	v_add_co_u32 v10, vcc_lo, s24, v20
	s_wait_alu 0xfffd
	s_delay_alu instid0(VALU_DEP_2)
	v_add_co_ci_u32_e64 v11, null, s25, v21, vcc_lo
	v_add_co_u32 v22, vcc_lo, s6, v20
	s_wait_alu 0xfffd
	v_add_co_ci_u32_e64 v23, null, s7, v21, vcc_lo
	global_load_u16 v10, v[10:11], off
	global_load_u16 v11, v[22:23], off
	v_add_co_u32 v24, vcc_lo, s12, v20
	s_wait_alu 0xfffd
	v_add_co_ci_u32_e64 v25, null, s13, v21, vcc_lo
	v_add_co_u32 v8, vcc_lo, v8, s37
	s_wait_alu 0xfffd
	v_add_co_ci_u32_e64 v9, null, s38, v9, vcc_lo
	global_load_u16 v22, v[24:25], off
	v_add_co_u32 v20, s3, s4, v20
	v_cmp_le_i64_e32 vcc_lo, s[18:19], v[8:9]
	s_wait_alu 0xf1ff
	v_add_co_ci_u32_e64 v21, null, s5, v21, s3
	s_or_b32 s27, vcc_lo, s27
	s_wait_loadcnt 0x2
	v_cvt_f32_f16_e32 v10, v10
	s_wait_loadcnt 0x1
	v_cvt_f32_f16_e32 v11, v11
	s_delay_alu instid0(VALU_DEP_1) | instskip(SKIP_1) | instid1(VALU_DEP_1)
	v_dual_mul_f32 v10, v12, v10 :: v_dual_subrev_f32 v11, s39, v11
	s_wait_loadcnt_dscnt 0x0
	v_fma_mix_f32 v10, v10, v22, -v6 op_sel_hi:[0,1,0]
	s_delay_alu instid0(VALU_DEP_2) | instskip(SKIP_1) | instid1(VALU_DEP_2)
	v_mul_f32_e32 v22, s40, v11
	v_ashrrev_i32_e32 v11, 31, v8
	v_fma_f32 v10, -v7, v22, v10
	s_delay_alu instid0(VALU_DEP_1)
	v_fma_mixlo_f16 v22, v1, v10, 0
	v_mov_b32_e32 v10, v8
	global_store_b16 v[20:21], v22, off
	s_and_not1_b32 exec_lo, exec_lo, s27
	s_cbranch_execnz .LBB70_43
.LBB70_44:                              ;   in Loop: Header=BB70_4 Depth=1
	s_or_b32 exec_lo, exec_lo, s26
	s_cbranch_execnz .LBB70_3
	s_branch .LBB70_46
.LBB70_45:                              ;   in Loop: Header=BB70_4 Depth=1
.LBB70_46:                              ;   in Loop: Header=BB70_4 Depth=1
	s_and_saveexec_b32 s26, s2
	s_cbranch_execz .LBB70_2
; %bb.47:                               ;   in Loop: Header=BB70_4 Depth=1
	v_dual_mov_b32 v20, s40 :: v_dual_mov_b32 v9, v5
	v_dual_mov_b32 v8, v4 :: v_dual_mov_b32 v11, v3
	v_mov_b32_e32 v10, v2
	s_mov_b32 s27, 0
.LBB70_48:                              ;   Parent Loop BB70_4 Depth=1
                                        ; =>  This Inner Loop Header: Depth=2
	s_delay_alu instid0(VALU_DEP_1) | instskip(NEXT) | instid1(VALU_DEP_1)
	v_lshlrev_b64_e32 v[21:22], 1, v[10:11]
	v_add_co_u32 v10, vcc_lo, s6, v21
	s_wait_alu 0xfffd
	s_delay_alu instid0(VALU_DEP_2)
	v_add_co_ci_u32_e64 v11, null, s7, v22, vcc_lo
	v_add_co_u32 v23, vcc_lo, s24, v21
	s_wait_alu 0xfffd
	v_add_co_ci_u32_e64 v24, null, s25, v22, vcc_lo
	global_load_u16 v10, v[10:11], off
	v_add_co_u32 v8, vcc_lo, v8, s37
	global_load_u16 v11, v[23:24], off
	s_wait_alu 0xfffd
	v_add_co_ci_u32_e64 v9, null, s38, v9, vcc_lo
	v_add_co_u32 v21, s3, s4, v21
	s_wait_alu 0xf1ff
	v_add_co_ci_u32_e64 v22, null, s5, v22, s3
	s_delay_alu instid0(VALU_DEP_3)
	v_cmp_le_i64_e32 vcc_lo, s[18:19], v[8:9]
	s_or_b32 s27, vcc_lo, s27
	s_wait_loadcnt 0x1
	v_cvt_f32_f16_e32 v10, v10
	s_wait_loadcnt_dscnt 0x0
	v_fma_mix_f32 v23, v12, v11, -v6 op_sel_hi:[0,1,0]
	v_ashrrev_i32_e32 v11, 31, v8
	s_delay_alu instid0(VALU_DEP_3) | instskip(NEXT) | instid1(VALU_DEP_1)
	v_subrev_f32_e32 v10, s39, v10
	v_mul_f32_e32 v10, v20, v10
	s_delay_alu instid0(VALU_DEP_1) | instskip(NEXT) | instid1(VALU_DEP_1)
	v_fma_f32 v10, -v10, v7, v23
	v_fma_mixlo_f16 v23, v1, v10, 0
	v_mov_b32_e32 v10, v8
	global_store_b16 v[21:22], v23, off
	s_and_not1_b32 exec_lo, exec_lo, s27
	s_cbranch_execnz .LBB70_48
	s_branch .LBB70_2
.LBB70_49:
	s_endpgm
	.section	.rodata,"a",@progbits
	.p2align	6, 0x0
	.amdhsa_kernel _ZN2at6native12_GLOBAL__N_118cuComputeGradInputIN3c104HalfEfLb0EEEvPKT_S7_llPKT0_SA_S7_PS5_
		.amdhsa_group_segment_fixed_size 0
		.amdhsa_private_segment_fixed_size 0
		.amdhsa_kernarg_size 320
		.amdhsa_user_sgpr_count 2
		.amdhsa_user_sgpr_dispatch_ptr 0
		.amdhsa_user_sgpr_queue_ptr 0
		.amdhsa_user_sgpr_kernarg_segment_ptr 1
		.amdhsa_user_sgpr_dispatch_id 0
		.amdhsa_user_sgpr_private_segment_size 0
		.amdhsa_wavefront_size32 1
		.amdhsa_uses_dynamic_stack 0
		.amdhsa_enable_private_segment 0
		.amdhsa_system_sgpr_workgroup_id_x 1
		.amdhsa_system_sgpr_workgroup_id_y 1
		.amdhsa_system_sgpr_workgroup_id_z 0
		.amdhsa_system_sgpr_workgroup_info 0
		.amdhsa_system_vgpr_workitem_id 1
		.amdhsa_next_free_vgpr 26
		.amdhsa_next_free_sgpr 42
		.amdhsa_reserve_vcc 1
		.amdhsa_float_round_mode_32 0
		.amdhsa_float_round_mode_16_64 0
		.amdhsa_float_denorm_mode_32 3
		.amdhsa_float_denorm_mode_16_64 3
		.amdhsa_fp16_overflow 0
		.amdhsa_workgroup_processor_mode 1
		.amdhsa_memory_ordered 1
		.amdhsa_forward_progress 1
		.amdhsa_inst_pref_size 17
		.amdhsa_round_robin_scheduling 0
		.amdhsa_exception_fp_ieee_invalid_op 0
		.amdhsa_exception_fp_denorm_src 0
		.amdhsa_exception_fp_ieee_div_zero 0
		.amdhsa_exception_fp_ieee_overflow 0
		.amdhsa_exception_fp_ieee_underflow 0
		.amdhsa_exception_fp_ieee_inexact 0
		.amdhsa_exception_int_div_zero 0
	.end_amdhsa_kernel
	.section	.text._ZN2at6native12_GLOBAL__N_118cuComputeGradInputIN3c104HalfEfLb0EEEvPKT_S7_llPKT0_SA_S7_PS5_,"axG",@progbits,_ZN2at6native12_GLOBAL__N_118cuComputeGradInputIN3c104HalfEfLb0EEEvPKT_S7_llPKT0_SA_S7_PS5_,comdat
.Lfunc_end70:
	.size	_ZN2at6native12_GLOBAL__N_118cuComputeGradInputIN3c104HalfEfLb0EEEvPKT_S7_llPKT0_SA_S7_PS5_, .Lfunc_end70-_ZN2at6native12_GLOBAL__N_118cuComputeGradInputIN3c104HalfEfLb0EEEvPKT_S7_llPKT0_SA_S7_PS5_
                                        ; -- End function
	.set _ZN2at6native12_GLOBAL__N_118cuComputeGradInputIN3c104HalfEfLb0EEEvPKT_S7_llPKT0_SA_S7_PS5_.num_vgpr, 26
	.set _ZN2at6native12_GLOBAL__N_118cuComputeGradInputIN3c104HalfEfLb0EEEvPKT_S7_llPKT0_SA_S7_PS5_.num_agpr, 0
	.set _ZN2at6native12_GLOBAL__N_118cuComputeGradInputIN3c104HalfEfLb0EEEvPKT_S7_llPKT0_SA_S7_PS5_.numbered_sgpr, 42
	.set _ZN2at6native12_GLOBAL__N_118cuComputeGradInputIN3c104HalfEfLb0EEEvPKT_S7_llPKT0_SA_S7_PS5_.num_named_barrier, 0
	.set _ZN2at6native12_GLOBAL__N_118cuComputeGradInputIN3c104HalfEfLb0EEEvPKT_S7_llPKT0_SA_S7_PS5_.private_seg_size, 0
	.set _ZN2at6native12_GLOBAL__N_118cuComputeGradInputIN3c104HalfEfLb0EEEvPKT_S7_llPKT0_SA_S7_PS5_.uses_vcc, 1
	.set _ZN2at6native12_GLOBAL__N_118cuComputeGradInputIN3c104HalfEfLb0EEEvPKT_S7_llPKT0_SA_S7_PS5_.uses_flat_scratch, 0
	.set _ZN2at6native12_GLOBAL__N_118cuComputeGradInputIN3c104HalfEfLb0EEEvPKT_S7_llPKT0_SA_S7_PS5_.has_dyn_sized_stack, 0
	.set _ZN2at6native12_GLOBAL__N_118cuComputeGradInputIN3c104HalfEfLb0EEEvPKT_S7_llPKT0_SA_S7_PS5_.has_recursion, 0
	.set _ZN2at6native12_GLOBAL__N_118cuComputeGradInputIN3c104HalfEfLb0EEEvPKT_S7_llPKT0_SA_S7_PS5_.has_indirect_call, 0
	.section	.AMDGPU.csdata,"",@progbits
; Kernel info:
; codeLenInByte = 2108
; TotalNumSgprs: 44
; NumVgprs: 26
; ScratchSize: 0
; MemoryBound: 0
; FloatMode: 240
; IeeeMode: 1
; LDSByteSize: 0 bytes/workgroup (compile time only)
; SGPRBlocks: 0
; VGPRBlocks: 3
; NumSGPRsForWavesPerEU: 44
; NumVGPRsForWavesPerEU: 26
; Occupancy: 16
; WaveLimiterHint : 0
; COMPUTE_PGM_RSRC2:SCRATCH_EN: 0
; COMPUTE_PGM_RSRC2:USER_SGPR: 2
; COMPUTE_PGM_RSRC2:TRAP_HANDLER: 0
; COMPUTE_PGM_RSRC2:TGID_X_EN: 1
; COMPUTE_PGM_RSRC2:TGID_Y_EN: 1
; COMPUTE_PGM_RSRC2:TGID_Z_EN: 0
; COMPUTE_PGM_RSRC2:TIDIG_COMP_CNT: 1
	.section	.text._ZN2at6native12_GLOBAL__N_128layer_norm_grad_input_kernelIN3c104HalfEfLb0EEEvPKT_S7_PKT0_SA_S7_PS5_i,"axG",@progbits,_ZN2at6native12_GLOBAL__N_128layer_norm_grad_input_kernelIN3c104HalfEfLb0EEEvPKT_S7_PKT0_SA_S7_PS5_i,comdat
	.globl	_ZN2at6native12_GLOBAL__N_128layer_norm_grad_input_kernelIN3c104HalfEfLb0EEEvPKT_S7_PKT0_SA_S7_PS5_i ; -- Begin function _ZN2at6native12_GLOBAL__N_128layer_norm_grad_input_kernelIN3c104HalfEfLb0EEEvPKT_S7_PKT0_SA_S7_PS5_i
	.p2align	8
	.type	_ZN2at6native12_GLOBAL__N_128layer_norm_grad_input_kernelIN3c104HalfEfLb0EEEvPKT_S7_PKT0_SA_S7_PS5_i,@function
_ZN2at6native12_GLOBAL__N_128layer_norm_grad_input_kernelIN3c104HalfEfLb0EEEvPKT_S7_PKT0_SA_S7_PS5_i: ; @_ZN2at6native12_GLOBAL__N_128layer_norm_grad_input_kernelIN3c104HalfEfLb0EEEvPKT_S7_PKT0_SA_S7_PS5_i
; %bb.0:
	s_clause 0x1
	s_load_b256 s[4:11], s[0:1], 0x0
	s_load_b32 s12, s[0:1], 0x30
	s_mov_b32 s2, ttmp9
	s_mov_b32 s3, 0
	s_load_b64 s[14:15], s[0:1], 0x20
	s_lshl_b64 s[16:17], s[2:3], 2
	v_dual_mov_b32 v10, 0 :: v_dual_lshlrev_b32 v1, 2, v0
	v_mov_b32_e32 v9, 0
	s_delay_alu instid0(VALU_DEP_2)
	v_or_b32_e32 v2, 3, v1
	s_wait_kmcnt 0x0
	s_add_nc_u64 s[8:9], s[8:9], s[16:17]
	s_add_nc_u64 s[10:11], s[10:11], s[16:17]
	s_load_b32 s18, s[8:9], 0x0
	s_load_b32 s19, s[10:11], 0x0
	s_ashr_i32 s13, s12, 31
	s_delay_alu instid0(SALU_CYCLE_1) | instskip(SKIP_2) | instid1(SALU_CYCLE_1)
	s_mul_u64 s[8:9], s[12:13], s[2:3]
	s_mov_b32 s2, exec_lo
	s_lshl_b64 s[16:17], s[8:9], 1
	s_add_nc_u64 s[8:9], s[6:7], s[16:17]
	s_add_nc_u64 s[10:11], s[4:5], s[16:17]
	v_cmpx_gt_u32_e64 s12, v2
	s_cbranch_execz .LBB71_12
; %bb.1:
	s_load_b32 s20, s[0:1], 0x44
	s_cmp_lg_u64 s[14:15], 0
	v_dual_mov_b32 v2, 0 :: v_dual_mov_b32 v9, 0
	v_mov_b32_e32 v10, 0
	s_cselect_b32 s13, -1, 0
	s_wait_kmcnt 0x0
	s_and_b32 s20, s20, 0xffff
	s_delay_alu instid0(SALU_CYCLE_1)
	s_lshl_b32 s20, s20, 2
	s_branch .LBB71_3
.LBB71_2:                               ;   in Loop: Header=BB71_3 Depth=1
	global_load_u16 v5, v[5:6], off offset:6
	global_load_u16 v3, v[3:4], off offset:6
	s_wait_loadcnt 0x6
	v_cvt_f32_f16_e32 v4, v17
	v_cvt_f32_f16_e32 v6, v16
	v_fma_mix_f32 v7, v12, v17, v10 op_sel_hi:[0,1,0]
	s_wait_loadcnt 0x5
	v_cvt_f32_f16_e32 v8, v19
	v_dual_mul_f32 v4, v12, v4 :: v_dual_add_nc_u32 v1, s20, v1
	v_subrev_f32_e32 v6, s18, v6
	s_wait_loadcnt 0x4
	v_cvt_f32_f16_e32 v10, v14
	s_wait_loadcnt 0x3
	v_cvt_f32_f16_e32 v12, v20
	;; [unrolled: 2-line block ×3, first 2 shown]
	v_fma_mix_f32 v7, v11, v14, v7 op_sel_hi:[0,1,0]
	v_mul_f32_e32 v4, v6, v4
	v_subrev_f32_e32 v12, s18, v12
	s_delay_alu instid0(VALU_DEP_3) | instskip(NEXT) | instid1(VALU_DEP_3)
	v_fma_mix_f32 v7, v15, v18, v7 op_sel_hi:[0,1,0]
	v_dual_fmac_f32 v9, s19, v4 :: v_dual_mul_f32 v10, v11, v10
	s_wait_loadcnt 0x1
	v_cvt_f32_f16_e32 v4, v5
	s_wait_loadcnt 0x0
	v_cvt_f32_f16_e32 v3, v3
	v_subrev_f32_e32 v8, s18, v8
	s_delay_alu instid0(VALU_DEP_2) | instskip(NEXT) | instid1(VALU_DEP_2)
	v_dual_mul_f32 v4, v13, v4 :: v_dual_subrev_f32 v3, s18, v3
	v_mul_f32_e32 v8, v8, v10
	v_fma_mix_f32 v10, v13, v5, v7 op_sel_hi:[0,1,0]
	s_delay_alu instid0(VALU_DEP_3) | instskip(SKIP_1) | instid1(VALU_DEP_4)
	v_mul_f32_e32 v3, v3, v4
	v_mul_f32_e32 v6, v15, v16
	v_dual_fmac_f32 v9, s19, v8 :: v_dual_add_nc_u32 v8, 3, v1
	s_delay_alu instid0(VALU_DEP_2) | instskip(NEXT) | instid1(VALU_DEP_2)
	v_mul_f32_e32 v6, v12, v6
	v_cmp_le_u32_e32 vcc_lo, s12, v8
	s_delay_alu instid0(VALU_DEP_2) | instskip(SKIP_1) | instid1(VALU_DEP_1)
	v_fmac_f32_e32 v9, s19, v6
	s_or_b32 s3, vcc_lo, s3
	v_fmac_f32_e32 v9, s19, v3
	s_and_not1_b32 exec_lo, exec_lo, s3
	s_cbranch_execz .LBB71_11
.LBB71_3:                               ; =>This Inner Loop Header: Depth=1
	v_lshlrev_b64_e32 v[7:8], 1, v[1:2]
	v_dual_mov_b32 v11, 1.0 :: v_dual_mov_b32 v12, 1.0
	s_wait_alu 0xfffe
	s_and_b32 vcc_lo, exec_lo, s13
	s_wait_alu 0xfffe
	s_cbranch_vccz .LBB71_5
; %bb.4:                                ;   in Loop: Header=BB71_3 Depth=1
	v_add_co_u32 v3, vcc_lo, s14, v7
	s_wait_alu 0xfffd
	v_add_co_ci_u32_e64 v4, null, s15, v8, vcc_lo
	global_load_u16 v3, v[3:4], off
	s_wait_loadcnt 0x0
	v_cvt_f32_f16_e32 v12, v3
.LBB71_5:                               ;   in Loop: Header=BB71_3 Depth=1
	v_add_co_u32 v3, vcc_lo, s8, v7
	s_wait_alu 0xfffd
	v_add_co_ci_u32_e64 v4, null, s9, v8, vcc_lo
	v_add_co_u32 v5, vcc_lo, s10, v7
	s_wait_alu 0xfffd
	v_add_co_ci_u32_e64 v6, null, s11, v8, vcc_lo
	global_load_u16 v16, v[3:4], off
	global_load_u16 v17, v[5:6], off
	s_and_not1_b32 vcc_lo, exec_lo, s13
	s_wait_alu 0xfffe
	s_cbranch_vccnz .LBB71_7
; %bb.6:                                ;   in Loop: Header=BB71_3 Depth=1
	v_add_co_u32 v13, vcc_lo, s14, v7
	s_wait_alu 0xfffd
	v_add_co_ci_u32_e64 v14, null, s15, v8, vcc_lo
	global_load_u16 v11, v[13:14], off offset:2
	s_wait_loadcnt 0x0
	v_cvt_f32_f16_e32 v11, v11
.LBB71_7:                               ;   in Loop: Header=BB71_3 Depth=1
	global_load_u16 v19, v[3:4], off offset:2
	global_load_u16 v14, v[5:6], off offset:2
	v_mov_b32_e32 v13, 1.0
	v_mov_b32_e32 v15, 1.0
	s_and_not1_b32 vcc_lo, exec_lo, s13
	s_wait_alu 0xfffe
	s_cbranch_vccnz .LBB71_9
; %bb.8:                                ;   in Loop: Header=BB71_3 Depth=1
	v_add_co_u32 v20, vcc_lo, s14, v7
	s_wait_alu 0xfffd
	v_add_co_ci_u32_e64 v21, null, s15, v8, vcc_lo
	global_load_u16 v15, v[20:21], off offset:4
	s_wait_loadcnt 0x0
	v_cvt_f32_f16_e32 v15, v15
.LBB71_9:                               ;   in Loop: Header=BB71_3 Depth=1
	global_load_u16 v20, v[3:4], off offset:4
	global_load_u16 v18, v[5:6], off offset:4
	s_and_not1_b32 vcc_lo, exec_lo, s13
	s_wait_alu 0xfffe
	s_cbranch_vccnz .LBB71_2
; %bb.10:                               ;   in Loop: Header=BB71_3 Depth=1
	v_add_co_u32 v7, vcc_lo, s14, v7
	s_wait_alu 0xfffd
	v_add_co_ci_u32_e64 v8, null, s15, v8, vcc_lo
	global_load_u16 v7, v[7:8], off offset:6
	s_wait_loadcnt 0x0
	v_cvt_f32_f16_e32 v13, v7
	s_branch .LBB71_2
.LBB71_11:
	s_or_b32 exec_lo, exec_lo, s3
.LBB71_12:
	s_delay_alu instid0(SALU_CYCLE_1) | instskip(NEXT) | instid1(SALU_CYCLE_1)
	s_or_b32 exec_lo, exec_lo, s2
	s_mov_b32 s3, exec_lo
	v_cmpx_gt_u32_e64 s12, v1
	s_cbranch_execz .LBB71_19
; %bb.13:
	v_mov_b32_e32 v2, 0
	s_cmp_lg_u64 s[14:15], 0
	s_delay_alu instid0(VALU_DEP_1) | instskip(NEXT) | instid1(VALU_DEP_1)
	v_lshlrev_b64_e32 v[2:3], 1, v[1:2]
	v_add_co_u32 v6, vcc_lo, s16, v2
	s_wait_alu 0xfffd
	s_delay_alu instid0(VALU_DEP_2)
	v_add_co_ci_u32_e64 v7, null, s17, v3, vcc_lo
	v_add_co_u32 v2, vcc_lo, s14, v2
	s_wait_alu 0xfffd
	v_add_co_ci_u32_e64 v3, null, s15, v3, vcc_lo
	v_add_co_u32 v4, vcc_lo, s6, v6
	s_wait_alu 0xfffd
	;; [unrolled: 3-line block ×3, first 2 shown]
	v_add_co_ci_u32_e64 v7, null, s5, v7, vcc_lo
	s_cselect_b32 s4, -1, 0
	s_mov_b32 s5, 0
	s_branch .LBB71_16
.LBB71_14:                              ;   in Loop: Header=BB71_16 Depth=1
	global_load_u16 v8, v[2:3], off
	s_wait_loadcnt 0x0
	v_cvt_f32_f16_e32 v8, v8
.LBB71_15:                              ;   in Loop: Header=BB71_16 Depth=1
	global_load_u16 v11, v[6:7], off
	global_load_u16 v12, v[4:5], off
	v_add_co_u32 v2, vcc_lo, v2, 2
	s_wait_alu 0xfffd
	v_add_co_ci_u32_e64 v3, null, 0, v3, vcc_lo
	v_add_co_u32 v4, vcc_lo, v4, 2
	s_wait_alu 0xfffd
	v_add_co_ci_u32_e64 v5, null, 0, v5, vcc_lo
	v_add_co_u32 v6, s2, v6, 2
	s_wait_alu 0xf1ff
	v_add_co_ci_u32_e64 v7, null, 0, v7, s2
	s_wait_loadcnt 0x1
	v_cvt_f32_f16_e32 v13, v11
	s_wait_loadcnt 0x0
	v_cvt_f32_f16_e32 v12, v12
	v_add_nc_u32_e32 v1, 1, v1
	v_fma_mix_f32 v10, v8, v11, v10 op_sel_hi:[0,1,0]
	s_wait_kmcnt 0x0
	s_delay_alu instid0(VALU_DEP_3) | instskip(NEXT) | instid1(VALU_DEP_3)
	v_dual_mul_f32 v13, v8, v13 :: v_dual_subrev_f32 v12, s18, v12
	v_cmp_le_u32_e32 vcc_lo, s12, v1
	s_delay_alu instid0(VALU_DEP_2) | instskip(SKIP_1) | instid1(VALU_DEP_1)
	v_mul_f32_e32 v12, v12, v13
	s_or_b32 s5, vcc_lo, s5
	v_fmac_f32_e32 v9, s19, v12
	s_wait_alu 0xfffe
	s_and_not1_b32 exec_lo, exec_lo, s5
	s_cbranch_execz .LBB71_18
.LBB71_16:                              ; =>This Inner Loop Header: Depth=1
	s_wait_alu 0xfffe
	s_and_not1_b32 vcc_lo, exec_lo, s4
	s_wait_alu 0xfffe
	s_cbranch_vccz .LBB71_14
; %bb.17:                               ;   in Loop: Header=BB71_16 Depth=1
	v_mov_b32_e32 v8, 1.0
	s_branch .LBB71_15
.LBB71_18:
	s_or_b32 exec_lo, exec_lo, s5
.LBB71_19:
	s_delay_alu instid0(SALU_CYCLE_1)
	s_or_b32 exec_lo, exec_lo, s3
	v_mbcnt_lo_u32_b32 v1, -1, 0
	s_barrier_signal -1
	s_barrier_wait -1
	global_inv scope:SCOPE_SE
	v_lshl_or_b32 v3, v1, 2, 64
	v_cmp_gt_u32_e32 vcc_lo, 24, v1
	ds_bpermute_b32 v2, v3, v10
	s_wait_alu 0xfffd
	v_cndmask_b32_e64 v4, 0, 8, vcc_lo
	v_cmp_gt_u32_e32 vcc_lo, 28, v1
	s_delay_alu instid0(VALU_DEP_2) | instskip(SKIP_3) | instid1(VALU_DEP_2)
	v_add_lshl_u32 v4, v4, v1, 2
	s_wait_alu 0xfffd
	v_cndmask_b32_e64 v5, 0, 4, vcc_lo
	v_cmp_gt_u32_e32 vcc_lo, 30, v1
	v_add_lshl_u32 v5, v5, v1, 2
	s_wait_dscnt 0x0
	v_add_f32_e32 v2, v10, v2
	ds_bpermute_b32 v6, v4, v2
	s_wait_dscnt 0x0
	v_add_f32_e32 v2, v2, v6
	s_wait_alu 0xfffd
	v_cndmask_b32_e64 v6, 0, 2, vcc_lo
	v_cmp_ne_u32_e32 vcc_lo, 31, v1
	ds_bpermute_b32 v7, v5, v2
	v_add_lshl_u32 v6, v6, v1, 2
	s_wait_alu 0xfffd
	v_add_co_ci_u32_e64 v8, null, 0, v1, vcc_lo
	s_wait_dscnt 0x0
	v_add_f32_e32 v2, v2, v7
	ds_bpermute_b32 v7, v6, v2
	s_wait_dscnt 0x0
	v_add_f32_e32 v1, v2, v7
	v_lshlrev_b32_e32 v7, 2, v8
	v_and_b32_e32 v8, 31, v0
	v_lshrrev_b32_e32 v2, 3, v0
	ds_bpermute_b32 v10, v7, v1
	v_cmp_eq_u32_e32 vcc_lo, 0, v8
	s_and_saveexec_b32 s2, vcc_lo
	s_cbranch_execz .LBB71_21
; %bb.20:
	v_add_nc_u32_e32 v11, 0, v2
	s_wait_dscnt 0x0
	v_add_f32_e32 v1, v1, v10
	ds_store_b32 v11, v1
.LBB71_21:
	s_wait_alu 0xfffe
	s_or_b32 exec_lo, exec_lo, s2
	s_wait_loadcnt_dscnt 0x0
	s_barrier_signal -1
	s_barrier_wait -1
	global_inv scope:SCOPE_SE
	s_load_b32 s4, s[0:1], 0x44
	v_mov_b32_e32 v1, 0
	v_lshl_add_u32 v8, v8, 2, 0
	s_wait_kmcnt 0x0
	s_bfe_u32 s2, s4, 0xb0005
	s_wait_alu 0xfffe
	v_cmp_gt_u32_e64 s2, s2, v0
	s_and_saveexec_b32 s3, s2
; %bb.22:
	ds_load_b32 v1, v8
; %bb.23:
	s_wait_alu 0xfffe
	s_or_b32 exec_lo, exec_lo, s3
	v_cmp_gt_u32_e64 s3, 32, v0
	s_and_saveexec_b32 s5, s3
	s_cbranch_execz .LBB71_25
; %bb.24:
	s_wait_dscnt 0x0
	ds_bpermute_b32 v10, v3, v1
	s_wait_dscnt 0x0
	v_add_f32_e32 v1, v1, v10
	ds_bpermute_b32 v10, v4, v1
	s_wait_dscnt 0x0
	v_add_f32_e32 v1, v1, v10
	;; [unrolled: 3-line block ×5, first 2 shown]
.LBB71_25:
	s_wait_alu 0xfffe
	s_or_b32 exec_lo, exec_lo, s5
	ds_bpermute_b32 v10, v3, v9
	s_wait_loadcnt_dscnt 0x0
	s_barrier_signal -1
	s_barrier_wait -1
	global_inv scope:SCOPE_SE
	v_add_f32_e32 v9, v9, v10
	ds_bpermute_b32 v10, v4, v9
	s_wait_dscnt 0x0
	v_add_f32_e32 v9, v9, v10
	ds_bpermute_b32 v10, v5, v9
	s_wait_dscnt 0x0
	;; [unrolled: 3-line block ×3, first 2 shown]
	v_add_f32_e32 v9, v9, v10
	ds_bpermute_b32 v10, v7, v9
	s_and_saveexec_b32 s5, vcc_lo
	s_cbranch_execz .LBB71_27
; %bb.26:
	v_add_nc_u32_e32 v2, 0, v2
	s_wait_dscnt 0x0
	v_add_f32_e32 v9, v9, v10
	ds_store_b32 v2, v9
.LBB71_27:
	s_wait_alu 0xfffe
	s_or_b32 exec_lo, exec_lo, s5
	v_mov_b32_e32 v2, 0
	s_wait_loadcnt_dscnt 0x0
	s_barrier_signal -1
	s_barrier_wait -1
	global_inv scope:SCOPE_SE
	s_and_saveexec_b32 s5, s2
; %bb.28:
	ds_load_b32 v2, v8
; %bb.29:
	s_wait_alu 0xfffe
	s_or_b32 exec_lo, exec_lo, s5
	s_and_saveexec_b32 s2, s3
	s_cbranch_execz .LBB71_31
; %bb.30:
	s_wait_dscnt 0x0
	ds_bpermute_b32 v3, v3, v2
	s_wait_dscnt 0x0
	v_add_f32_e32 v2, v2, v3
	ds_bpermute_b32 v3, v4, v2
	s_wait_dscnt 0x0
	v_add_f32_e32 v2, v2, v3
	;; [unrolled: 3-line block ×5, first 2 shown]
.LBB71_31:
	s_wait_alu 0xfffe
	s_or_b32 exec_lo, exec_lo, s2
	s_delay_alu instid0(SALU_CYCLE_1)
	s_mov_b32 s2, exec_lo
	v_cmpx_eq_u32_e32 0, v0
	s_cbranch_execz .LBB71_33
; %bb.32:
	v_mov_b32_e32 v3, 0
	s_wait_dscnt 0x0
	ds_store_b64 v3, v[1:2]
.LBB71_33:
	s_wait_alu 0xfffe
	s_or_b32 exec_lo, exec_lo, s2
	s_wait_loadcnt_dscnt 0x0
	s_barrier_signal -1
	s_barrier_wait -1
	global_inv scope:SCOPE_SE
	s_mov_b32 s2, exec_lo
	v_cmpx_gt_i32_e64 s12, v0
	s_cbranch_execz .LBB71_39
; %bb.34:
	s_cvt_f32_i32 s5, s12
	s_load_b64 s[2:3], s[0:1], 0x28
	s_and_b32 s1, 0xffff, s4
	s_cmp_lg_u64 s[14:15], 0
	v_div_scale_f32 v1, null, s5, s5, 1.0
	v_div_scale_f32 v5, vcc_lo, 1.0, s5, 1.0
	s_cselect_b32 s4, -1, 0
	v_rcp_f32_e32 v4, v1
	v_xor_b32_e32 v1, 0x80000000, v1
	s_mov_b32 s6, 0
	s_delay_alu instid0(TRANS32_DEP_1) | instid1(VALU_DEP_1)
	v_fma_f32 v2, v1, v4, 1.0
	s_wait_kmcnt 0x0
	s_add_nc_u64 s[2:3], s[2:3], s[16:17]
	s_delay_alu instid0(VALU_DEP_1) | instskip(NEXT) | instid1(VALU_DEP_1)
	v_fmac_f32_e32 v4, v2, v4
	v_mul_f32_e32 v6, v5, v4
	s_delay_alu instid0(VALU_DEP_1) | instskip(NEXT) | instid1(VALU_DEP_1)
	v_fma_f32 v2, v1, v6, v5
	v_fmac_f32_e32 v6, v2, v4
	s_delay_alu instid0(VALU_DEP_1) | instskip(SKIP_3) | instid1(VALU_DEP_1)
	v_dual_mov_b32 v2, 0 :: v_dual_fmac_f32 v5, v1, v6
	ds_load_b64 v[2:3], v2
	s_wait_alu 0xfffd
	v_div_fmas_f32 v1, v5, v4, v6
	v_div_fixup_f32 v1, v1, s5, 1.0
	s_delay_alu instid0(VALU_DEP_1)
	v_mul_f32_e32 v6, s19, v1
	s_branch .LBB71_37
.LBB71_35:                              ;   in Loop: Header=BB71_37 Depth=1
	v_add_co_u32 v8, vcc_lo, s14, v4
	s_wait_alu 0xfffd
	v_add_co_ci_u32_e64 v9, null, s15, v5, vcc_lo
	global_load_u16 v8, v[8:9], off
	s_wait_loadcnt 0x0
	v_cvt_f32_f16_e32 v8, v8
.LBB71_36:                              ;   in Loop: Header=BB71_37 Depth=1
	s_wait_loadcnt 0x1
	v_cvt_f32_f16_e32 v7, v7
	v_add_co_u32 v4, s0, s2, v4
	s_wait_alu 0xf1ff
	v_add_co_ci_u32_e64 v5, null, s3, v5, s0
	s_delay_alu instid0(VALU_DEP_3) | instskip(NEXT) | instid1(VALU_DEP_1)
	v_dual_subrev_f32 v7, s18, v7 :: v_dual_mul_f32 v8, s5, v8
	v_dual_mul_f32 v7, s19, v7 :: v_dual_add_nc_u32 v0, s1, v0
	s_delay_alu instid0(VALU_DEP_1) | instskip(SKIP_1) | instid1(VALU_DEP_2)
	v_cmp_le_i32_e32 vcc_lo, s12, v0
	s_wait_dscnt 0x0
	v_mul_f32_e32 v7, v3, v7
	s_or_b32 s6, vcc_lo, s6
	s_wait_loadcnt 0x0
	s_delay_alu instid0(VALU_DEP_1) | instskip(NEXT) | instid1(VALU_DEP_1)
	v_fma_mix_f32 v1, v8, v1, -v7 op_sel_hi:[0,1,0]
	v_sub_f32_e32 v1, v1, v2
	s_delay_alu instid0(VALU_DEP_1)
	v_fma_mixlo_f16 v1, v6, v1, 0
	global_store_b16 v[4:5], v1, off
	s_wait_alu 0xfffe
	s_and_not1_b32 exec_lo, exec_lo, s6
	s_cbranch_execz .LBB71_39
.LBB71_37:                              ; =>This Inner Loop Header: Depth=1
	v_ashrrev_i32_e32 v1, 31, v0
	s_delay_alu instid0(VALU_DEP_1) | instskip(NEXT) | instid1(VALU_DEP_1)
	v_lshlrev_b64_e32 v[4:5], 1, v[0:1]
	v_add_co_u32 v7, vcc_lo, s8, v4
	s_wait_alu 0xfffd
	s_delay_alu instid0(VALU_DEP_2)
	v_add_co_ci_u32_e64 v8, null, s9, v5, vcc_lo
	v_add_co_u32 v9, vcc_lo, s10, v4
	s_wait_alu 0xfffd
	v_add_co_ci_u32_e64 v10, null, s11, v5, vcc_lo
	global_load_u16 v7, v[7:8], off
	global_load_u16 v1, v[9:10], off
	s_wait_alu 0xfffe
	s_and_not1_b32 vcc_lo, exec_lo, s4
	s_wait_alu 0xfffe
	s_cbranch_vccz .LBB71_35
; %bb.38:                               ;   in Loop: Header=BB71_37 Depth=1
	v_mov_b32_e32 v8, 1.0
	s_branch .LBB71_36
.LBB71_39:
	s_endpgm
	.section	.rodata,"a",@progbits
	.p2align	6, 0x0
	.amdhsa_kernel _ZN2at6native12_GLOBAL__N_128layer_norm_grad_input_kernelIN3c104HalfEfLb0EEEvPKT_S7_PKT0_SA_S7_PS5_i
		.amdhsa_group_segment_fixed_size 0
		.amdhsa_private_segment_fixed_size 0
		.amdhsa_kernarg_size 312
		.amdhsa_user_sgpr_count 2
		.amdhsa_user_sgpr_dispatch_ptr 0
		.amdhsa_user_sgpr_queue_ptr 0
		.amdhsa_user_sgpr_kernarg_segment_ptr 1
		.amdhsa_user_sgpr_dispatch_id 0
		.amdhsa_user_sgpr_private_segment_size 0
		.amdhsa_wavefront_size32 1
		.amdhsa_uses_dynamic_stack 0
		.amdhsa_enable_private_segment 0
		.amdhsa_system_sgpr_workgroup_id_x 1
		.amdhsa_system_sgpr_workgroup_id_y 0
		.amdhsa_system_sgpr_workgroup_id_z 0
		.amdhsa_system_sgpr_workgroup_info 0
		.amdhsa_system_vgpr_workitem_id 0
		.amdhsa_next_free_vgpr 22
		.amdhsa_next_free_sgpr 21
		.amdhsa_reserve_vcc 1
		.amdhsa_float_round_mode_32 0
		.amdhsa_float_round_mode_16_64 0
		.amdhsa_float_denorm_mode_32 3
		.amdhsa_float_denorm_mode_16_64 3
		.amdhsa_fp16_overflow 0
		.amdhsa_workgroup_processor_mode 1
		.amdhsa_memory_ordered 1
		.amdhsa_forward_progress 1
		.amdhsa_inst_pref_size 19
		.amdhsa_round_robin_scheduling 0
		.amdhsa_exception_fp_ieee_invalid_op 0
		.amdhsa_exception_fp_denorm_src 0
		.amdhsa_exception_fp_ieee_div_zero 0
		.amdhsa_exception_fp_ieee_overflow 0
		.amdhsa_exception_fp_ieee_underflow 0
		.amdhsa_exception_fp_ieee_inexact 0
		.amdhsa_exception_int_div_zero 0
	.end_amdhsa_kernel
	.section	.text._ZN2at6native12_GLOBAL__N_128layer_norm_grad_input_kernelIN3c104HalfEfLb0EEEvPKT_S7_PKT0_SA_S7_PS5_i,"axG",@progbits,_ZN2at6native12_GLOBAL__N_128layer_norm_grad_input_kernelIN3c104HalfEfLb0EEEvPKT_S7_PKT0_SA_S7_PS5_i,comdat
.Lfunc_end71:
	.size	_ZN2at6native12_GLOBAL__N_128layer_norm_grad_input_kernelIN3c104HalfEfLb0EEEvPKT_S7_PKT0_SA_S7_PS5_i, .Lfunc_end71-_ZN2at6native12_GLOBAL__N_128layer_norm_grad_input_kernelIN3c104HalfEfLb0EEEvPKT_S7_PKT0_SA_S7_PS5_i
                                        ; -- End function
	.set _ZN2at6native12_GLOBAL__N_128layer_norm_grad_input_kernelIN3c104HalfEfLb0EEEvPKT_S7_PKT0_SA_S7_PS5_i.num_vgpr, 22
	.set _ZN2at6native12_GLOBAL__N_128layer_norm_grad_input_kernelIN3c104HalfEfLb0EEEvPKT_S7_PKT0_SA_S7_PS5_i.num_agpr, 0
	.set _ZN2at6native12_GLOBAL__N_128layer_norm_grad_input_kernelIN3c104HalfEfLb0EEEvPKT_S7_PKT0_SA_S7_PS5_i.numbered_sgpr, 21
	.set _ZN2at6native12_GLOBAL__N_128layer_norm_grad_input_kernelIN3c104HalfEfLb0EEEvPKT_S7_PKT0_SA_S7_PS5_i.num_named_barrier, 0
	.set _ZN2at6native12_GLOBAL__N_128layer_norm_grad_input_kernelIN3c104HalfEfLb0EEEvPKT_S7_PKT0_SA_S7_PS5_i.private_seg_size, 0
	.set _ZN2at6native12_GLOBAL__N_128layer_norm_grad_input_kernelIN3c104HalfEfLb0EEEvPKT_S7_PKT0_SA_S7_PS5_i.uses_vcc, 1
	.set _ZN2at6native12_GLOBAL__N_128layer_norm_grad_input_kernelIN3c104HalfEfLb0EEEvPKT_S7_PKT0_SA_S7_PS5_i.uses_flat_scratch, 0
	.set _ZN2at6native12_GLOBAL__N_128layer_norm_grad_input_kernelIN3c104HalfEfLb0EEEvPKT_S7_PKT0_SA_S7_PS5_i.has_dyn_sized_stack, 0
	.set _ZN2at6native12_GLOBAL__N_128layer_norm_grad_input_kernelIN3c104HalfEfLb0EEEvPKT_S7_PKT0_SA_S7_PS5_i.has_recursion, 0
	.set _ZN2at6native12_GLOBAL__N_128layer_norm_grad_input_kernelIN3c104HalfEfLb0EEEvPKT_S7_PKT0_SA_S7_PS5_i.has_indirect_call, 0
	.section	.AMDGPU.csdata,"",@progbits
; Kernel info:
; codeLenInByte = 2344
; TotalNumSgprs: 23
; NumVgprs: 22
; ScratchSize: 0
; MemoryBound: 0
; FloatMode: 240
; IeeeMode: 1
; LDSByteSize: 0 bytes/workgroup (compile time only)
; SGPRBlocks: 0
; VGPRBlocks: 2
; NumSGPRsForWavesPerEU: 23
; NumVGPRsForWavesPerEU: 22
; Occupancy: 16
; WaveLimiterHint : 0
; COMPUTE_PGM_RSRC2:SCRATCH_EN: 0
; COMPUTE_PGM_RSRC2:USER_SGPR: 2
; COMPUTE_PGM_RSRC2:TRAP_HANDLER: 0
; COMPUTE_PGM_RSRC2:TGID_X_EN: 1
; COMPUTE_PGM_RSRC2:TGID_Y_EN: 0
; COMPUTE_PGM_RSRC2:TGID_Z_EN: 0
; COMPUTE_PGM_RSRC2:TIDIG_COMP_CNT: 0
	.section	.text._ZN2at6native12_GLOBAL__N_133GammaBetaBackwardSimpleCUDAKernelIN3c104HalfEfLb0EEEvllPKT_S7_PKT0_SA_PS5_SB_,"axG",@progbits,_ZN2at6native12_GLOBAL__N_133GammaBetaBackwardSimpleCUDAKernelIN3c104HalfEfLb0EEEvllPKT_S7_PKT0_SA_PS5_SB_,comdat
	.globl	_ZN2at6native12_GLOBAL__N_133GammaBetaBackwardSimpleCUDAKernelIN3c104HalfEfLb0EEEvllPKT_S7_PKT0_SA_PS5_SB_ ; -- Begin function _ZN2at6native12_GLOBAL__N_133GammaBetaBackwardSimpleCUDAKernelIN3c104HalfEfLb0EEEvllPKT_S7_PKT0_SA_PS5_SB_
	.p2align	8
	.type	_ZN2at6native12_GLOBAL__N_133GammaBetaBackwardSimpleCUDAKernelIN3c104HalfEfLb0EEEvllPKT_S7_PKT0_SA_PS5_SB_,@function
_ZN2at6native12_GLOBAL__N_133GammaBetaBackwardSimpleCUDAKernelIN3c104HalfEfLb0EEEvllPKT_S7_PKT0_SA_PS5_SB_: ; @_ZN2at6native12_GLOBAL__N_133GammaBetaBackwardSimpleCUDAKernelIN3c104HalfEfLb0EEEvllPKT_S7_PKT0_SA_PS5_SB_
; %bb.0:
	s_clause 0x1
	s_load_b32 s16, s[0:1], 0x4c
	s_load_b512 s[0:15], s[0:1], 0x0
	v_mov_b32_e32 v1, 0
	s_wait_kmcnt 0x0
	s_and_b32 s16, s16, 0xffff
	s_delay_alu instid0(VALU_DEP_1) | instid1(SALU_CYCLE_1)
	v_mad_co_u64_u32 v[2:3], null, s16, ttmp9, v[0:1]
	s_mov_b32 s16, exec_lo
	v_cmpx_gt_i64_e64 s[2:3], v[2:3]
	s_cbranch_execz .LBB72_14
; %bb.1:
	v_cmp_lt_i64_e64 s16, s[0:1], 1
	v_lshlrev_b64_e32 v[2:3], 1, v[2:3]
	v_mov_b32_e32 v0, 0
	s_wait_alu 0xfffe
	s_and_b32 vcc_lo, exec_lo, s16
	s_cbranch_vccnz .LBB72_10
; %bb.2:
	s_cmp_lg_u64 s[12:13], 0
	v_dual_mov_b32 v0, v2 :: v_dual_mov_b32 v5, 0
	v_dual_mov_b32 v4, 0 :: v_dual_mov_b32 v1, v3
	s_cselect_b32 s16, -1, 0
	s_cmp_lg_u64 s[14:15], 0
	s_cselect_b32 s17, -1, 0
	s_lshl_b64 s[2:3], s[2:3], 1
	s_branch .LBB72_5
.LBB72_3:                               ;   in Loop: Header=BB72_5 Depth=1
	v_add_co_u32 v7, vcc_lo, s4, v0
	s_wait_alu 0xfffd
	v_add_co_ci_u32_e64 v8, null, s5, v1, vcc_lo
	global_load_u16 v7, v[7:8], off
	s_wait_loadcnt 0x0
	v_cvt_f32_f16_e32 v7, v7
.LBB72_4:                               ;   in Loop: Header=BB72_5 Depth=1
	v_add_co_u32 v0, vcc_lo, v0, s2
	s_delay_alu instid0(VALU_DEP_2)
	v_dual_add_f32 v4, v4, v6 :: v_dual_add_f32 v5, v5, v7
	s_wait_alu 0xfffd
	v_add_co_ci_u32_e64 v1, null, s3, v1, vcc_lo
	s_add_nc_u64 s[0:1], s[0:1], -1
	s_add_nc_u64 s[10:11], s[10:11], 4
	s_wait_alu 0xfffe
	s_cmp_eq_u64 s[0:1], 0
	s_add_nc_u64 s[8:9], s[8:9], 4
	s_cbranch_scc1 .LBB72_9
.LBB72_5:                               ; =>This Inner Loop Header: Depth=1
	v_mov_b32_e32 v6, 0
	s_wait_alu 0xfffe
	s_and_not1_b32 vcc_lo, exec_lo, s16
	s_wait_alu 0xfffe
	s_cbranch_vccnz .LBB72_7
; %bb.6:                                ;   in Loop: Header=BB72_5 Depth=1
	v_add_co_u32 v6, vcc_lo, s6, v0
	s_wait_alu 0xfffd
	v_add_co_ci_u32_e64 v7, null, s7, v1, vcc_lo
	v_add_co_u32 v8, vcc_lo, s4, v0
	s_wait_alu 0xfffd
	v_add_co_ci_u32_e64 v9, null, s5, v1, vcc_lo
	global_load_u16 v6, v[6:7], off
	global_load_u16 v7, v[8:9], off
	s_load_b32 s18, s[8:9], 0x0
	s_load_b32 s19, s[10:11], 0x0
	s_wait_loadcnt 0x1
	v_cvt_f32_f16_e32 v6, v6
	s_wait_loadcnt 0x0
	v_cvt_f32_f16_e32 v7, v7
	s_wait_kmcnt 0x0
	s_delay_alu instid0(VALU_DEP_2) | instskip(NEXT) | instid1(VALU_DEP_1)
	v_subrev_f32_e32 v6, s18, v6
	v_mul_f32_e32 v6, v6, v7
	s_delay_alu instid0(VALU_DEP_1)
	v_mul_f32_e32 v6, s19, v6
.LBB72_7:                               ;   in Loop: Header=BB72_5 Depth=1
	s_and_not1_b32 vcc_lo, exec_lo, s17
	s_wait_alu 0xfffe
	s_cbranch_vccz .LBB72_3
; %bb.8:                                ;   in Loop: Header=BB72_5 Depth=1
	v_mov_b32_e32 v7, 0
	s_branch .LBB72_4
.LBB72_9:
	v_cvt_f16_f32_e32 v1, v4
	v_cvt_f16_f32_e32 v0, v5
.LBB72_10:
	s_cmp_lg_u64 s[12:13], 0
	s_cbranch_scc0 .LBB72_12
; %bb.11:
	v_add_co_u32 v4, vcc_lo, s12, v2
	s_wait_alu 0xfffd
	v_add_co_ci_u32_e64 v5, null, s13, v3, vcc_lo
	global_store_b16 v[4:5], v1, off
.LBB72_12:
	s_cmp_eq_u64 s[14:15], 0
	s_cbranch_scc1 .LBB72_14
; %bb.13:
	v_add_co_u32 v1, vcc_lo, s14, v2
	s_wait_alu 0xfffd
	v_add_co_ci_u32_e64 v2, null, s15, v3, vcc_lo
	global_store_b16 v[1:2], v0, off
.LBB72_14:
	s_endpgm
	.section	.rodata,"a",@progbits
	.p2align	6, 0x0
	.amdhsa_kernel _ZN2at6native12_GLOBAL__N_133GammaBetaBackwardSimpleCUDAKernelIN3c104HalfEfLb0EEEvllPKT_S7_PKT0_SA_PS5_SB_
		.amdhsa_group_segment_fixed_size 0
		.amdhsa_private_segment_fixed_size 0
		.amdhsa_kernarg_size 320
		.amdhsa_user_sgpr_count 2
		.amdhsa_user_sgpr_dispatch_ptr 0
		.amdhsa_user_sgpr_queue_ptr 0
		.amdhsa_user_sgpr_kernarg_segment_ptr 1
		.amdhsa_user_sgpr_dispatch_id 0
		.amdhsa_user_sgpr_private_segment_size 0
		.amdhsa_wavefront_size32 1
		.amdhsa_uses_dynamic_stack 0
		.amdhsa_enable_private_segment 0
		.amdhsa_system_sgpr_workgroup_id_x 1
		.amdhsa_system_sgpr_workgroup_id_y 0
		.amdhsa_system_sgpr_workgroup_id_z 0
		.amdhsa_system_sgpr_workgroup_info 0
		.amdhsa_system_vgpr_workitem_id 0
		.amdhsa_next_free_vgpr 10
		.amdhsa_next_free_sgpr 20
		.amdhsa_reserve_vcc 1
		.amdhsa_float_round_mode_32 0
		.amdhsa_float_round_mode_16_64 0
		.amdhsa_float_denorm_mode_32 3
		.amdhsa_float_denorm_mode_16_64 3
		.amdhsa_fp16_overflow 0
		.amdhsa_workgroup_processor_mode 1
		.amdhsa_memory_ordered 1
		.amdhsa_forward_progress 1
		.amdhsa_inst_pref_size 4
		.amdhsa_round_robin_scheduling 0
		.amdhsa_exception_fp_ieee_invalid_op 0
		.amdhsa_exception_fp_denorm_src 0
		.amdhsa_exception_fp_ieee_div_zero 0
		.amdhsa_exception_fp_ieee_overflow 0
		.amdhsa_exception_fp_ieee_underflow 0
		.amdhsa_exception_fp_ieee_inexact 0
		.amdhsa_exception_int_div_zero 0
	.end_amdhsa_kernel
	.section	.text._ZN2at6native12_GLOBAL__N_133GammaBetaBackwardSimpleCUDAKernelIN3c104HalfEfLb0EEEvllPKT_S7_PKT0_SA_PS5_SB_,"axG",@progbits,_ZN2at6native12_GLOBAL__N_133GammaBetaBackwardSimpleCUDAKernelIN3c104HalfEfLb0EEEvllPKT_S7_PKT0_SA_PS5_SB_,comdat
.Lfunc_end72:
	.size	_ZN2at6native12_GLOBAL__N_133GammaBetaBackwardSimpleCUDAKernelIN3c104HalfEfLb0EEEvllPKT_S7_PKT0_SA_PS5_SB_, .Lfunc_end72-_ZN2at6native12_GLOBAL__N_133GammaBetaBackwardSimpleCUDAKernelIN3c104HalfEfLb0EEEvllPKT_S7_PKT0_SA_PS5_SB_
                                        ; -- End function
	.set _ZN2at6native12_GLOBAL__N_133GammaBetaBackwardSimpleCUDAKernelIN3c104HalfEfLb0EEEvllPKT_S7_PKT0_SA_PS5_SB_.num_vgpr, 10
	.set _ZN2at6native12_GLOBAL__N_133GammaBetaBackwardSimpleCUDAKernelIN3c104HalfEfLb0EEEvllPKT_S7_PKT0_SA_PS5_SB_.num_agpr, 0
	.set _ZN2at6native12_GLOBAL__N_133GammaBetaBackwardSimpleCUDAKernelIN3c104HalfEfLb0EEEvllPKT_S7_PKT0_SA_PS5_SB_.numbered_sgpr, 20
	.set _ZN2at6native12_GLOBAL__N_133GammaBetaBackwardSimpleCUDAKernelIN3c104HalfEfLb0EEEvllPKT_S7_PKT0_SA_PS5_SB_.num_named_barrier, 0
	.set _ZN2at6native12_GLOBAL__N_133GammaBetaBackwardSimpleCUDAKernelIN3c104HalfEfLb0EEEvllPKT_S7_PKT0_SA_PS5_SB_.private_seg_size, 0
	.set _ZN2at6native12_GLOBAL__N_133GammaBetaBackwardSimpleCUDAKernelIN3c104HalfEfLb0EEEvllPKT_S7_PKT0_SA_PS5_SB_.uses_vcc, 1
	.set _ZN2at6native12_GLOBAL__N_133GammaBetaBackwardSimpleCUDAKernelIN3c104HalfEfLb0EEEvllPKT_S7_PKT0_SA_PS5_SB_.uses_flat_scratch, 0
	.set _ZN2at6native12_GLOBAL__N_133GammaBetaBackwardSimpleCUDAKernelIN3c104HalfEfLb0EEEvllPKT_S7_PKT0_SA_PS5_SB_.has_dyn_sized_stack, 0
	.set _ZN2at6native12_GLOBAL__N_133GammaBetaBackwardSimpleCUDAKernelIN3c104HalfEfLb0EEEvllPKT_S7_PKT0_SA_PS5_SB_.has_recursion, 0
	.set _ZN2at6native12_GLOBAL__N_133GammaBetaBackwardSimpleCUDAKernelIN3c104HalfEfLb0EEEvllPKT_S7_PKT0_SA_PS5_SB_.has_indirect_call, 0
	.section	.AMDGPU.csdata,"",@progbits
; Kernel info:
; codeLenInByte = 480
; TotalNumSgprs: 22
; NumVgprs: 10
; ScratchSize: 0
; MemoryBound: 0
; FloatMode: 240
; IeeeMode: 1
; LDSByteSize: 0 bytes/workgroup (compile time only)
; SGPRBlocks: 0
; VGPRBlocks: 1
; NumSGPRsForWavesPerEU: 22
; NumVGPRsForWavesPerEU: 10
; Occupancy: 16
; WaveLimiterHint : 0
; COMPUTE_PGM_RSRC2:SCRATCH_EN: 0
; COMPUTE_PGM_RSRC2:USER_SGPR: 2
; COMPUTE_PGM_RSRC2:TRAP_HANDLER: 0
; COMPUTE_PGM_RSRC2:TGID_X_EN: 1
; COMPUTE_PGM_RSRC2:TGID_Y_EN: 0
; COMPUTE_PGM_RSRC2:TGID_Z_EN: 0
; COMPUTE_PGM_RSRC2:TIDIG_COMP_CNT: 0
	.section	.text._ZN2at6native12_GLOBAL__N_135GammaBetaBackwardCUDAKernelTemplateIN3c104HalfEfLj64ELj1ELj32ELb1ELb1ELb0EEEvllPKT_S7_PKT0_SA_PS5_SB_,"axG",@progbits,_ZN2at6native12_GLOBAL__N_135GammaBetaBackwardCUDAKernelTemplateIN3c104HalfEfLj64ELj1ELj32ELb1ELb1ELb0EEEvllPKT_S7_PKT0_SA_PS5_SB_,comdat
	.globl	_ZN2at6native12_GLOBAL__N_135GammaBetaBackwardCUDAKernelTemplateIN3c104HalfEfLj64ELj1ELj32ELb1ELb1ELb0EEEvllPKT_S7_PKT0_SA_PS5_SB_ ; -- Begin function _ZN2at6native12_GLOBAL__N_135GammaBetaBackwardCUDAKernelTemplateIN3c104HalfEfLj64ELj1ELj32ELb1ELb1ELb0EEEvllPKT_S7_PKT0_SA_PS5_SB_
	.p2align	8
	.type	_ZN2at6native12_GLOBAL__N_135GammaBetaBackwardCUDAKernelTemplateIN3c104HalfEfLj64ELj1ELj32ELb1ELb1ELb0EEEvllPKT_S7_PKT0_SA_PS5_SB_,@function
_ZN2at6native12_GLOBAL__N_135GammaBetaBackwardCUDAKernelTemplateIN3c104HalfEfLj64ELj1ELj32ELb1ELb1ELb0EEEvllPKT_S7_PKT0_SA_PS5_SB_: ; @_ZN2at6native12_GLOBAL__N_135GammaBetaBackwardCUDAKernelTemplateIN3c104HalfEfLj64ELj1ELj32ELb1ELb1ELb0EEEvllPKT_S7_PKT0_SA_PS5_SB_
; %bb.0:
	s_load_b128 s[8:11], s[0:1], 0x0
	s_lshl_b32 s16, ttmp7, 5
	s_mov_b32 s17, 0
	v_bfe_u32 v6, v0, 10, 10
	s_add_nc_u64 s[18:19], s[0:1], 64
	s_wait_kmcnt 0x0
	v_cmp_gt_i64_e64 s2, s[8:9], s[16:17]
	s_and_b32 vcc_lo, exec_lo, s2
	s_cbranch_vccnz .LBB73_2
; %bb.1:
	v_bfe_u32 v1, v0, 10, 10
	s_add_nc_u64 s[2:3], s[0:1], 64
	s_mov_b32 s4, s17
	s_branch .LBB73_3
.LBB73_2:
	s_mov_b32 s4, -1
                                        ; implicit-def: $sgpr2_sgpr3
                                        ; implicit-def: $vgpr1
.LBB73_3:
	s_load_b128 s[12:15], s[0:1], 0x30
	v_dual_mov_b32 v4, 0 :: v_dual_and_b32 v7, 0x3ff, v0
	v_mov_b32_e32 v5, 0
	s_and_not1_b32 vcc_lo, exec_lo, s4
	s_cbranch_vccnz .LBB73_9
; %bb.4:
	s_clause 0x2
	s_load_b32 s20, s[0:1], 0x4c
	s_load_b32 s22, s[0:1], 0x44
	s_load_b256 s[0:7], s[0:1], 0x10
	v_dual_mov_b32 v1, 0 :: v_dual_lshlrev_b32 v2, 5, v6
	v_lshl_add_u32 v0, ttmp9, 6, v7
	s_mov_b32 s21, 0
	v_dual_mov_b32 v8, 4 :: v_dual_mov_b32 v9, 8
	v_dual_mov_b32 v10, 12 :: v_dual_mov_b32 v11, 16
	s_delay_alu instid0(VALU_DEP_3)
	v_lshlrev_b64_e32 v[39:40], 1, v[0:1]
	v_dual_mov_b32 v12, 20 :: v_dual_mov_b32 v13, 24
	v_dual_mov_b32 v14, 28 :: v_dual_mov_b32 v15, 32
	;; [unrolled: 1-line block ×4, first 2 shown]
	s_wait_kmcnt 0x0
	s_and_b32 s20, s20, 0xffff
	v_dual_mov_b32 v20, 52 :: v_dual_mov_b32 v21, 56
	v_mad_u32_u24 v3, v6, s20, v7
	v_add_co_u32 v42, s20, v2, s16
	s_wait_alu 0xf1ff
	v_add_co_ci_u32_e64 v43, null, 0, 0, s20
	s_delay_alu instid0(VALU_DEP_3) | instskip(NEXT) | instid1(VALU_DEP_3)
	v_dual_mov_b32 v24, 0x44 :: v_dual_and_b32 v41, 31, v3
	v_mul_lo_u32 v4, s11, v42
	s_delay_alu instid0(VALU_DEP_3)
	v_mul_lo_u32 v5, s10, v43
	v_mad_co_u64_u32 v[2:3], null, s10, v42, 0
	s_lshl_b32 s20, s22, 5
	v_dual_mov_b32 v22, 60 :: v_dual_mov_b32 v23, 64
	v_mov_b32_e32 v25, 0x48
	v_mov_b32_e32 v26, 0x4c
	;; [unrolled: 1-line block ×3, first 2 shown]
	v_add3_u32 v3, v3, v5, v4
	v_mov_b32_e32 v28, 0x54
	v_mov_b32_e32 v29, 0x58
	v_mov_b32_e32 v30, 0x5c
	v_mov_b32_e32 v31, 0x60
	v_lshlrev_b64_e32 v[4:5], 1, v[2:3]
	v_add_co_u32 v2, vcc_lo, v42, v41
	s_delay_alu instid0(VALU_DEP_1) | instskip(SKIP_1) | instid1(VALU_DEP_4)
	v_add_co_ci_u32_e64 v3, null, 0, v43, vcc_lo
	v_mov_b32_e32 v32, 0x64
	v_add_co_u32 v0, vcc_lo, v4, v39
	s_wait_alu 0xfffd
	v_add_co_ci_u32_e64 v39, null, v5, v40, vcc_lo
	v_lshlrev_b64_e32 v[4:5], 2, v[2:3]
	v_mov_b32_e32 v33, 0x68
	v_mov_b32_e32 v34, 0x6c
	;; [unrolled: 1-line block ×5, first 2 shown]
	v_dual_mov_b32 v38, 0x7c :: v_dual_mov_b32 v43, 0
	v_mov_b32_e32 v40, 0
	s_wait_alu 0xfffe
	s_mul_u64 s[22:23], s[10:11], s[20:21]
	s_lshl_b64 s[24:25], s[20:21], 2
	s_lshl_b64 s[22:23], s[22:23], 1
	;; [unrolled: 1-line block ×3, first 2 shown]
	s_branch .LBB73_6
.LBB73_5:                               ;   in Loop: Header=BB73_6 Depth=1
	s_or_b32 exec_lo, exec_lo, s28
	v_add_co_u32 v45, vcc_lo, s2, v0
	s_wait_alu 0xfffd
	v_add_co_ci_u32_e64 v46, null, s3, v39, vcc_lo
	v_add_co_u32 v47, vcc_lo, s0, v0
	s_wait_alu 0xfffd
	v_add_co_ci_u32_e64 v48, null, s1, v39, vcc_lo
	global_load_u16 v44, v[45:46], off
	v_add_co_u32 v45, vcc_lo, v45, s26
	s_wait_alu 0xfffd
	v_add_co_ci_u32_e64 v46, null, s27, v46, vcc_lo
	v_add_co_u32 v50, vcc_lo, v47, s26
	s_wait_alu 0xfffd
	v_add_co_ci_u32_e64 v51, null, s27, v48, vcc_lo
	;; [unrolled: 3-line block ×4, first 2 shown]
	global_load_u16 v49, v[47:48], off
	global_load_u16 v48, v[45:46], off
	;; [unrolled: 1-line block ×5, first 2 shown]
	v_add_co_u32 v51, vcc_lo, v52, s26
	s_wait_alu 0xfffd
	v_add_co_ci_u32_e64 v52, null, s27, v53, vcc_lo
	v_add_co_u32 v53, vcc_lo, v54, s26
	s_wait_alu 0xfffd
	v_add_co_ci_u32_e64 v54, null, s27, v55, vcc_lo
	global_load_u16 v50, v[51:52], off
	v_add_co_u32 v55, vcc_lo, v53, s26
	s_wait_alu 0xfffd
	v_add_co_ci_u32_e64 v56, null, s27, v54, vcc_lo
	v_add_co_u32 v57, vcc_lo, v51, s26
	s_wait_alu 0xfffd
	v_add_co_ci_u32_e64 v58, null, s27, v52, vcc_lo
	;; [unrolled: 3-line block ×4, first 2 shown]
	s_clause 0x1
	global_load_u16 v52, v[53:54], off
	global_load_u16 v51, v[55:56], off
	global_load_u16 v53, v[57:58], off
	global_load_u16 v54, v[59:60], off
	global_load_u16 v55, v[61:62], off
	v_add_co_u32 v57, vcc_lo, v59, s26
	s_wait_alu 0xfffd
	v_add_co_ci_u32_e64 v58, null, s27, v60, vcc_lo
	v_add_co_u32 v59, vcc_lo, v61, s26
	s_wait_alu 0xfffd
	v_add_co_ci_u32_e64 v60, null, s27, v62, vcc_lo
	global_load_u16 v56, v[57:58], off
	v_add_co_u32 v57, vcc_lo, v57, s26
	s_wait_alu 0xfffd
	v_add_co_ci_u32_e64 v58, null, s27, v58, vcc_lo
	v_add_co_u32 v61, vcc_lo, v59, s26
	s_wait_alu 0xfffd
	v_add_co_ci_u32_e64 v62, null, s27, v60, vcc_lo
	v_add_co_u32 v63, vcc_lo, v57, s26
	s_wait_alu 0xfffd
	v_add_co_ci_u32_e64 v64, null, s27, v58, vcc_lo
	v_add_co_u32 v65, vcc_lo, v61, s26
	s_wait_alu 0xfffd
	v_add_co_ci_u32_e64 v66, null, s27, v62, vcc_lo
	global_load_u16 v60, v[59:60], off
	global_load_u16 v57, v[57:58], off
	global_load_u16 v58, v[61:62], off
	global_load_u16 v59, v[63:64], off
	global_load_u16 v61, v[65:66], off
	v_add_co_u32 v63, vcc_lo, v63, s26
	s_wait_alu 0xfffd
	v_add_co_ci_u32_e64 v64, null, s27, v64, vcc_lo
	v_add_co_u32 v65, vcc_lo, v65, s26
	s_wait_alu 0xfffd
	v_add_co_ci_u32_e64 v66, null, s27, v66, vcc_lo
	global_load_u16 v62, v[63:64], off
	v_add_co_u32 v63, vcc_lo, v63, s26
	s_wait_alu 0xfffd
	v_add_co_ci_u32_e64 v64, null, s27, v64, vcc_lo
	v_add_co_u32 v67, vcc_lo, v65, s26
	s_wait_alu 0xfffd
	v_add_co_ci_u32_e64 v68, null, s27, v66, vcc_lo
	v_add_co_u32 v69, vcc_lo, v63, s26
	s_wait_alu 0xfffd
	v_add_co_ci_u32_e64 v70, null, s27, v64, vcc_lo
	v_add_co_u32 v71, vcc_lo, v67, s26
	s_wait_alu 0xfffd
	v_add_co_ci_u32_e64 v72, null, s27, v68, vcc_lo
	;; [unrolled: 24-line block ×3, first 2 shown]
	global_load_u16 v73, v[71:72], off
	global_load_u16 v69, v[69:70], off
	;; [unrolled: 1-line block ×5, first 2 shown]
	v_add_co_u32 v75, vcc_lo, v76, s26
	s_wait_alu 0xfffd
	v_add_co_ci_u32_e64 v76, null, s27, v77, vcc_lo
	v_add_co_u32 v77, vcc_lo, v78, s26
	s_wait_alu 0xfffd
	v_add_co_ci_u32_e64 v78, null, s27, v79, vcc_lo
	;; [unrolled: 3-line block ×5, first 2 shown]
	v_add_co_u32 v85, vcc_lo, v81, s26
	global_load_u16 v74, v[75:76], off
	global_load_u16 v75, v[77:78], off
	s_wait_alu 0xfffd
	v_add_co_ci_u32_e64 v86, null, s27, v82, vcc_lo
	global_load_u16 v76, v[79:80], off
	global_load_u16 v77, v[81:82], off
	v_add_co_u32 v80, vcc_lo, v83, s26
	s_wait_alu 0xfffd
	v_add_co_ci_u32_e64 v81, null, s27, v84, vcc_lo
	v_add_co_u32 v82, vcc_lo, v85, s26
	global_load_u16 v79, v[83:84], off
	global_load_u16 v78, v[85:86], off
	s_wait_alu 0xfffd
	v_add_co_ci_u32_e64 v83, null, s27, v86, vcc_lo
	v_add_co_u32 v84, vcc_lo, v80, s26
	s_wait_alu 0xfffd
	v_add_co_ci_u32_e64 v85, null, s27, v81, vcc_lo
	v_add_co_u32 v86, vcc_lo, v82, s26
	s_wait_alu 0xfffd
	v_add_co_ci_u32_e64 v87, null, s27, v83, vcc_lo
	global_load_u16 v89, v[84:85], off
	global_load_u16 v80, v[80:81], off
	v_add_co_u32 v81, vcc_lo, v84, s26
	global_load_u16 v88, v[82:83], off
	s_wait_alu 0xfffd
	v_add_co_ci_u32_e64 v82, null, s27, v85, vcc_lo
	v_add_co_u32 v83, vcc_lo, v86, s26
	s_wait_alu 0xfffd
	v_add_co_ci_u32_e64 v84, null, s27, v87, vcc_lo
	v_add_co_u32 v85, vcc_lo, v81, s26
	global_load_u16 v87, v[86:87], off
	s_wait_alu 0xfffd
	v_add_co_ci_u32_e64 v86, null, s27, v82, vcc_lo
	global_load_u16 v90, v[81:82], off
	v_add_co_u32 v81, vcc_lo, v83, s26
	s_wait_alu 0xfffd
	v_add_co_ci_u32_e64 v82, null, s27, v84, vcc_lo
	global_load_u16 v91, v[83:84], off
	v_add_co_u32 v83, vcc_lo, v85, s26
	;; [unrolled: 4-line block ×4, first 2 shown]
	s_wait_alu 0xfffd
	v_add_co_ci_u32_e64 v82, null, s27, v84, vcc_lo
	global_load_u16 v94, v[83:84], off
	global_load_u16 v95, v[85:86], off
	v_add_co_u32 v83, vcc_lo, v85, s26
	s_wait_alu 0xfffd
	v_add_co_ci_u32_e64 v84, null, s27, v86, vcc_lo
	v_add_co_u32 v85, vcc_lo, v81, s26
	s_wait_alu 0xfffd
	v_add_co_ci_u32_e64 v86, null, s27, v82, vcc_lo
	global_load_u16 v96, v[81:82], off
	global_load_u16 v97, v[83:84], off
	;; [unrolled: 1-line block ×3, first 2 shown]
	v_add_co_u32 v81, vcc_lo, v83, s26
	s_wait_alu 0xfffd
	v_add_co_ci_u32_e64 v82, null, s27, v84, vcc_lo
	v_add_co_u32 v83, vcc_lo, v85, s26
	s_wait_alu 0xfffd
	v_add_co_ci_u32_e64 v84, null, s27, v86, vcc_lo
	global_load_u16 v99, v[81:82], off
	global_load_u16 v100, v[83:84], off
	v_add_co_u32 v81, vcc_lo, v81, s26
	s_wait_alu 0xfffd
	v_add_co_ci_u32_e64 v82, null, s27, v82, vcc_lo
	v_add_co_u32 v83, vcc_lo, v83, s26
	s_wait_alu 0xfffd
	v_add_co_ci_u32_e64 v84, null, s27, v84, vcc_lo
	global_load_u16 v101, v[81:82], off
	global_load_u16 v102, v[83:84], off
	;; [unrolled: 8-line block ×4, first 2 shown]
	v_add_co_u32 v81, vcc_lo, v81, s26
	s_wait_alu 0xfffd
	v_add_co_ci_u32_e64 v82, null, s27, v82, vcc_lo
	v_add_co_u32 v83, vcc_lo, v83, s26
	s_wait_alu 0xfffd
	v_add_co_ci_u32_e64 v84, null, s27, v84, vcc_lo
	global_load_u16 v107, v[81:82], off
	v_add_co_u32 v81, vcc_lo, v81, s26
	s_wait_alu 0xfffd
	v_add_co_ci_u32_e64 v82, null, s27, v82, vcc_lo
	global_load_u16 v108, v[83:84], off
	global_load_u16 v109, v[81:82], off
	v_add_co_u32 v83, vcc_lo, v83, s26
	s_wait_alu 0xfffd
	v_add_co_ci_u32_e64 v84, null, s27, v84, vcc_lo
	v_add_co_u32 v81, vcc_lo, v81, s26
	s_wait_alu 0xfffd
	v_add_co_ci_u32_e64 v82, null, s27, v82, vcc_lo
	global_load_u16 v110, v[83:84], off
	v_add_co_u32 v85, vcc_lo, v81, s26
	s_wait_alu 0xfffd
	v_add_co_ci_u32_e64 v86, null, s27, v82, vcc_lo
	global_load_u16 v111, v[81:82], off
	v_add_co_u32 v81, vcc_lo, v83, s26
	s_wait_alu 0xfffd
	v_add_co_ci_u32_e64 v82, null, s27, v84, vcc_lo
	global_load_u16 v83, v[85:86], off
	global_load_u16 v81, v[81:82], off
	s_wait_loadcnt 0x3e
	ds_bpermute_b32 v82, v1, v42
	ds_bpermute_b32 v84, v8, v42
	;; [unrolled: 1-line block ×7, first 2 shown]
	v_add_co_u32 v0, vcc_lo, v0, s22
	s_add_nc_u64 s[16:17], s[16:17], s[20:21]
	s_wait_alu 0xfffd
	v_add_co_ci_u32_e64 v39, null, s23, v39, vcc_lo
	v_add_co_u32 v4, vcc_lo, v4, s24
	s_wait_alu 0xfffe
	v_cmp_lt_i64_e64 s28, s[16:17], s[8:9]
	s_wait_alu 0xfffd
	v_add_co_ci_u32_e64 v5, null, s25, v5, vcc_lo
	v_add_co_u32 v2, vcc_lo, v2, s20
	s_wait_alu 0xfffd
	v_add_co_ci_u32_e64 v3, null, 0, v3, vcc_lo
	s_and_b32 vcc_lo, exec_lo, s28
	v_cvt_f32_f16_e32 v44, v44
	s_wait_dscnt 0x6
	s_delay_alu instid0(VALU_DEP_1)
	v_sub_f32_e32 v44, v44, v82
	ds_bpermute_b32 v82, v9, v41
	v_cvt_f32_f16_e32 v49, v49
	s_wait_loadcnt 0x3d
	v_cvt_f32_f16_e32 v48, v48
	s_wait_loadcnt 0x3c
	;; [unrolled: 2-line block ×4, first 2 shown]
	v_cvt_f32_f16_e32 v45, v45
	s_wait_dscnt 0x6
	v_dual_add_f32 v43, v43, v49 :: v_dual_sub_f32 v48, v48, v84
	v_mul_f32_e32 v44, v44, v49
	ds_bpermute_b32 v84, v10, v41
	s_wait_dscnt 0x5
	v_dual_add_f32 v43, v43, v47 :: v_dual_sub_f32 v46, v46, v86
	v_fmac_f32_e32 v40, v44, v85
	ds_bpermute_b32 v85, v13, v42
	v_add_f32_e32 v43, v43, v45
	s_wait_loadcnt 0x37
	v_cvt_f32_f16_e32 v51, v51
	s_wait_loadcnt 0x36
	v_cvt_f32_f16_e32 v53, v53
	;; [unrolled: 2-line block ×4, first 2 shown]
	v_mul_f32_e32 v44, v48, v47
	v_cvt_f32_f16_e32 v48, v50
	ds_bpermute_b32 v50, v12, v42
	s_wait_dscnt 0x6
	v_fmac_f32_e32 v40, v44, v112
	v_mul_f32_e32 v44, v46, v45
	s_wait_dscnt 0x5
	v_sub_f32_e32 v46, v48, v113
	v_cvt_f32_f16_e32 v48, v52
	ds_bpermute_b32 v52, v11, v41
	ds_bpermute_b32 v45, v19, v41
	s_wait_dscnt 0x5
	v_dual_add_f32 v43, v43, v48 :: v_dual_fmac_f32 v40, v44, v82
	ds_bpermute_b32 v82, v14, v42
	v_dual_add_f32 v43, v43, v51 :: v_dual_mul_f32 v44, v46, v48
	v_sub_f32_e32 v46, v53, v114
	ds_bpermute_b32 v53, v12, v41
	ds_bpermute_b32 v48, v20, v41
	s_wait_dscnt 0x7
	v_fmac_f32_e32 v40, v44, v84
	v_mul_f32_e32 v44, v46, v51
	s_wait_dscnt 0x5
	v_sub_f32_e32 v46, v55, v50
	v_cvt_f32_f16_e32 v50, v54
	ds_bpermute_b32 v54, v13, v41
	v_cvt_f32_f16_e32 v55, v60
	ds_bpermute_b32 v60, v15, v42
	s_wait_dscnt 0x6
	v_fmac_f32_e32 v40, v44, v52
	v_mul_f32_e32 v44, v46, v50
	v_cvt_f32_f16_e32 v52, v56
	v_sub_f32_e32 v46, v55, v85
	ds_bpermute_b32 v55, v14, v41
	v_cvt_f32_f16_e32 v56, v58
	ds_bpermute_b32 v58, v16, v42
	v_add_f32_e32 v43, v43, v50
	s_wait_loadcnt 0x24
	v_cvt_f32_f16_e32 v51, v70
	s_wait_dscnt 0x5
	v_fmac_f32_e32 v40, v44, v53
	v_mul_f32_e32 v44, v46, v52
	v_sub_f32_e32 v46, v56, v82
	ds_bpermute_b32 v53, v15, v41
	v_cvt_f32_f16_e32 v56, v57
	v_cvt_f32_f16_e32 v57, v61
	ds_bpermute_b32 v61, v17, v42
	s_wait_dscnt 0x5
	v_fmac_f32_e32 v40, v44, v54
	ds_bpermute_b32 v54, v16, v41
	v_add_f32_e32 v43, v43, v52
	v_mul_f32_e32 v44, v46, v56
	s_wait_dscnt 0x5
	v_sub_f32_e32 v46, v57, v60
	v_cvt_f32_f16_e32 v57, v59
	v_cvt_f32_f16_e32 v59, v66
	v_add_f32_e32 v43, v43, v56
	ds_bpermute_b32 v60, v18, v42
	s_wait_dscnt 0x5
	v_fmac_f32_e32 v40, v44, v55
	v_mul_f32_e32 v44, v46, v57
	s_wait_dscnt 0x4
	v_sub_f32_e32 v46, v59, v58
	v_cvt_f32_f16_e32 v55, v62
	v_cvt_f32_f16_e32 v58, v65
	v_add_f32_e32 v43, v43, v57
	ds_bpermute_b32 v59, v17, v41
	s_wait_loadcnt 0x1d
	v_cvt_f32_f16_e32 v56, v79
	s_wait_dscnt 0x4
	v_fmac_f32_e32 v40, v44, v53
	v_mul_f32_e32 v44, v46, v55
	ds_bpermute_b32 v46, v19, v42
	s_wait_dscnt 0x4
	v_sub_f32_e32 v53, v58, v61
	v_add_f32_e32 v43, v43, v55
	ds_bpermute_b32 v61, v18, v41
	v_cvt_f32_f16_e32 v58, v67
	ds_bpermute_b32 v55, v22, v42
	v_mul_f32_e32 v47, v53, v49
	v_add_f32_e32 v43, v43, v49
	s_wait_loadcnt 0x1b
	v_cvt_f32_f16_e32 v49, v89
	s_wait_dscnt 0x5
	v_fmac_f32_e32 v40, v44, v54
	ds_bpermute_b32 v44, v20, v42
	s_wait_dscnt 0x5
	v_sub_f32_e32 v53, v58, v60
	v_cvt_f32_f16_e32 v54, v64
	v_cvt_f32_f16_e32 v58, v73
	;; [unrolled: 1-line block ×5, first 2 shown]
	v_add_f32_e32 v43, v43, v54
	s_wait_loadcnt 0x18
	v_cvt_f32_f16_e32 v60, v87
	s_wait_loadcnt 0x17
	v_cvt_f32_f16_e32 v62, v90
	;; [unrolled: 2-line block ×3, first 2 shown]
	s_wait_dscnt 0x0
	v_sub_f32_e32 v44, v51, v44
	v_cvt_f32_f16_e32 v51, v76
	s_wait_loadcnt 0x15
	v_cvt_f32_f16_e32 v64, v92
	v_dual_fmac_f32 v40, v47, v59 :: v_dual_mul_f32 v47, v53, v54
	v_sub_f32_e32 v46, v58, v46
	v_cvt_f32_f16_e32 v53, v68
	v_cvt_f32_f16_e32 v58, v80
	ds_bpermute_b32 v54, v23, v42
	v_cvt_f32_f16_e32 v59, v88
	s_wait_loadcnt 0x14
	v_cvt_f32_f16_e32 v65, v93
	v_mul_f32_e32 v46, v46, v53
	s_wait_loadcnt 0x13
	v_cvt_f32_f16_e32 v66, v94
	v_fmac_f32_e32 v40, v47, v61
	v_cvt_f32_f16_e32 v47, v69
	v_add_f32_e32 v43, v43, v53
	ds_bpermute_b32 v61, v21, v41
	ds_bpermute_b32 v53, v24, v42
	s_wait_loadcnt 0x12
	v_cvt_f32_f16_e32 v67, v95
	v_mul_f32_e32 v44, v44, v47
	s_wait_loadcnt 0x11
	v_cvt_f32_f16_e32 v68, v96
	v_dual_fmac_f32 v40, v46, v45 :: v_dual_add_f32 v43, v43, v47
	ds_bpermute_b32 v46, v21, v42
	ds_bpermute_b32 v47, v25, v42
	v_cvt_f32_f16_e32 v45, v72
	v_fmac_f32_e32 v40, v44, v48
	v_cvt_f32_f16_e32 v44, v71
	v_cvt_f32_f16_e32 v48, v74
	s_wait_loadcnt 0x10
	v_cvt_f32_f16_e32 v69, v97
	s_delay_alu instid0(VALU_DEP_3) | instskip(NEXT) | instid1(VALU_DEP_1)
	v_add_f32_e32 v43, v43, v44
	v_add_f32_e32 v43, v43, v48
	s_delay_alu instid0(VALU_DEP_1)
	v_add_f32_e32 v43, v43, v51
	s_wait_dscnt 0x1
	v_sub_f32_e32 v45, v45, v46
	ds_bpermute_b32 v46, v22, v41
	s_wait_dscnt 0x1
	v_sub_f32_e32 v47, v59, v47
	v_add_f32_e32 v43, v43, v56
	v_mul_f32_e32 v45, v45, v44
	ds_bpermute_b32 v44, v25, v41
	v_mul_f32_e32 v47, v47, v58
	v_dual_add_f32 v43, v43, v58 :: v_dual_fmac_f32 v40, v45, v61
	ds_bpermute_b32 v45, v24, v41
	s_wait_loadcnt 0xf
	v_cvt_f32_f16_e32 v61, v98
	v_add_f32_e32 v43, v43, v49
	s_delay_alu instid0(VALU_DEP_1) | instskip(SKIP_2) | instid1(VALU_DEP_2)
	v_add_f32_e32 v43, v43, v62
	s_wait_loadcnt 0x8
	v_cvt_f32_f16_e32 v58, v105
	v_dual_sub_f32 v52, v52, v54 :: v_dual_add_f32 v43, v43, v64
	ds_bpermute_b32 v54, v26, v42
	v_dual_add_f32 v43, v43, v66 :: v_dual_sub_f32 v50, v50, v55
	ds_bpermute_b32 v55, v23, v41
	v_add_f32_e32 v43, v43, v68
	s_delay_alu instid0(VALU_DEP_1) | instskip(SKIP_1) | instid1(VALU_DEP_1)
	v_dual_mul_f32 v50, v50, v48 :: v_dual_add_f32 v43, v43, v61
	s_wait_dscnt 0x4
	v_fmac_f32_e32 v40, v50, v46
	v_mul_f32_e32 v46, v52, v51
	ds_bpermute_b32 v52, v27, v42
	v_sub_f32_e32 v50, v57, v53
	ds_bpermute_b32 v51, v29, v42
	v_cvt_f32_f16_e32 v53, v99
	v_cvt_f32_f16_e32 v57, v103
	s_wait_loadcnt 0x4
	v_cvt_f32_f16_e32 v59, v109
	v_mul_f32_e32 v48, v50, v56
	ds_bpermute_b32 v50, v28, v42
	v_cvt_f32_f16_e32 v56, v102
	s_wait_dscnt 0x3
	v_fmac_f32_e32 v40, v46, v55
	ds_bpermute_b32 v46, v26, v41
	v_cvt_f32_f16_e32 v55, v100
	v_fmac_f32_e32 v40, v48, v45
	ds_bpermute_b32 v45, v27, v41
	v_sub_f32_e32 v48, v60, v54
	v_cvt_f32_f16_e32 v54, v101
	v_add_f32_e32 v43, v43, v55
	v_fmac_f32_e32 v40, v47, v44
	ds_bpermute_b32 v44, v28, v41
	s_wait_dscnt 0x5
	v_dual_mul_f32 v47, v48, v49 :: v_dual_sub_f32 v48, v63, v52
	ds_bpermute_b32 v52, v30, v42
	ds_bpermute_b32 v49, v32, v42
	v_add_f32_e32 v43, v43, v56
	s_wait_dscnt 0x4
	v_fmac_f32_e32 v40, v47, v46
	ds_bpermute_b32 v46, v29, v41
	v_mul_f32_e32 v47, v48, v62
	v_sub_f32_e32 v48, v65, v50
	ds_bpermute_b32 v50, v31, v42
	s_wait_dscnt 0x5
	v_fmac_f32_e32 v40, v47, v45
	ds_bpermute_b32 v45, v30, v41
	v_dual_mul_f32 v47, v48, v64 :: v_dual_sub_f32 v48, v67, v51
	v_cvt_f32_f16_e32 v51, v104
	s_wait_dscnt 0x5
	s_delay_alu instid0(VALU_DEP_2)
	v_fmac_f32_e32 v40, v47, v44
	ds_bpermute_b32 v44, v31, v41
	s_wait_dscnt 0x5
	v_dual_mul_f32 v47, v48, v66 :: v_dual_sub_f32 v48, v69, v52
	ds_bpermute_b32 v52, v33, v42
	v_add_f32_e32 v43, v43, v51
	s_wait_dscnt 0x4
	v_fmac_f32_e32 v40, v47, v46
	ds_bpermute_b32 v46, v32, v41
	s_wait_dscnt 0x4
	v_dual_mul_f32 v47, v48, v68 :: v_dual_sub_f32 v48, v53, v50
	ds_bpermute_b32 v53, v34, v42
	v_cvt_f32_f16_e32 v50, v106
	s_wait_dscnt 0x4
	v_fmac_f32_e32 v40, v47, v45
	v_mul_f32_e32 v45, v48, v61
	ds_bpermute_b32 v47, v33, v41
	v_sub_f32_e32 v48, v54, v49
	ds_bpermute_b32 v54, v35, v42
	v_cvt_f32_f16_e32 v49, v107
	s_wait_dscnt 0x5
	v_dual_add_f32 v43, v43, v50 :: v_dual_fmac_f32 v40, v45, v44
	v_mul_f32_e32 v44, v48, v55
	ds_bpermute_b32 v45, v34, v41
	s_wait_dscnt 0x5
	v_sub_f32_e32 v48, v57, v52
	ds_bpermute_b32 v52, v36, v42
	ds_bpermute_b32 v55, v36, v41
	v_cvt_f32_f16_e32 v57, v108
	s_wait_dscnt 0x6
	v_fmac_f32_e32 v40, v44, v46
	ds_bpermute_b32 v44, v35, v41
	v_mul_f32_e32 v46, v48, v56
	ds_bpermute_b32 v48, v37, v42
	s_wait_dscnt 0x7
	v_sub_f32_e32 v53, v58, v53
	ds_bpermute_b32 v42, v38, v42
	s_wait_dscnt 0x7
	v_dual_add_f32 v43, v43, v57 :: v_dual_fmac_f32 v40, v46, v47
	v_mul_f32_e32 v46, v53, v51
	s_wait_dscnt 0x6
	v_sub_f32_e32 v47, v49, v54
	ds_bpermute_b32 v53, v37, v41
	ds_bpermute_b32 v41, v38, v41
	s_wait_loadcnt 0x3
	v_cvt_f32_f16_e32 v49, v110
	s_wait_dscnt 0x7
	v_dual_fmac_f32 v40, v46, v45 :: v_dual_mul_f32 v45, v47, v50
	s_wait_dscnt 0x6
	v_sub_f32_e32 v46, v59, v52
	s_wait_loadcnt 0x2
	v_cvt_f32_f16_e32 v47, v111
	s_wait_dscnt 0x4
	v_dual_add_f32 v43, v43, v49 :: v_dual_fmac_f32 v40, v45, v44
	s_wait_dscnt 0x3
	s_delay_alu instid0(VALU_DEP_2)
	v_dual_mul_f32 v44, v46, v57 :: v_dual_sub_f32 v45, v47, v48
	s_wait_loadcnt 0x1
	v_cvt_f32_f16_e32 v46, v83
	s_wait_loadcnt 0x0
	v_cvt_f32_f16_e32 v47, v81
	v_fmac_f32_e32 v40, v44, v55
	v_mul_f32_e32 v44, v45, v49
	s_wait_dscnt 0x2
	s_delay_alu instid0(VALU_DEP_3) | instskip(SKIP_1) | instid1(VALU_DEP_2)
	v_dual_sub_f32 v42, v46, v42 :: v_dual_add_f32 v43, v43, v47
	s_wait_dscnt 0x1
	v_fmac_f32_e32 v40, v44, v53
	s_delay_alu instid0(VALU_DEP_2) | instskip(SKIP_1) | instid1(VALU_DEP_1)
	v_mul_f32_e32 v42, v42, v47
	s_wait_dscnt 0x0
	v_fmac_f32_e32 v40, v42, v41
	s_wait_alu 0xfffe
	s_cbranch_vccz .LBB73_8
.LBB73_6:                               ; =>This Inner Loop Header: Depth=1
	v_dual_mov_b32 v41, 0 :: v_dual_mov_b32 v42, 0
	s_mov_b32 s28, exec_lo
	v_cmpx_gt_i64_e64 s[8:9], v[2:3]
	s_cbranch_execz .LBB73_5
; %bb.7:                                ;   in Loop: Header=BB73_6 Depth=1
	v_add_co_u32 v41, vcc_lo, s4, v4
	s_wait_alu 0xfffd
	v_add_co_ci_u32_e64 v42, null, s5, v5, vcc_lo
	v_add_co_u32 v44, vcc_lo, s6, v4
	s_wait_alu 0xfffd
	v_add_co_ci_u32_e64 v45, null, s7, v5, vcc_lo
	global_load_b32 v42, v[41:42], off
	global_load_b32 v41, v[44:45], off
	s_branch .LBB73_5
.LBB73_8:
	s_delay_alu instid0(VALU_DEP_1)
	v_cvt_f16_f32_e32 v5, v40
	v_cvt_f16_f32_e32 v4, v43
	v_mov_b32_e32 v1, v6
	s_mov_b64 s[2:3], s[18:19]
.LBB73_9:
	s_load_u16 s2, s[2:3], 0xe
	v_mov_b32_e32 v2, 0
	s_mov_b32 s0, ttmp9
	s_mov_b32 s1, 0
	s_wait_alu 0xfffe
	s_lshl_b64 s[0:1], s[0:1], 6
	s_wait_kmcnt 0x0
	s_cmp_eq_u64 s[12:13], 0
	s_wait_alu 0xfffe
	v_add_co_u32 v0, s0, s0, v7
	s_wait_alu 0xf1ff
	v_mad_co_u64_u32 v[2:3], null, s2, ttmp7, v[1:2]
	v_add_co_ci_u32_e64 v1, null, s1, 0, s0
	s_delay_alu instid0(VALU_DEP_1) | instskip(NEXT) | instid1(VALU_DEP_3)
	v_lshlrev_b64_e32 v[0:1], 1, v[0:1]
	v_mul_lo_u32 v3, v3, s10
	s_delay_alu instid0(VALU_DEP_4)
	v_mul_lo_u32 v6, v2, s11
	s_cbranch_scc1 .LBB73_11
; %bb.10:
	v_mad_co_u64_u32 v[7:8], null, v2, s10, 0
	s_delay_alu instid0(VALU_DEP_1) | instskip(NEXT) | instid1(VALU_DEP_1)
	v_add3_u32 v8, v8, v6, v3
	v_lshlrev_b64_e32 v[7:8], 1, v[7:8]
	s_delay_alu instid0(VALU_DEP_1) | instskip(SKIP_1) | instid1(VALU_DEP_2)
	v_add_co_u32 v7, vcc_lo, s12, v7
	s_wait_alu 0xfffd
	v_add_co_ci_u32_e64 v8, null, s13, v8, vcc_lo
	s_delay_alu instid0(VALU_DEP_2) | instskip(SKIP_1) | instid1(VALU_DEP_2)
	v_add_co_u32 v7, vcc_lo, v7, v0
	s_wait_alu 0xfffd
	v_add_co_ci_u32_e64 v8, null, v8, v1, vcc_lo
	global_store_b16 v[7:8], v5, off
.LBB73_11:
	s_cmp_eq_u64 s[14:15], 0
	s_cbranch_scc1 .LBB73_13
; %bb.12:
	v_mad_co_u64_u32 v[7:8], null, v2, s10, 0
	s_delay_alu instid0(VALU_DEP_1) | instskip(NEXT) | instid1(VALU_DEP_1)
	v_add3_u32 v8, v8, v6, v3
	v_lshlrev_b64_e32 v[2:3], 1, v[7:8]
	s_delay_alu instid0(VALU_DEP_1) | instskip(SKIP_1) | instid1(VALU_DEP_2)
	v_add_co_u32 v2, vcc_lo, s14, v2
	s_wait_alu 0xfffd
	v_add_co_ci_u32_e64 v3, null, s15, v3, vcc_lo
	s_delay_alu instid0(VALU_DEP_2) | instskip(SKIP_1) | instid1(VALU_DEP_2)
	v_add_co_u32 v0, vcc_lo, v2, v0
	s_wait_alu 0xfffd
	v_add_co_ci_u32_e64 v1, null, v3, v1, vcc_lo
	global_store_b16 v[0:1], v4, off
.LBB73_13:
	s_nop 0
	s_sendmsg sendmsg(MSG_DEALLOC_VGPRS)
	s_endpgm
	.section	.rodata,"a",@progbits
	.p2align	6, 0x0
	.amdhsa_kernel _ZN2at6native12_GLOBAL__N_135GammaBetaBackwardCUDAKernelTemplateIN3c104HalfEfLj64ELj1ELj32ELb1ELb1ELb0EEEvllPKT_S7_PKT0_SA_PS5_SB_
		.amdhsa_group_segment_fixed_size 0
		.amdhsa_private_segment_fixed_size 0
		.amdhsa_kernarg_size 320
		.amdhsa_user_sgpr_count 2
		.amdhsa_user_sgpr_dispatch_ptr 0
		.amdhsa_user_sgpr_queue_ptr 0
		.amdhsa_user_sgpr_kernarg_segment_ptr 1
		.amdhsa_user_sgpr_dispatch_id 0
		.amdhsa_user_sgpr_private_segment_size 0
		.amdhsa_wavefront_size32 1
		.amdhsa_uses_dynamic_stack 0
		.amdhsa_enable_private_segment 0
		.amdhsa_system_sgpr_workgroup_id_x 1
		.amdhsa_system_sgpr_workgroup_id_y 1
		.amdhsa_system_sgpr_workgroup_id_z 0
		.amdhsa_system_sgpr_workgroup_info 0
		.amdhsa_system_vgpr_workitem_id 1
		.amdhsa_next_free_vgpr 115
		.amdhsa_next_free_sgpr 29
		.amdhsa_reserve_vcc 1
		.amdhsa_float_round_mode_32 0
		.amdhsa_float_round_mode_16_64 0
		.amdhsa_float_denorm_mode_32 3
		.amdhsa_float_denorm_mode_16_64 3
		.amdhsa_fp16_overflow 0
		.amdhsa_workgroup_processor_mode 1
		.amdhsa_memory_ordered 1
		.amdhsa_forward_progress 1
		.amdhsa_inst_pref_size 37
		.amdhsa_round_robin_scheduling 0
		.amdhsa_exception_fp_ieee_invalid_op 0
		.amdhsa_exception_fp_denorm_src 0
		.amdhsa_exception_fp_ieee_div_zero 0
		.amdhsa_exception_fp_ieee_overflow 0
		.amdhsa_exception_fp_ieee_underflow 0
		.amdhsa_exception_fp_ieee_inexact 0
		.amdhsa_exception_int_div_zero 0
	.end_amdhsa_kernel
	.section	.text._ZN2at6native12_GLOBAL__N_135GammaBetaBackwardCUDAKernelTemplateIN3c104HalfEfLj64ELj1ELj32ELb1ELb1ELb0EEEvllPKT_S7_PKT0_SA_PS5_SB_,"axG",@progbits,_ZN2at6native12_GLOBAL__N_135GammaBetaBackwardCUDAKernelTemplateIN3c104HalfEfLj64ELj1ELj32ELb1ELb1ELb0EEEvllPKT_S7_PKT0_SA_PS5_SB_,comdat
.Lfunc_end73:
	.size	_ZN2at6native12_GLOBAL__N_135GammaBetaBackwardCUDAKernelTemplateIN3c104HalfEfLj64ELj1ELj32ELb1ELb1ELb0EEEvllPKT_S7_PKT0_SA_PS5_SB_, .Lfunc_end73-_ZN2at6native12_GLOBAL__N_135GammaBetaBackwardCUDAKernelTemplateIN3c104HalfEfLj64ELj1ELj32ELb1ELb1ELb0EEEvllPKT_S7_PKT0_SA_PS5_SB_
                                        ; -- End function
	.set _ZN2at6native12_GLOBAL__N_135GammaBetaBackwardCUDAKernelTemplateIN3c104HalfEfLj64ELj1ELj32ELb1ELb1ELb0EEEvllPKT_S7_PKT0_SA_PS5_SB_.num_vgpr, 115
	.set _ZN2at6native12_GLOBAL__N_135GammaBetaBackwardCUDAKernelTemplateIN3c104HalfEfLj64ELj1ELj32ELb1ELb1ELb0EEEvllPKT_S7_PKT0_SA_PS5_SB_.num_agpr, 0
	.set _ZN2at6native12_GLOBAL__N_135GammaBetaBackwardCUDAKernelTemplateIN3c104HalfEfLj64ELj1ELj32ELb1ELb1ELb0EEEvllPKT_S7_PKT0_SA_PS5_SB_.numbered_sgpr, 29
	.set _ZN2at6native12_GLOBAL__N_135GammaBetaBackwardCUDAKernelTemplateIN3c104HalfEfLj64ELj1ELj32ELb1ELb1ELb0EEEvllPKT_S7_PKT0_SA_PS5_SB_.num_named_barrier, 0
	.set _ZN2at6native12_GLOBAL__N_135GammaBetaBackwardCUDAKernelTemplateIN3c104HalfEfLj64ELj1ELj32ELb1ELb1ELb0EEEvllPKT_S7_PKT0_SA_PS5_SB_.private_seg_size, 0
	.set _ZN2at6native12_GLOBAL__N_135GammaBetaBackwardCUDAKernelTemplateIN3c104HalfEfLj64ELj1ELj32ELb1ELb1ELb0EEEvllPKT_S7_PKT0_SA_PS5_SB_.uses_vcc, 1
	.set _ZN2at6native12_GLOBAL__N_135GammaBetaBackwardCUDAKernelTemplateIN3c104HalfEfLj64ELj1ELj32ELb1ELb1ELb0EEEvllPKT_S7_PKT0_SA_PS5_SB_.uses_flat_scratch, 0
	.set _ZN2at6native12_GLOBAL__N_135GammaBetaBackwardCUDAKernelTemplateIN3c104HalfEfLj64ELj1ELj32ELb1ELb1ELb0EEEvllPKT_S7_PKT0_SA_PS5_SB_.has_dyn_sized_stack, 0
	.set _ZN2at6native12_GLOBAL__N_135GammaBetaBackwardCUDAKernelTemplateIN3c104HalfEfLj64ELj1ELj32ELb1ELb1ELb0EEEvllPKT_S7_PKT0_SA_PS5_SB_.has_recursion, 0
	.set _ZN2at6native12_GLOBAL__N_135GammaBetaBackwardCUDAKernelTemplateIN3c104HalfEfLj64ELj1ELj32ELb1ELb1ELb0EEEvllPKT_S7_PKT0_SA_PS5_SB_.has_indirect_call, 0
	.section	.AMDGPU.csdata,"",@progbits
; Kernel info:
; codeLenInByte = 4660
; TotalNumSgprs: 31
; NumVgprs: 115
; ScratchSize: 0
; MemoryBound: 0
; FloatMode: 240
; IeeeMode: 1
; LDSByteSize: 0 bytes/workgroup (compile time only)
; SGPRBlocks: 0
; VGPRBlocks: 14
; NumSGPRsForWavesPerEU: 31
; NumVGPRsForWavesPerEU: 115
; Occupancy: 12
; WaveLimiterHint : 0
; COMPUTE_PGM_RSRC2:SCRATCH_EN: 0
; COMPUTE_PGM_RSRC2:USER_SGPR: 2
; COMPUTE_PGM_RSRC2:TRAP_HANDLER: 0
; COMPUTE_PGM_RSRC2:TGID_X_EN: 1
; COMPUTE_PGM_RSRC2:TGID_Y_EN: 1
; COMPUTE_PGM_RSRC2:TGID_Z_EN: 0
; COMPUTE_PGM_RSRC2:TIDIG_COMP_CNT: 1
	.section	.text._ZN2at6native12_GLOBAL__N_135GammaBetaBackwardCUDAKernelTemplateIN3c104HalfEfLj64ELj1ELj32ELb1ELb0ELb0EEEvllPKT_S7_PKT0_SA_PS5_SB_,"axG",@progbits,_ZN2at6native12_GLOBAL__N_135GammaBetaBackwardCUDAKernelTemplateIN3c104HalfEfLj64ELj1ELj32ELb1ELb0ELb0EEEvllPKT_S7_PKT0_SA_PS5_SB_,comdat
	.globl	_ZN2at6native12_GLOBAL__N_135GammaBetaBackwardCUDAKernelTemplateIN3c104HalfEfLj64ELj1ELj32ELb1ELb0ELb0EEEvllPKT_S7_PKT0_SA_PS5_SB_ ; -- Begin function _ZN2at6native12_GLOBAL__N_135GammaBetaBackwardCUDAKernelTemplateIN3c104HalfEfLj64ELj1ELj32ELb1ELb0ELb0EEEvllPKT_S7_PKT0_SA_PS5_SB_
	.p2align	8
	.type	_ZN2at6native12_GLOBAL__N_135GammaBetaBackwardCUDAKernelTemplateIN3c104HalfEfLj64ELj1ELj32ELb1ELb0ELb0EEEvllPKT_S7_PKT0_SA_PS5_SB_,@function
_ZN2at6native12_GLOBAL__N_135GammaBetaBackwardCUDAKernelTemplateIN3c104HalfEfLj64ELj1ELj32ELb1ELb0ELb0EEEvllPKT_S7_PKT0_SA_PS5_SB_: ; @_ZN2at6native12_GLOBAL__N_135GammaBetaBackwardCUDAKernelTemplateIN3c104HalfEfLj64ELj1ELj32ELb1ELb0ELb0EEEvllPKT_S7_PKT0_SA_PS5_SB_
; %bb.0:
	s_clause 0x1
	s_load_b256 s[4:11], s[0:1], 0x0
	s_load_b128 s[12:15], s[0:1], 0x20
	s_lshl_b32 s30, ttmp9, 6
	s_mov_b32 s17, 0
	s_or_b32 s16, s30, 63
	v_mov_b32_e32 v228, v0
	s_wait_kmcnt 0x0
	v_cmp_le_i64_e64 s2, s[6:7], s[16:17]
	s_lshl_b32 s16, ttmp7, 5
	s_wait_alu 0xfffe
	v_cmp_gt_i64_e64 s31, s[4:5], s[16:17]
	s_and_b32 vcc_lo, exec_lo, s2
	v_cndmask_b32_e64 v0, 0, 1, s31
	s_delay_alu instid0(VALU_DEP_1)
	v_cmp_ne_u32_e64 s2, 1, v0
	s_cbranch_vccz .LBB74_141
; %bb.1:
	v_mov_b32_e32 v203, 0
	v_mov_b32_e32 v201, 0
	s_and_b32 vcc_lo, exec_lo, s2
	s_cbranch_vccnz .LBB74_142
; %bb.2:
	v_bfe_u32 v38, v228, 10, 10
	v_dual_mov_b32 v1, 0 :: v_dual_and_b32 v40, 0x3ff, v228
	s_load_b32 s3, s[0:1], 0x44
	s_mov_b32 s19, 0
	s_delay_alu instid0(VALU_DEP_2) | instskip(NEXT) | instid1(VALU_DEP_2)
	v_lshlrev_b32_e32 v39, 5, v38
	v_dual_mov_b32 v7, v1 :: v_dual_add_nc_u32 v6, s30, v40
	s_mov_b32 s23, s19
	v_mov_b32_e32 v41, v1
	s_delay_alu instid0(VALU_DEP_3) | instskip(NEXT) | instid1(VALU_DEP_1)
	v_add_co_u32 v4, s2, v39, s16
	v_add_co_ci_u32_e64 v5, null, 0, 0, s2
	v_cmp_gt_i64_e64 s2, s[6:7], v[6:7]
	s_delay_alu instid0(VALU_DEP_3) | instskip(SKIP_1) | instid1(VALU_DEP_4)
	v_mul_lo_u32 v0, s7, v4
	v_mad_co_u64_u32 v[2:3], null, s6, v4, 0
	v_mul_lo_u32 v8, s6, v5
	v_lshlrev_b64_e32 v[34:35], 1, v[6:7]
	v_mov_b32_e32 v201, 0
	v_mov_b32_e32 v169, 0
	s_add_nc_u64 s[20:21], s[0:1], 64
	s_wait_kmcnt 0x0
	s_lshl_b32 s22, s3, 5
	s_mov_b64 s[26:27], 31
	s_mul_u64 s[24:25], s[6:7], s[22:23]
	v_add3_u32 v3, v3, v8, v0
	v_add_co_u32 v0, vcc_lo, v4, 31
	s_delay_alu instid0(VALU_DEP_1) | instskip(NEXT) | instid1(VALU_DEP_3)
	v_add_co_ci_u32_e64 v8, null, 0, v5, vcc_lo
	v_lshlrev_b64_e32 v[6:7], 1, v[2:3]
	s_delay_alu instid0(VALU_DEP_3) | instskip(SKIP_1) | instid1(VALU_DEP_3)
	v_mul_lo_u32 v12, s7, v0
	s_lshl_b64 s[24:25], s[24:25], 1
	v_mul_lo_u32 v13, s6, v8
	v_mad_co_u64_u32 v[8:9], null, s6, v0, 0
	v_add_co_u32 v0, vcc_lo, v4, 30
	s_wait_alu 0xfffd
	v_add_co_ci_u32_e64 v10, null, 0, v5, vcc_lo
	v_add_co_u32 v42, vcc_lo, s8, v6
	s_delay_alu instid0(VALU_DEP_3) | instskip(NEXT) | instid1(VALU_DEP_3)
	v_mul_lo_u32 v14, s7, v0
	v_mul_lo_u32 v15, s6, v10
	v_mad_co_u64_u32 v[10:11], null, s6, v0, 0
	s_wait_alu 0xfffd
	v_add_co_ci_u32_e64 v43, null, s9, v7, vcc_lo
	v_add_co_u32 v44, vcc_lo, s10, v6
	s_wait_alu 0xfffd
	v_add_co_ci_u32_e64 v45, null, s11, v7, vcc_lo
	v_add_co_u32 v0, vcc_lo, v4, 29
	v_add3_u32 v9, v9, v13, v12
	v_add3_u32 v11, v11, v15, v14
	s_wait_alu 0xfffd
	v_add_co_ci_u32_e64 v12, null, 0, v5, vcc_lo
	v_mul_lo_u32 v13, s7, v0
	v_lshlrev_b64_e32 v[6:7], 1, v[8:9]
	v_lshlrev_b64_e32 v[8:9], 1, v[10:11]
	s_delay_alu instid0(VALU_DEP_4)
	v_mul_lo_u32 v12, s6, v12
	v_mad_co_u64_u32 v[10:11], null, s6, v0, 0
	s_mov_b64 s[28:29], s[16:17]
	v_add_co_u32 v46, vcc_lo, s8, v6
	s_wait_alu 0xfffd
	v_add_co_ci_u32_e64 v47, null, s9, v7, vcc_lo
	v_add_co_u32 v48, vcc_lo, s10, v6
	v_add3_u32 v11, v11, v12, v13
	s_wait_alu 0xfffd
	v_add_co_ci_u32_e64 v49, null, s11, v7, vcc_lo
	v_add_co_u32 v50, vcc_lo, s8, v8
	s_wait_alu 0xfffd
	v_add_co_ci_u32_e64 v51, null, s9, v9, vcc_lo
	v_add_co_u32 v0, vcc_lo, v4, 28
	v_add_co_u32 v52, s3, s10, v8
	v_lshlrev_b64_e32 v[6:7], 1, v[10:11]
	s_wait_alu 0xfffd
	v_add_co_ci_u32_e64 v8, null, 0, v5, vcc_lo
	v_add_co_u32 v10, vcc_lo, v4, 27
	s_wait_alu 0xfffd
	v_add_co_ci_u32_e64 v11, null, 0, v5, vcc_lo
	s_wait_alu 0xf1ff
	v_add_co_ci_u32_e64 v53, null, s11, v9, s3
	v_mul_lo_u32 v12, s7, v0
	v_mul_lo_u32 v13, s6, v8
	v_mad_co_u64_u32 v[8:9], null, s6, v0, 0
	v_mul_lo_u32 v0, s7, v10
	v_mul_lo_u32 v14, s6, v11
	v_mad_co_u64_u32 v[10:11], null, s6, v10, 0
	v_add_co_u32 v54, vcc_lo, s8, v6
	s_wait_alu 0xfffd
	v_add_co_ci_u32_e64 v55, null, s9, v7, vcc_lo
	v_add_co_u32 v56, vcc_lo, s10, v6
	s_wait_alu 0xfffd
	v_add_co_ci_u32_e64 v57, null, s11, v7, vcc_lo
	v_add3_u32 v11, v11, v14, v0
	v_add_co_u32 v0, vcc_lo, v4, 26
	v_add3_u32 v9, v9, v13, v12
	s_wait_alu 0xfffd
	v_add_co_ci_u32_e64 v12, null, 0, v5, vcc_lo
	s_delay_alu instid0(VALU_DEP_3) | instskip(NEXT) | instid1(VALU_DEP_3)
	v_mul_lo_u32 v13, s7, v0
	v_lshlrev_b64_e32 v[6:7], 1, v[8:9]
	v_lshlrev_b64_e32 v[8:9], 1, v[10:11]
	s_delay_alu instid0(VALU_DEP_4) | instskip(SKIP_1) | instid1(VALU_DEP_4)
	v_mul_lo_u32 v12, s6, v12
	v_mad_co_u64_u32 v[10:11], null, s6, v0, 0
	v_add_co_u32 v58, vcc_lo, s8, v6
	s_wait_alu 0xfffd
	v_add_co_ci_u32_e64 v59, null, s9, v7, vcc_lo
	v_add_co_u32 v60, vcc_lo, s10, v6
	s_delay_alu instid0(VALU_DEP_4)
	v_add3_u32 v11, v11, v12, v13
	s_wait_alu 0xfffd
	v_add_co_ci_u32_e64 v61, null, s11, v7, vcc_lo
	v_add_co_u32 v62, vcc_lo, s8, v8
	s_wait_alu 0xfffd
	v_add_co_ci_u32_e64 v63, null, s9, v9, vcc_lo
	v_add_co_u32 v0, vcc_lo, v4, 25
	v_add_co_u32 v64, s3, s10, v8
	v_lshlrev_b64_e32 v[6:7], 1, v[10:11]
	s_wait_alu 0xfffd
	v_add_co_ci_u32_e64 v8, null, 0, v5, vcc_lo
	v_add_co_u32 v10, vcc_lo, v4, 24
	s_wait_alu 0xfffd
	v_add_co_ci_u32_e64 v11, null, 0, v5, vcc_lo
	s_wait_alu 0xf1ff
	v_add_co_ci_u32_e64 v65, null, s11, v9, s3
	v_mul_lo_u32 v12, s7, v0
	v_mul_lo_u32 v13, s6, v8
	v_mad_co_u64_u32 v[8:9], null, s6, v0, 0
	v_mul_lo_u32 v14, s7, v10
	v_mul_lo_u32 v15, s6, v11
	v_mad_co_u64_u32 v[10:11], null, s6, v10, 0
	v_add_co_u32 v0, vcc_lo, s8, v6
	s_wait_alu 0xfffd
	v_add_co_ci_u32_e64 v66, null, s9, v7, vcc_lo
	v_add_co_u32 v67, vcc_lo, s10, v6
	v_add3_u32 v9, v9, v13, v12
	s_wait_alu 0xfffd
	v_add_co_ci_u32_e64 v68, null, s11, v7, vcc_lo
	v_add_co_u32 v12, vcc_lo, v4, 23
	v_add3_u32 v11, v11, v15, v14
	s_wait_alu 0xfffd
	v_add_co_ci_u32_e64 v13, null, 0, v5, vcc_lo
	v_lshlrev_b64_e32 v[6:7], 1, v[8:9]
	v_mul_lo_u32 v14, s7, v12
	v_lshlrev_b64_e32 v[8:9], 1, v[10:11]
	s_delay_alu instid0(VALU_DEP_4)
	v_mul_lo_u32 v13, s6, v13
	v_mad_co_u64_u32 v[10:11], null, s6, v12, 0
	v_add_co_u32 v69, vcc_lo, s8, v6
	s_wait_alu 0xfffd
	v_add_co_ci_u32_e64 v70, null, s9, v7, vcc_lo
	v_add_co_u32 v71, vcc_lo, s10, v6
	s_delay_alu instid0(VALU_DEP_4)
	v_add3_u32 v11, v11, v13, v14
	s_wait_alu 0xfffd
	v_add_co_ci_u32_e64 v72, null, s11, v7, vcc_lo
	v_add_co_u32 v73, vcc_lo, s8, v8
	s_wait_alu 0xfffd
	v_add_co_ci_u32_e64 v74, null, s9, v9, vcc_lo
	v_add_co_u32 v12, vcc_lo, v4, 22
	v_add_co_u32 v75, s3, s10, v8
	v_lshlrev_b64_e32 v[6:7], 1, v[10:11]
	s_wait_alu 0xfffd
	v_add_co_ci_u32_e64 v8, null, 0, v5, vcc_lo
	v_add_co_u32 v10, vcc_lo, v4, 21
	s_wait_alu 0xfffd
	v_add_co_ci_u32_e64 v11, null, 0, v5, vcc_lo
	s_wait_alu 0xf1ff
	v_add_co_ci_u32_e64 v76, null, s11, v9, s3
	v_mul_lo_u32 v13, s7, v12
	v_mul_lo_u32 v14, s6, v8
	v_mad_co_u64_u32 v[8:9], null, s6, v12, 0
	v_mul_lo_u32 v12, s7, v10
	v_mul_lo_u32 v15, s6, v11
	v_mad_co_u64_u32 v[10:11], null, s6, v10, 0
	v_add_co_u32 v77, vcc_lo, s8, v6
	s_wait_alu 0xfffd
	v_add_co_ci_u32_e64 v78, null, s9, v7, vcc_lo
	v_add_co_u32 v79, vcc_lo, s10, v6
	s_wait_alu 0xfffd
	v_add_co_ci_u32_e64 v80, null, s11, v7, vcc_lo
	v_add3_u32 v11, v11, v15, v12
	v_add_co_u32 v12, vcc_lo, v4, 20
	v_add3_u32 v9, v9, v14, v13
	s_wait_alu 0xfffd
	v_add_co_ci_u32_e64 v13, null, 0, v5, vcc_lo
	s_delay_alu instid0(VALU_DEP_3) | instskip(NEXT) | instid1(VALU_DEP_3)
	v_mul_lo_u32 v14, s7, v12
	v_lshlrev_b64_e32 v[6:7], 1, v[8:9]
	v_lshlrev_b64_e32 v[8:9], 1, v[10:11]
	s_delay_alu instid0(VALU_DEP_4) | instskip(SKIP_1) | instid1(VALU_DEP_4)
	v_mul_lo_u32 v13, s6, v13
	v_mad_co_u64_u32 v[10:11], null, s6, v12, 0
	v_add_co_u32 v81, vcc_lo, s8, v6
	s_wait_alu 0xfffd
	v_add_co_ci_u32_e64 v82, null, s9, v7, vcc_lo
	v_add_co_u32 v83, vcc_lo, s10, v6
	s_delay_alu instid0(VALU_DEP_4)
	v_add3_u32 v11, v11, v13, v14
	s_wait_alu 0xfffd
	v_add_co_ci_u32_e64 v84, null, s11, v7, vcc_lo
	v_add_co_u32 v85, vcc_lo, s8, v8
	s_wait_alu 0xfffd
	v_add_co_ci_u32_e64 v86, null, s9, v9, vcc_lo
	v_add_co_u32 v12, vcc_lo, v4, 19
	v_add_co_u32 v87, s3, s10, v8
	v_lshlrev_b64_e32 v[6:7], 1, v[10:11]
	s_wait_alu 0xfffd
	v_add_co_ci_u32_e64 v8, null, 0, v5, vcc_lo
	v_add_co_u32 v10, vcc_lo, v4, 18
	s_wait_alu 0xfffd
	v_add_co_ci_u32_e64 v11, null, 0, v5, vcc_lo
	s_wait_alu 0xf1ff
	v_add_co_ci_u32_e64 v88, null, s11, v9, s3
	v_mul_lo_u32 v13, s7, v12
	v_mul_lo_u32 v14, s6, v8
	v_mad_co_u64_u32 v[8:9], null, s6, v12, 0
	v_mul_lo_u32 v12, s7, v10
	v_mul_lo_u32 v15, s6, v11
	v_mad_co_u64_u32 v[10:11], null, s6, v10, 0
	v_add_co_u32 v89, vcc_lo, s8, v6
	s_wait_alu 0xfffd
	v_add_co_ci_u32_e64 v90, null, s9, v7, vcc_lo
	v_add_co_u32 v91, vcc_lo, s10, v6
	s_wait_alu 0xfffd
	v_add_co_ci_u32_e64 v92, null, s11, v7, vcc_lo
	v_add3_u32 v11, v11, v15, v12
	v_add_co_u32 v12, vcc_lo, v4, 17
	v_add3_u32 v9, v9, v14, v13
	s_wait_alu 0xfffd
	v_add_co_ci_u32_e64 v13, null, 0, v5, vcc_lo
	s_delay_alu instid0(VALU_DEP_3) | instskip(NEXT) | instid1(VALU_DEP_3)
	v_mul_lo_u32 v14, s7, v12
	v_lshlrev_b64_e32 v[6:7], 1, v[8:9]
	v_lshlrev_b64_e32 v[8:9], 1, v[10:11]
	s_delay_alu instid0(VALU_DEP_4) | instskip(SKIP_1) | instid1(VALU_DEP_4)
	;; [unrolled: 45-line block ×4, first 2 shown]
	v_mul_lo_u32 v13, s6, v13
	v_mad_co_u64_u32 v[10:11], null, s6, v12, 0
	v_add_co_u32 v117, vcc_lo, s8, v6
	s_wait_alu 0xfffd
	v_add_co_ci_u32_e64 v118, null, s9, v7, vcc_lo
	v_add_co_u32 v119, vcc_lo, s10, v6
	s_delay_alu instid0(VALU_DEP_4)
	v_add3_u32 v11, v11, v13, v14
	s_wait_alu 0xfffd
	v_add_co_ci_u32_e64 v120, null, s11, v7, vcc_lo
	v_add_co_u32 v121, vcc_lo, s8, v8
	s_wait_alu 0xfffd
	v_add_co_ci_u32_e64 v122, null, s9, v9, vcc_lo
	v_add_co_u32 v12, vcc_lo, v4, 10
	v_add_co_u32 v123, s3, s10, v8
	v_lshlrev_b64_e32 v[6:7], 1, v[10:11]
	s_wait_alu 0xfffd
	v_add_co_ci_u32_e64 v8, null, 0, v5, vcc_lo
	v_add_co_u32 v10, vcc_lo, v4, 9
	s_wait_alu 0xfffd
	v_add_co_ci_u32_e64 v11, null, 0, v5, vcc_lo
	s_wait_alu 0xf1ff
	v_add_co_ci_u32_e64 v124, null, s11, v9, s3
	v_mul_lo_u32 v13, s7, v12
	v_mul_lo_u32 v14, s6, v8
	v_mad_co_u64_u32 v[8:9], null, s6, v12, 0
	v_mul_lo_u32 v12, s7, v10
	v_mul_lo_u32 v15, s6, v11
	v_mad_co_u64_u32 v[10:11], null, s6, v10, 0
	v_add_co_u32 v125, vcc_lo, s8, v6
	s_wait_alu 0xfffd
	v_add_co_ci_u32_e64 v126, null, s9, v7, vcc_lo
	v_add_co_u32 v127, vcc_lo, s10, v6
	v_add3_u32 v9, v9, v14, v13
	s_wait_alu 0xfffd
	v_add_co_ci_u32_e64 v128, null, s11, v7, vcc_lo
	v_add3_u32 v11, v11, v15, v12
	v_add_co_u32 v12, vcc_lo, v4, 8
	s_wait_alu 0xfffd
	v_add_co_ci_u32_e64 v13, null, 0, v5, vcc_lo
	v_lshlrev_b64_e32 v[6:7], 1, v[8:9]
	v_lshlrev_b64_e32 v[8:9], 1, v[10:11]
	v_mul_lo_u32 v14, s7, v12
	s_delay_alu instid0(VALU_DEP_4)
	v_mul_lo_u32 v13, s6, v13
	v_mad_co_u64_u32 v[10:11], null, s6, v12, 0
	v_add_co_u32 v129, vcc_lo, s8, v6
	s_wait_alu 0xfffd
	v_add_co_ci_u32_e64 v130, null, s9, v7, vcc_lo
	v_add_co_u32 v131, vcc_lo, s10, v6
	s_wait_alu 0xfffd
	v_add_co_ci_u32_e64 v132, null, s11, v7, vcc_lo
	v_add_co_u32 v133, vcc_lo, s8, v8
	v_add3_u32 v11, v11, v13, v14
	s_wait_alu 0xfffd
	v_add_co_ci_u32_e64 v134, null, s9, v9, vcc_lo
	v_add_co_u32 v12, vcc_lo, v4, 7
	v_add_co_u32 v135, s3, s10, v8
	s_wait_alu 0xfffd
	v_add_co_ci_u32_e64 v8, null, 0, v5, vcc_lo
	v_lshlrev_b64_e32 v[6:7], 1, v[10:11]
	v_add_co_u32 v10, vcc_lo, v4, 6
	s_wait_alu 0xfffd
	v_add_co_ci_u32_e64 v11, null, 0, v5, vcc_lo
	s_wait_alu 0xf1ff
	v_add_co_ci_u32_e64 v136, null, s11, v9, s3
	v_mul_lo_u32 v13, s7, v12
	v_mul_lo_u32 v14, s6, v8
	v_mad_co_u64_u32 v[8:9], null, s6, v12, 0
	v_mul_lo_u32 v12, s7, v10
	v_mul_lo_u32 v15, s6, v11
	v_mad_co_u64_u32 v[10:11], null, s6, v10, 0
	v_add_co_u32 v137, vcc_lo, s8, v6
	v_add3_u32 v9, v9, v14, v13
	s_wait_alu 0xfffd
	v_add_co_ci_u32_e64 v138, null, s9, v7, vcc_lo
	v_add_co_u32 v139, vcc_lo, s10, v6
	s_wait_alu 0xfffd
	v_add_co_ci_u32_e64 v140, null, s11, v7, vcc_lo
	v_add3_u32 v11, v11, v15, v12
	v_add_co_u32 v12, vcc_lo, v4, 5
	v_lshlrev_b64_e32 v[6:7], 1, v[8:9]
	s_wait_alu 0xfffd
	v_add_co_ci_u32_e64 v13, null, 0, v5, vcc_lo
	v_lshlrev_b64_e32 v[8:9], 1, v[10:11]
	v_mul_lo_u32 v14, s7, v12
	v_mad_co_u64_u32 v[10:11], null, s6, v12, 0
	v_add_co_u32 v141, vcc_lo, s8, v6
	v_mul_lo_u32 v13, s6, v13
	s_wait_alu 0xfffd
	v_add_co_ci_u32_e64 v142, null, s9, v7, vcc_lo
	v_add_co_u32 v143, vcc_lo, s10, v6
	s_wait_alu 0xfffd
	v_add_co_ci_u32_e64 v144, null, s11, v7, vcc_lo
	v_add_co_u32 v145, vcc_lo, s8, v8
	s_wait_alu 0xfffd
	v_add_co_ci_u32_e64 v146, null, s9, v9, vcc_lo
	v_add_co_u32 v12, vcc_lo, v4, 4
	v_add3_u32 v11, v11, v13, v14
	v_add_co_u32 v147, s3, s10, v8
	s_wait_alu 0xfffd
	v_add_co_ci_u32_e64 v8, null, 0, v5, vcc_lo
	s_wait_alu 0xf1ff
	v_add_co_ci_u32_e64 v148, null, s11, v9, s3
	v_lshlrev_b64_e32 v[6:7], 1, v[10:11]
	v_mul_lo_u32 v13, s7, v12
	v_add_co_u32 v10, vcc_lo, v4, 3
	v_mul_lo_u32 v14, s6, v8
	v_mad_co_u64_u32 v[8:9], null, s6, v12, 0
	s_wait_alu 0xfffd
	v_add_co_ci_u32_e64 v11, null, 0, v5, vcc_lo
	v_mul_lo_u32 v12, s7, v10
	v_add_co_u32 v149, vcc_lo, s8, v6
	s_delay_alu instid0(VALU_DEP_3)
	v_mul_lo_u32 v15, s6, v11
	v_mad_co_u64_u32 v[10:11], null, s6, v10, 0
	v_add3_u32 v9, v9, v14, v13
	s_wait_alu 0xfffd
	v_add_co_ci_u32_e64 v150, null, s9, v7, vcc_lo
	v_add_co_u32 v151, vcc_lo, s10, v6
	s_wait_alu 0xfffd
	v_add_co_ci_u32_e64 v152, null, s11, v7, vcc_lo
	v_lshlrev_b64_e32 v[6:7], 1, v[8:9]
	v_add_co_u32 v8, vcc_lo, v4, 2
	v_add3_u32 v11, v11, v15, v12
	s_wait_alu 0xfffd
	v_add_co_ci_u32_e64 v9, null, 0, v5, vcc_lo
	s_delay_alu instid0(VALU_DEP_4) | instskip(NEXT) | instid1(VALU_DEP_3)
	v_add_co_u32 v153, vcc_lo, s8, v6
	v_lshlrev_b64_e32 v[4:5], 1, v[10:11]
	v_mul_lo_u32 v10, s7, v8
	s_delay_alu instid0(VALU_DEP_4)
	v_mul_lo_u32 v11, s6, v9
	v_mad_co_u64_u32 v[8:9], null, s6, v8, 0
	s_wait_alu 0xfffd
	v_add_co_ci_u32_e64 v154, null, s9, v7, vcc_lo
	v_add_co_u32 v155, vcc_lo, s10, v6
	s_wait_alu 0xfffd
	v_add_co_ci_u32_e64 v156, null, s11, v7, vcc_lo
	v_add_co_u32 v157, vcc_lo, s8, v4
	s_wait_alu 0xfffd
	v_add_co_ci_u32_e64 v158, null, s9, v5, vcc_lo
	v_add3_u32 v9, v9, v11, v10
	v_add_co_u32 v159, vcc_lo, s10, v4
	s_wait_alu 0xfffd
	v_add_co_ci_u32_e64 v160, null, s11, v5, vcc_lo
	v_add_co_u32 v2, vcc_lo, v2, s6
	s_wait_alu 0xfffd
	v_add_co_ci_u32_e64 v3, null, s7, v3, vcc_lo
	v_lshlrev_b64_e32 v[4:5], 1, v[8:9]
	s_delay_alu instid0(VALU_DEP_2) | instskip(NEXT) | instid1(VALU_DEP_2)
	v_lshlrev_b64_e32 v[2:3], 1, v[2:3]
	v_add_co_u32 v161, vcc_lo, s8, v4
	s_wait_alu 0xfffd
	s_delay_alu instid0(VALU_DEP_3)
	v_add_co_ci_u32_e64 v162, null, s9, v5, vcc_lo
	v_add_co_u32 v163, vcc_lo, s10, v4
	s_wait_alu 0xfffd
	v_add_co_ci_u32_e64 v164, null, s11, v5, vcc_lo
	v_add_co_u32 v165, vcc_lo, s8, v2
	s_wait_alu 0xfffd
	;; [unrolled: 3-line block ×3, first 2 shown]
	v_add_co_ci_u32_e64 v168, null, s11, v3, vcc_lo
.LBB74_3:                               ; =>This Inner Loop Header: Depth=1
	s_add_nc_u64 s[34:35], s[16:17], s[26:27]
	v_add_co_u32 v36, vcc_lo, s16, v39
	s_wait_alu 0xfffe
	v_cmp_ge_i64_e64 s3, s[34:35], s[4:5]
	s_wait_alu 0xfffd
	v_add_co_ci_u32_e64 v37, null, 0, v41, vcc_lo
                                        ; implicit-def: $vgpr2_vgpr3_vgpr4_vgpr5_vgpr6_vgpr7_vgpr8_vgpr9_vgpr10_vgpr11_vgpr12_vgpr13_vgpr14_vgpr15_vgpr16_vgpr17_vgpr18_vgpr19_vgpr20_vgpr21_vgpr22_vgpr23_vgpr24_vgpr25_vgpr26_vgpr27_vgpr28_vgpr29_vgpr30_vgpr31_vgpr32_vgpr33
                                        ; implicit-def: $vgpr171
                                        ; implicit-def: $vgpr188
                                        ; implicit-def: $vgpr2
                                        ; implicit-def: $vgpr203
                                        ; implicit-def: $vgpr3
	s_and_b32 vcc_lo, exec_lo, s3
	s_mov_b32 s3, -1
	s_wait_alu 0xfffe
	s_cbranch_vccz .LBB74_71
; %bb.4:                                ;   in Loop: Header=BB74_3 Depth=1
	s_load_b32 s3, s[20:21], 0xc
	v_mov_b32_e32 v172, 0
	v_dual_mov_b32 v170, 0 :: v_dual_mov_b32 v171, 0
	s_wait_kmcnt 0x0
	s_and_b32 s3, s3, 0xffff
	s_wait_alu 0xfffe
	v_mad_u32_u24 v2, v38, s3, v40
	s_mov_b32 s3, exec_lo
	s_delay_alu instid0(VALU_DEP_1) | instskip(NEXT) | instid1(VALU_DEP_1)
	v_and_b32_e32 v2, 31, v2
	v_add_co_u32 v2, vcc_lo, v36, v2
	s_wait_alu 0xfffd
	v_add_co_ci_u32_e64 v3, null, 0, v37, vcc_lo
	s_delay_alu instid0(VALU_DEP_1)
	v_cmpx_gt_i64_e64 s[4:5], v[2:3]
	s_cbranch_execz .LBB74_6
; %bb.5:                                ;   in Loop: Header=BB74_3 Depth=1
	v_lshlrev_b64_e32 v[2:3], 2, v[2:3]
	s_delay_alu instid0(VALU_DEP_1) | instskip(SKIP_1) | instid1(VALU_DEP_2)
	v_add_co_u32 v4, vcc_lo, s12, v2
	s_wait_alu 0xfffd
	v_add_co_ci_u32_e64 v5, null, s13, v3, vcc_lo
	v_add_co_u32 v2, vcc_lo, s14, v2
	s_wait_alu 0xfffd
	v_add_co_ci_u32_e64 v3, null, s15, v3, vcc_lo
	global_load_b32 v170, v[4:5], off
	global_load_b32 v171, v[2:3], off
.LBB74_6:                               ;   in Loop: Header=BB74_3 Depth=1
	s_wait_alu 0xfffe
	s_or_b32 exec_lo, exec_lo, s3
	v_mov_b32_e32 v32, v1
	v_cmp_gt_i64_e32 vcc_lo, s[4:5], v[36:37]
	v_dual_mov_b32 v2, v1 :: v_dual_mov_b32 v3, v1
	v_dual_mov_b32 v4, v1 :: v_dual_mov_b32 v5, v1
	;; [unrolled: 1-line block ×15, first 2 shown]
	v_mov_b32_e32 v33, v32
	s_delay_alu instid0(VALU_DEP_2) | instskip(NEXT) | instid1(VALU_DEP_3)
	v_mov_b32_e32 v32, v31
	v_mov_b32_e32 v31, v30
	;; [unrolled: 1-line block ×31, first 2 shown]
	s_and_b32 s18, s2, vcc_lo
	s_delay_alu instid0(SALU_CYCLE_1)
	s_and_saveexec_b32 s3, s18
	s_cbranch_execz .LBB74_8
; %bb.7:                                ;   in Loop: Header=BB74_3 Depth=1
	v_add_co_u32 v2, vcc_lo, v42, v34
	s_wait_alu 0xfffd
	v_add_co_ci_u32_e64 v3, null, v43, v35, vcc_lo
	v_add_co_u32 v4, vcc_lo, v44, v34
	s_wait_alu 0xfffd
	v_add_co_ci_u32_e64 v5, null, v45, v35, vcc_lo
	global_load_u16 v2, v[2:3], off
	global_load_u16 v172, v[4:5], off
	v_dual_mov_b32 v3, v1 :: v_dual_mov_b32 v4, v1
	v_dual_mov_b32 v5, v1 :: v_dual_mov_b32 v6, v1
	;; [unrolled: 1-line block ×15, first 2 shown]
	v_mov_b32_e32 v33, v1
	s_wait_loadcnt 0x1
	v_cvt_f32_f16_e32 v2, v2
	s_wait_loadcnt 0x0
	v_cvt_f32_f16_e64 v172, v172
.LBB74_8:                               ;   in Loop: Header=BB74_3 Depth=1
	s_wait_alu 0xfffe
	s_or_b32 exec_lo, exec_lo, s3
	v_add_co_u32 v173, vcc_lo, v36, 1
	s_wait_alu 0xfffd
	v_add_co_ci_u32_e64 v174, null, 0, v37, vcc_lo
	s_delay_alu instid0(VALU_DEP_1) | instskip(SKIP_2) | instid1(SALU_CYCLE_1)
	v_cmp_gt_i64_e32 vcc_lo, s[4:5], v[173:174]
	v_dual_mov_b32 v173, 0 :: v_dual_mov_b32 v174, 0
	s_and_b32 s18, s2, vcc_lo
	s_and_saveexec_b32 s3, s18
	s_cbranch_execz .LBB74_10
; %bb.9:                                ;   in Loop: Header=BB74_3 Depth=1
	v_add_co_u32 v174, vcc_lo, v165, v34
	s_wait_alu 0xfffd
	v_add_co_ci_u32_e64 v175, null, v166, v35, vcc_lo
	v_add_co_u32 v176, vcc_lo, v167, v34
	s_wait_alu 0xfffd
	v_add_co_ci_u32_e64 v177, null, v168, v35, vcc_lo
	global_load_u16 v3, v[174:175], off
	global_load_u16 v174, v[176:177], off
	s_wait_loadcnt 0x1
	v_cvt_f32_f16_e32 v3, v3
	s_wait_loadcnt 0x0
	v_cvt_f32_f16_e64 v174, v174
.LBB74_10:                              ;   in Loop: Header=BB74_3 Depth=1
	s_wait_alu 0xfffe
	s_or_b32 exec_lo, exec_lo, s3
	v_add_co_u32 v175, vcc_lo, v36, 2
	s_wait_alu 0xfffd
	v_add_co_ci_u32_e64 v176, null, 0, v37, vcc_lo
	s_delay_alu instid0(VALU_DEP_1) | instskip(SKIP_1) | instid1(SALU_CYCLE_1)
	v_cmp_gt_i64_e32 vcc_lo, s[4:5], v[175:176]
	s_and_b32 s18, s2, vcc_lo
	s_and_saveexec_b32 s3, s18
	s_cbranch_execz .LBB74_12
; %bb.11:                               ;   in Loop: Header=BB74_3 Depth=1
	v_add_co_u32 v175, vcc_lo, v161, v34
	s_wait_alu 0xfffd
	v_add_co_ci_u32_e64 v176, null, v162, v35, vcc_lo
	v_add_co_u32 v177, vcc_lo, v163, v34
	s_wait_alu 0xfffd
	v_add_co_ci_u32_e64 v178, null, v164, v35, vcc_lo
	global_load_u16 v4, v[175:176], off
	global_load_u16 v173, v[177:178], off
	s_wait_loadcnt 0x1
	v_cvt_f32_f16_e32 v4, v4
	s_wait_loadcnt 0x0
	v_cvt_f32_f16_e64 v173, v173
.LBB74_12:                              ;   in Loop: Header=BB74_3 Depth=1
	s_wait_alu 0xfffe
	s_or_b32 exec_lo, exec_lo, s3
	v_add_co_u32 v175, vcc_lo, v36, 3
	s_wait_alu 0xfffd
	v_add_co_ci_u32_e64 v176, null, 0, v37, vcc_lo
	s_delay_alu instid0(VALU_DEP_1) | instskip(SKIP_2) | instid1(SALU_CYCLE_1)
	v_cmp_gt_i64_e32 vcc_lo, s[4:5], v[175:176]
	v_dual_mov_b32 v175, 0 :: v_dual_mov_b32 v176, 0
	s_and_b32 s18, s2, vcc_lo
	s_and_saveexec_b32 s3, s18
	s_cbranch_execz .LBB74_14
; %bb.13:                               ;   in Loop: Header=BB74_3 Depth=1
	v_add_co_u32 v176, vcc_lo, v157, v34
	s_wait_alu 0xfffd
	v_add_co_ci_u32_e64 v177, null, v158, v35, vcc_lo
	v_add_co_u32 v178, vcc_lo, v159, v34
	s_wait_alu 0xfffd
	v_add_co_ci_u32_e64 v179, null, v160, v35, vcc_lo
	global_load_u16 v5, v[176:177], off
	global_load_u16 v176, v[178:179], off
	s_wait_loadcnt 0x1
	v_cvt_f32_f16_e32 v5, v5
	s_wait_loadcnt 0x0
	v_cvt_f32_f16_e64 v176, v176
.LBB74_14:                              ;   in Loop: Header=BB74_3 Depth=1
	s_wait_alu 0xfffe
	s_or_b32 exec_lo, exec_lo, s3
	v_add_co_u32 v177, vcc_lo, v36, 4
	s_wait_alu 0xfffd
	v_add_co_ci_u32_e64 v178, null, 0, v37, vcc_lo
	s_delay_alu instid0(VALU_DEP_1) | instskip(SKIP_1) | instid1(SALU_CYCLE_1)
	v_cmp_gt_i64_e32 vcc_lo, s[4:5], v[177:178]
	s_and_b32 s18, s2, vcc_lo
	s_and_saveexec_b32 s3, s18
	s_cbranch_execz .LBB74_16
; %bb.15:                               ;   in Loop: Header=BB74_3 Depth=1
	v_add_co_u32 v177, vcc_lo, v153, v34
	s_wait_alu 0xfffd
	v_add_co_ci_u32_e64 v178, null, v154, v35, vcc_lo
	v_add_co_u32 v179, vcc_lo, v155, v34
	s_wait_alu 0xfffd
	v_add_co_ci_u32_e64 v180, null, v156, v35, vcc_lo
	global_load_u16 v6, v[177:178], off
	global_load_u16 v175, v[179:180], off
	s_wait_loadcnt 0x1
	v_cvt_f32_f16_e32 v6, v6
	s_wait_loadcnt 0x0
	v_cvt_f32_f16_e64 v175, v175
.LBB74_16:                              ;   in Loop: Header=BB74_3 Depth=1
	s_wait_alu 0xfffe
	s_or_b32 exec_lo, exec_lo, s3
	v_add_co_u32 v177, vcc_lo, v36, 5
	s_wait_alu 0xfffd
	v_add_co_ci_u32_e64 v178, null, 0, v37, vcc_lo
	s_delay_alu instid0(VALU_DEP_1) | instskip(SKIP_2) | instid1(SALU_CYCLE_1)
	v_cmp_gt_i64_e32 vcc_lo, s[4:5], v[177:178]
	v_dual_mov_b32 v177, 0 :: v_dual_mov_b32 v178, 0
	s_and_b32 s18, s2, vcc_lo
	s_and_saveexec_b32 s3, s18
	s_cbranch_execz .LBB74_18
; %bb.17:                               ;   in Loop: Header=BB74_3 Depth=1
	v_add_co_u32 v178, vcc_lo, v149, v34
	s_wait_alu 0xfffd
	v_add_co_ci_u32_e64 v179, null, v150, v35, vcc_lo
	v_add_co_u32 v180, vcc_lo, v151, v34
	s_wait_alu 0xfffd
	v_add_co_ci_u32_e64 v181, null, v152, v35, vcc_lo
	global_load_u16 v7, v[178:179], off
	global_load_u16 v178, v[180:181], off
	s_wait_loadcnt 0x1
	v_cvt_f32_f16_e32 v7, v7
	s_wait_loadcnt 0x0
	v_cvt_f32_f16_e64 v178, v178
.LBB74_18:                              ;   in Loop: Header=BB74_3 Depth=1
	;; [unrolled: 49-line block ×6, first 2 shown]
	s_wait_alu 0xfffe
	s_or_b32 exec_lo, exec_lo, s3
	v_add_co_u32 v187, vcc_lo, v36, 14
	s_wait_alu 0xfffd
	v_add_co_ci_u32_e64 v188, null, 0, v37, vcc_lo
	s_delay_alu instid0(VALU_DEP_1) | instskip(SKIP_1) | instid1(SALU_CYCLE_1)
	v_cmp_gt_i64_e32 vcc_lo, s[4:5], v[187:188]
	s_and_b32 s18, s2, vcc_lo
	s_and_saveexec_b32 s3, s18
	s_cbranch_execz .LBB74_36
; %bb.35:                               ;   in Loop: Header=BB74_3 Depth=1
	v_add_co_u32 v187, vcc_lo, v113, v34
	s_wait_alu 0xfffd
	v_add_co_ci_u32_e64 v188, null, v114, v35, vcc_lo
	v_add_co_u32 v189, vcc_lo, v115, v34
	s_wait_alu 0xfffd
	v_add_co_ci_u32_e64 v190, null, v116, v35, vcc_lo
	global_load_u16 v16, v[187:188], off
	global_load_u16 v185, v[189:190], off
	s_wait_loadcnt 0x1
	v_cvt_f32_f16_e32 v16, v16
	s_wait_loadcnt 0x0
	v_cvt_f32_f16_e64 v185, v185
.LBB74_36:                              ;   in Loop: Header=BB74_3 Depth=1
	s_wait_alu 0xfffe
	s_or_b32 exec_lo, exec_lo, s3
	v_add_co_u32 v187, vcc_lo, v36, 15
	s_wait_alu 0xfffd
	v_add_co_ci_u32_e64 v188, null, 0, v37, vcc_lo
	v_mov_b32_e32 v189, 0
	s_delay_alu instid0(VALU_DEP_2) | instskip(SKIP_2) | instid1(SALU_CYCLE_1)
	v_cmp_gt_i64_e32 vcc_lo, s[4:5], v[187:188]
	v_mov_b32_e32 v187, 0
	s_and_b32 s18, s2, vcc_lo
	s_and_saveexec_b32 s3, s18
	s_cbranch_execz .LBB74_38
; %bb.37:                               ;   in Loop: Header=BB74_3 Depth=1
	v_add_co_u32 v188, vcc_lo, v109, v34
	s_wait_alu 0xfffd
	v_add_co_ci_u32_e64 v189, null, v110, v35, vcc_lo
	v_add_co_u32 v190, vcc_lo, v111, v34
	s_wait_alu 0xfffd
	v_add_co_ci_u32_e64 v191, null, v112, v35, vcc_lo
	global_load_u16 v17, v[188:189], off
	global_load_u16 v188, v[190:191], off
	s_wait_loadcnt 0x1
	v_cvt_f32_f16_e32 v17, v17
	s_wait_loadcnt 0x0
	v_cvt_f32_f16_e64 v189, v188
.LBB74_38:                              ;   in Loop: Header=BB74_3 Depth=1
	s_wait_alu 0xfffe
	s_or_b32 exec_lo, exec_lo, s3
	v_add_co_u32 v190, vcc_lo, v36, 16
	s_wait_alu 0xfffd
	v_add_co_ci_u32_e64 v191, null, 0, v37, vcc_lo
	s_delay_alu instid0(VALU_DEP_1) | instskip(SKIP_1) | instid1(SALU_CYCLE_1)
	v_cmp_gt_i64_e32 vcc_lo, s[4:5], v[190:191]
	s_and_b32 s18, s2, vcc_lo
	s_and_saveexec_b32 s3, s18
	s_cbranch_execz .LBB74_40
; %bb.39:                               ;   in Loop: Header=BB74_3 Depth=1
	v_add_co_u32 v187, vcc_lo, v105, v34
	s_wait_alu 0xfffd
	v_add_co_ci_u32_e64 v188, null, v106, v35, vcc_lo
	v_add_co_u32 v190, vcc_lo, v107, v34
	s_wait_alu 0xfffd
	v_add_co_ci_u32_e64 v191, null, v108, v35, vcc_lo
	global_load_u16 v18, v[187:188], off
	global_load_u16 v187, v[190:191], off
	s_wait_loadcnt 0x1
	v_cvt_f32_f16_e32 v18, v18
	s_wait_loadcnt 0x0
	v_cvt_f32_f16_e64 v187, v187
.LBB74_40:                              ;   in Loop: Header=BB74_3 Depth=1
	s_wait_alu 0xfffe
	s_or_b32 exec_lo, exec_lo, s3
	v_add_co_u32 v190, vcc_lo, v36, 17
	s_wait_alu 0xfffd
	v_add_co_ci_u32_e64 v191, null, 0, v37, vcc_lo
	s_delay_alu instid0(VALU_DEP_1) | instskip(SKIP_2) | instid1(SALU_CYCLE_1)
	v_cmp_gt_i64_e32 vcc_lo, s[4:5], v[190:191]
	v_dual_mov_b32 v190, 0 :: v_dual_mov_b32 v191, 0
	s_and_b32 s18, s2, vcc_lo
	s_and_saveexec_b32 s3, s18
	s_cbranch_execz .LBB74_42
; %bb.41:                               ;   in Loop: Header=BB74_3 Depth=1
	v_add_co_u32 v191, vcc_lo, v101, v34
	s_wait_alu 0xfffd
	v_add_co_ci_u32_e64 v192, null, v102, v35, vcc_lo
	v_add_co_u32 v193, vcc_lo, v103, v34
	s_wait_alu 0xfffd
	v_add_co_ci_u32_e64 v194, null, v104, v35, vcc_lo
	global_load_u16 v19, v[191:192], off
	global_load_u16 v188, v[193:194], off
	s_wait_loadcnt 0x1
	v_cvt_f32_f16_e32 v19, v19
	s_wait_loadcnt 0x0
	v_cvt_f32_f16_e64 v191, v188
.LBB74_42:                              ;   in Loop: Header=BB74_3 Depth=1
	s_wait_alu 0xfffe
	s_or_b32 exec_lo, exec_lo, s3
	v_add_co_u32 v192, vcc_lo, v36, 18
	s_wait_alu 0xfffd
	v_add_co_ci_u32_e64 v193, null, 0, v37, vcc_lo
	s_delay_alu instid0(VALU_DEP_1) | instskip(SKIP_1) | instid1(SALU_CYCLE_1)
	v_cmp_gt_i64_e32 vcc_lo, s[4:5], v[192:193]
	s_and_b32 s18, s2, vcc_lo
	s_and_saveexec_b32 s3, s18
	s_cbranch_execz .LBB74_44
; %bb.43:                               ;   in Loop: Header=BB74_3 Depth=1
	v_add_co_u32 v192, vcc_lo, v97, v34
	s_wait_alu 0xfffd
	v_add_co_ci_u32_e64 v193, null, v98, v35, vcc_lo
	v_add_co_u32 v194, vcc_lo, v99, v34
	s_wait_alu 0xfffd
	v_add_co_ci_u32_e64 v195, null, v100, v35, vcc_lo
	global_load_u16 v20, v[192:193], off
	global_load_u16 v188, v[194:195], off
	s_wait_loadcnt 0x1
	v_cvt_f32_f16_e32 v20, v20
	s_wait_loadcnt 0x0
	v_cvt_f32_f16_e64 v190, v188
.LBB74_44:                              ;   in Loop: Header=BB74_3 Depth=1
	s_wait_alu 0xfffe
	s_or_b32 exec_lo, exec_lo, s3
	v_add_co_u32 v192, vcc_lo, v36, 19
	s_wait_alu 0xfffd
	v_add_co_ci_u32_e64 v193, null, 0, v37, vcc_lo
	s_delay_alu instid0(VALU_DEP_1) | instskip(SKIP_2) | instid1(SALU_CYCLE_1)
	v_cmp_gt_i64_e32 vcc_lo, s[4:5], v[192:193]
	v_dual_mov_b32 v192, 0 :: v_dual_mov_b32 v193, 0
	s_and_b32 s18, s2, vcc_lo
	s_and_saveexec_b32 s3, s18
	s_cbranch_execz .LBB74_46
; %bb.45:                               ;   in Loop: Header=BB74_3 Depth=1
	v_add_co_u32 v193, vcc_lo, v93, v34
	s_wait_alu 0xfffd
	v_add_co_ci_u32_e64 v194, null, v94, v35, vcc_lo
	v_add_co_u32 v195, vcc_lo, v95, v34
	s_wait_alu 0xfffd
	v_add_co_ci_u32_e64 v196, null, v96, v35, vcc_lo
	global_load_u16 v21, v[193:194], off
	global_load_u16 v188, v[195:196], off
	s_wait_loadcnt 0x1
	v_cvt_f32_f16_e32 v21, v21
	s_wait_loadcnt 0x0
	v_cvt_f32_f16_e64 v193, v188
.LBB74_46:                              ;   in Loop: Header=BB74_3 Depth=1
	s_wait_alu 0xfffe
	s_or_b32 exec_lo, exec_lo, s3
	v_add_co_u32 v194, vcc_lo, v36, 20
	s_wait_alu 0xfffd
	v_add_co_ci_u32_e64 v195, null, 0, v37, vcc_lo
	s_delay_alu instid0(VALU_DEP_1) | instskip(SKIP_1) | instid1(SALU_CYCLE_1)
	v_cmp_gt_i64_e32 vcc_lo, s[4:5], v[194:195]
	s_and_b32 s18, s2, vcc_lo
	s_and_saveexec_b32 s3, s18
	s_cbranch_execz .LBB74_48
; %bb.47:                               ;   in Loop: Header=BB74_3 Depth=1
	v_add_co_u32 v194, vcc_lo, v89, v34
	s_wait_alu 0xfffd
	v_add_co_ci_u32_e64 v195, null, v90, v35, vcc_lo
	v_add_co_u32 v196, vcc_lo, v91, v34
	s_wait_alu 0xfffd
	v_add_co_ci_u32_e64 v197, null, v92, v35, vcc_lo
	global_load_u16 v22, v[194:195], off
	global_load_u16 v188, v[196:197], off
	s_wait_loadcnt 0x1
	v_cvt_f32_f16_e32 v22, v22
	s_wait_loadcnt 0x0
	v_cvt_f32_f16_e64 v192, v188
.LBB74_48:                              ;   in Loop: Header=BB74_3 Depth=1
	s_wait_alu 0xfffe
	s_or_b32 exec_lo, exec_lo, s3
	v_add_co_u32 v194, vcc_lo, v36, 21
	s_wait_alu 0xfffd
	v_add_co_ci_u32_e64 v195, null, 0, v37, vcc_lo
	s_delay_alu instid0(VALU_DEP_1) | instskip(SKIP_2) | instid1(SALU_CYCLE_1)
	v_cmp_gt_i64_e32 vcc_lo, s[4:5], v[194:195]
	v_dual_mov_b32 v194, 0 :: v_dual_mov_b32 v195, 0
	s_and_b32 s18, s2, vcc_lo
	s_and_saveexec_b32 s3, s18
	s_cbranch_execz .LBB74_50
; %bb.49:                               ;   in Loop: Header=BB74_3 Depth=1
	v_add_co_u32 v195, vcc_lo, v85, v34
	s_wait_alu 0xfffd
	v_add_co_ci_u32_e64 v196, null, v86, v35, vcc_lo
	v_add_co_u32 v197, vcc_lo, v87, v34
	s_wait_alu 0xfffd
	v_add_co_ci_u32_e64 v198, null, v88, v35, vcc_lo
	global_load_u16 v23, v[195:196], off
	global_load_u16 v188, v[197:198], off
	s_wait_loadcnt 0x1
	v_cvt_f32_f16_e32 v23, v23
	s_wait_loadcnt 0x0
	v_cvt_f32_f16_e64 v195, v188
.LBB74_50:                              ;   in Loop: Header=BB74_3 Depth=1
	s_wait_alu 0xfffe
	s_or_b32 exec_lo, exec_lo, s3
	v_add_co_u32 v196, vcc_lo, v36, 22
	s_wait_alu 0xfffd
	v_add_co_ci_u32_e64 v197, null, 0, v37, vcc_lo
	s_delay_alu instid0(VALU_DEP_1) | instskip(SKIP_1) | instid1(SALU_CYCLE_1)
	v_cmp_gt_i64_e32 vcc_lo, s[4:5], v[196:197]
	s_and_b32 s18, s2, vcc_lo
	s_and_saveexec_b32 s3, s18
	s_cbranch_execz .LBB74_52
; %bb.51:                               ;   in Loop: Header=BB74_3 Depth=1
	v_add_co_u32 v196, vcc_lo, v81, v34
	s_wait_alu 0xfffd
	v_add_co_ci_u32_e64 v197, null, v82, v35, vcc_lo
	v_add_co_u32 v198, vcc_lo, v83, v34
	s_wait_alu 0xfffd
	v_add_co_ci_u32_e64 v199, null, v84, v35, vcc_lo
	global_load_u16 v24, v[196:197], off
	global_load_u16 v188, v[198:199], off
	s_wait_loadcnt 0x1
	v_cvt_f32_f16_e32 v24, v24
	s_wait_loadcnt 0x0
	v_cvt_f32_f16_e64 v194, v188
.LBB74_52:                              ;   in Loop: Header=BB74_3 Depth=1
	s_wait_alu 0xfffe
	s_or_b32 exec_lo, exec_lo, s3
	v_add_co_u32 v196, vcc_lo, v36, 23
	s_wait_alu 0xfffd
	v_add_co_ci_u32_e64 v197, null, 0, v37, vcc_lo
	s_delay_alu instid0(VALU_DEP_1) | instskip(SKIP_2) | instid1(SALU_CYCLE_1)
	v_cmp_gt_i64_e32 vcc_lo, s[4:5], v[196:197]
	v_dual_mov_b32 v196, 0 :: v_dual_mov_b32 v197, 0
	s_and_b32 s18, s2, vcc_lo
	s_and_saveexec_b32 s3, s18
	s_cbranch_execz .LBB74_54
; %bb.53:                               ;   in Loop: Header=BB74_3 Depth=1
	v_add_co_u32 v197, vcc_lo, v77, v34
	s_wait_alu 0xfffd
	v_add_co_ci_u32_e64 v198, null, v78, v35, vcc_lo
	v_add_co_u32 v199, vcc_lo, v79, v34
	s_wait_alu 0xfffd
	v_add_co_ci_u32_e64 v200, null, v80, v35, vcc_lo
	global_load_u16 v25, v[197:198], off
	global_load_u16 v188, v[199:200], off
	s_wait_loadcnt 0x1
	v_cvt_f32_f16_e32 v25, v25
	s_wait_loadcnt 0x0
	v_cvt_f32_f16_e64 v197, v188
.LBB74_54:                              ;   in Loop: Header=BB74_3 Depth=1
	s_wait_alu 0xfffe
	s_or_b32 exec_lo, exec_lo, s3
	v_add_co_u32 v198, vcc_lo, v36, 24
	s_wait_alu 0xfffd
	v_add_co_ci_u32_e64 v199, null, 0, v37, vcc_lo
	s_delay_alu instid0(VALU_DEP_1) | instskip(SKIP_1) | instid1(SALU_CYCLE_1)
	v_cmp_gt_i64_e32 vcc_lo, s[4:5], v[198:199]
	s_and_b32 s18, s2, vcc_lo
	s_and_saveexec_b32 s3, s18
	s_cbranch_execz .LBB74_56
; %bb.55:                               ;   in Loop: Header=BB74_3 Depth=1
	v_add_co_u32 v198, vcc_lo, v73, v34
	s_wait_alu 0xfffd
	v_add_co_ci_u32_e64 v199, null, v74, v35, vcc_lo
	v_add_co_u32 v202, vcc_lo, v75, v34
	s_wait_alu 0xfffd
	v_add_co_ci_u32_e64 v203, null, v76, v35, vcc_lo
	global_load_u16 v26, v[198:199], off
	global_load_u16 v188, v[202:203], off
	s_wait_loadcnt 0x1
	v_cvt_f32_f16_e32 v26, v26
	s_wait_loadcnt 0x0
	v_cvt_f32_f16_e64 v196, v188
.LBB74_56:                              ;   in Loop: Header=BB74_3 Depth=1
	s_wait_alu 0xfffe
	s_or_b32 exec_lo, exec_lo, s3
	v_add_co_u32 v198, vcc_lo, v36, 25
	s_wait_alu 0xfffd
	v_add_co_ci_u32_e64 v199, null, 0, v37, vcc_lo
	s_delay_alu instid0(VALU_DEP_1) | instskip(SKIP_2) | instid1(SALU_CYCLE_1)
	v_cmp_gt_i64_e32 vcc_lo, s[4:5], v[198:199]
	v_dual_mov_b32 v198, 0 :: v_dual_mov_b32 v199, 0
	s_and_b32 s18, s2, vcc_lo
	s_and_saveexec_b32 s3, s18
	s_cbranch_execz .LBB74_58
; %bb.57:                               ;   in Loop: Header=BB74_3 Depth=1
	v_add_co_u32 v199, vcc_lo, v69, v34
	s_wait_alu 0xfffd
	v_add_co_ci_u32_e64 v200, null, v70, v35, vcc_lo
	v_add_co_u32 v202, vcc_lo, v71, v34
	s_wait_alu 0xfffd
	v_add_co_ci_u32_e64 v203, null, v72, v35, vcc_lo
	global_load_u16 v27, v[199:200], off
	global_load_u16 v188, v[202:203], off
	s_wait_loadcnt 0x1
	v_cvt_f32_f16_e32 v27, v27
	s_wait_loadcnt 0x0
	v_cvt_f32_f16_e64 v199, v188
.LBB74_58:                              ;   in Loop: Header=BB74_3 Depth=1
	s_wait_alu 0xfffe
	s_or_b32 exec_lo, exec_lo, s3
	v_add_co_u32 v202, vcc_lo, v36, 26
	s_wait_alu 0xfffd
	v_add_co_ci_u32_e64 v203, null, 0, v37, vcc_lo
	s_delay_alu instid0(VALU_DEP_1) | instskip(SKIP_1) | instid1(SALU_CYCLE_1)
	v_cmp_gt_i64_e32 vcc_lo, s[4:5], v[202:203]
	s_and_b32 s18, s2, vcc_lo
	s_and_saveexec_b32 s3, s18
	s_cbranch_execz .LBB74_60
; %bb.59:                               ;   in Loop: Header=BB74_3 Depth=1
	v_add_co_u32 v202, vcc_lo, v0, v34
	s_wait_alu 0xfffd
	v_add_co_ci_u32_e64 v203, null, v66, v35, vcc_lo
	v_add_co_u32 v204, vcc_lo, v67, v34
	s_wait_alu 0xfffd
	v_add_co_ci_u32_e64 v205, null, v68, v35, vcc_lo
	global_load_u16 v28, v[202:203], off
	global_load_u16 v188, v[204:205], off
	s_wait_loadcnt 0x1
	v_cvt_f32_f16_e32 v28, v28
	s_wait_loadcnt 0x0
	v_cvt_f32_f16_e64 v198, v188
.LBB74_60:                              ;   in Loop: Header=BB74_3 Depth=1
	s_wait_alu 0xfffe
	s_or_b32 exec_lo, exec_lo, s3
	v_add_co_u32 v202, vcc_lo, v36, 27
	s_wait_alu 0xfffd
	v_add_co_ci_u32_e64 v203, null, 0, v37, vcc_lo
	v_mov_b32_e32 v200, 0
	s_delay_alu instid0(VALU_DEP_2) | instskip(SKIP_2) | instid1(SALU_CYCLE_1)
	v_cmp_gt_i64_e32 vcc_lo, s[4:5], v[202:203]
	v_mov_b32_e32 v202, 0
	s_and_b32 s18, s2, vcc_lo
	s_and_saveexec_b32 s3, s18
	s_cbranch_execz .LBB74_62
; %bb.61:                               ;   in Loop: Header=BB74_3 Depth=1
	v_add_co_u32 v202, vcc_lo, v62, v34
	s_wait_alu 0xfffd
	v_add_co_ci_u32_e64 v203, null, v63, v35, vcc_lo
	v_add_co_u32 v204, vcc_lo, v64, v34
	s_wait_alu 0xfffd
	v_add_co_ci_u32_e64 v205, null, v65, v35, vcc_lo
	global_load_u16 v29, v[202:203], off
	global_load_u16 v188, v[204:205], off
	s_wait_loadcnt 0x1
	v_cvt_f32_f16_e32 v29, v29
	s_wait_loadcnt 0x0
	v_cvt_f32_f16_e64 v202, v188
.LBB74_62:                              ;   in Loop: Header=BB74_3 Depth=1
	s_wait_alu 0xfffe
	s_or_b32 exec_lo, exec_lo, s3
	v_add_co_u32 v203, vcc_lo, v36, 28
	s_wait_alu 0xfffd
	v_add_co_ci_u32_e64 v204, null, 0, v37, vcc_lo
	s_delay_alu instid0(VALU_DEP_1) | instskip(SKIP_1) | instid1(SALU_CYCLE_1)
	v_cmp_gt_i64_e32 vcc_lo, s[4:5], v[203:204]
	s_and_b32 s18, s2, vcc_lo
	s_and_saveexec_b32 s3, s18
	s_cbranch_execz .LBB74_64
; %bb.63:                               ;   in Loop: Header=BB74_3 Depth=1
	v_add_co_u32 v203, vcc_lo, v58, v34
	s_wait_alu 0xfffd
	v_add_co_ci_u32_e64 v204, null, v59, v35, vcc_lo
	v_add_co_u32 v205, vcc_lo, v60, v34
	s_wait_alu 0xfffd
	v_add_co_ci_u32_e64 v206, null, v61, v35, vcc_lo
	global_load_u16 v30, v[203:204], off
	global_load_u16 v188, v[205:206], off
	s_wait_loadcnt 0x1
	v_cvt_f32_f16_e32 v30, v30
	s_wait_loadcnt 0x0
	v_cvt_f32_f16_e64 v200, v188
.LBB74_64:                              ;   in Loop: Header=BB74_3 Depth=1
	s_wait_alu 0xfffe
	s_or_b32 exec_lo, exec_lo, s3
	v_add_co_u32 v203, vcc_lo, v36, 29
	s_wait_alu 0xfffd
	v_add_co_ci_u32_e64 v204, null, 0, v37, vcc_lo
	v_mov_b32_e32 v205, 0
	s_delay_alu instid0(VALU_DEP_2) | instskip(SKIP_2) | instid1(SALU_CYCLE_1)
	v_cmp_gt_i64_e32 vcc_lo, s[4:5], v[203:204]
	v_mov_b32_e32 v204, 0
	s_and_b32 s18, s2, vcc_lo
	s_and_saveexec_b32 s3, s18
	s_cbranch_execz .LBB74_66
; %bb.65:                               ;   in Loop: Header=BB74_3 Depth=1
	v_add_co_u32 v205, vcc_lo, v54, v34
	s_wait_alu 0xfffd
	v_add_co_ci_u32_e64 v206, null, v55, v35, vcc_lo
	v_add_co_u32 v207, vcc_lo, v56, v34
	s_wait_alu 0xfffd
	v_add_co_ci_u32_e64 v208, null, v57, v35, vcc_lo
	global_load_u16 v31, v[205:206], off
	global_load_u16 v188, v[207:208], off
	s_wait_loadcnt 0x1
	v_cvt_f32_f16_e32 v31, v31
	s_wait_loadcnt 0x0
	v_cvt_f32_f16_e64 v205, v188
.LBB74_66:                              ;   in Loop: Header=BB74_3 Depth=1
	s_wait_alu 0xfffe
	s_or_b32 exec_lo, exec_lo, s3
	v_add_co_u32 v206, vcc_lo, v36, 30
	s_wait_alu 0xfffd
	v_add_co_ci_u32_e64 v207, null, 0, v37, vcc_lo
	s_delay_alu instid0(VALU_DEP_1) | instskip(SKIP_1) | instid1(SALU_CYCLE_1)
	v_cmp_gt_i64_e32 vcc_lo, s[4:5], v[206:207]
	s_and_b32 s18, s2, vcc_lo
	s_and_saveexec_b32 s3, s18
	s_cbranch_execz .LBB74_68
; %bb.67:                               ;   in Loop: Header=BB74_3 Depth=1
	v_add_co_u32 v203, vcc_lo, v50, v34
	s_wait_alu 0xfffd
	v_add_co_ci_u32_e64 v204, null, v51, v35, vcc_lo
	v_add_co_u32 v206, vcc_lo, v52, v34
	s_wait_alu 0xfffd
	v_add_co_ci_u32_e64 v207, null, v53, v35, vcc_lo
	global_load_u16 v32, v[203:204], off
	global_load_u16 v188, v[206:207], off
	s_wait_loadcnt 0x1
	v_cvt_f32_f16_e32 v32, v32
	s_wait_loadcnt 0x0
	v_cvt_f32_f16_e64 v204, v188
.LBB74_68:                              ;   in Loop: Header=BB74_3 Depth=1
	s_wait_alu 0xfffe
	s_or_b32 exec_lo, exec_lo, s3
	v_add_co_u32 v206, vcc_lo, v36, 31
	s_wait_alu 0xfffd
	v_add_co_ci_u32_e64 v207, null, 0, v37, vcc_lo
	v_mov_b32_e32 v188, 0
	s_delay_alu instid0(VALU_DEP_2) | instskip(SKIP_1) | instid1(SALU_CYCLE_1)
	v_cmp_gt_i64_e32 vcc_lo, s[4:5], v[206:207]
	s_and_b32 s18, s2, vcc_lo
	s_and_saveexec_b32 s3, s18
	s_cbranch_execz .LBB74_70
; %bb.69:                               ;   in Loop: Header=BB74_3 Depth=1
	v_add_co_u32 v206, vcc_lo, v46, v34
	s_wait_alu 0xfffd
	v_add_co_ci_u32_e64 v207, null, v47, v35, vcc_lo
	v_add_co_u32 v208, vcc_lo, v48, v34
	s_wait_alu 0xfffd
	v_add_co_ci_u32_e64 v209, null, v49, v35, vcc_lo
	global_load_u16 v33, v[206:207], off
	global_load_u16 v188, v[208:209], off
	s_wait_loadcnt 0x1
	v_cvt_f32_f16_e32 v33, v33
	s_wait_loadcnt 0x0
	v_cvt_f32_f16_e64 v188, v188
.LBB74_70:                              ;   in Loop: Header=BB74_3 Depth=1
	s_wait_alu 0xfffe
	s_or_b32 exec_lo, exec_lo, s3
	s_wait_loadcnt 0x1
	ds_bpermute_b32 v203, v1, v170
	ds_bpermute_b32 v209, v1, v170 offset:4
	s_wait_loadcnt 0x0
	ds_bpermute_b32 v206, v1, v171
	ds_bpermute_b32 v211, v1, v170 offset:8
	ds_bpermute_b32 v208, v1, v171 offset:4
	;; [unrolled: 1-line block ×4, first 2 shown]
	v_add_f32_e32 v207, v201, v2
	ds_bpermute_b32 v210, v1, v171 offset:8
	ds_bpermute_b32 v221, v1, v170 offset:28
	;; [unrolled: 1-line block ×12, first 2 shown]
	s_wait_dscnt 0x12
	v_sub_f32_e32 v172, v172, v203
	s_wait_dscnt 0x11
	v_sub_f32_e32 v174, v174, v209
	ds_bpermute_b32 v209, v1, v170 offset:44
	s_wait_dscnt 0x10
	v_sub_f32_e32 v173, v173, v211
	ds_bpermute_b32 v222, v1, v171 offset:32
	v_mul_f32_e32 v2, v2, v172
	v_mul_f32_e32 v174, v3, v174
	v_add_f32_e32 v3, v3, v207
	v_mul_f32_e32 v173, v4, v173
	ds_bpermute_b32 v224, v1, v171 offset:36
	v_fma_f32 v203, v2, v206, v169
	s_wait_dscnt 0x10
	v_sub_f32_e32 v176, v176, v213
	v_add_f32_e32 v3, v4, v3
	ds_bpermute_b32 v226, v1, v171 offset:40
	ds_bpermute_b32 v172, v1, v171 offset:44
	s_wait_dscnt 0x11
	v_dual_fmac_f32 v203, v174, v208 :: v_dual_sub_f32 v4, v175, v215
	v_mul_f32_e32 v175, v5, v176
	ds_bpermute_b32 v174, v1, v170 offset:48
	ds_bpermute_b32 v2, v1, v171 offset:48
	s_wait_dscnt 0x11
	v_dual_fmac_f32 v203, v173, v210 :: v_dual_sub_f32 v176, v180, v221
	v_dual_mul_f32 v4, v6, v4 :: v_dual_add_f32 v3, v5, v3
	s_wait_dscnt 0xf
	v_sub_f32_e32 v5, v178, v217
	s_delay_alu instid0(VALU_DEP_3)
	v_fmac_f32_e32 v203, v175, v212
	ds_bpermute_b32 v175, v1, v170 offset:52
	v_dual_mul_f32 v176, v9, v176 :: v_dual_add_f32 v3, v6, v3
	s_wait_dscnt 0xf
	v_dual_sub_f32 v6, v177, v219 :: v_dual_mul_f32 v5, v7, v5
	ds_bpermute_b32 v173, v1, v171 offset:52
	s_mov_b32 s3, 0
	v_dual_add_f32 v3, v7, v3 :: v_dual_mul_f32 v6, v8, v6
	s_wait_dscnt 0xe
	s_delay_alu instid0(VALU_DEP_1)
	v_dual_add_f32 v3, v8, v3 :: v_dual_sub_f32 v8, v182, v225
	v_fmac_f32_e32 v203, v4, v214
	ds_bpermute_b32 v4, v1, v171 offset:56
	v_dual_add_f32 v3, v9, v3 :: v_dual_mul_f32 v8, v11, v8
	s_wait_dscnt 0xe
	v_fmac_f32_e32 v203, v5, v216
	ds_bpermute_b32 v5, v1, v170 offset:56
	ds_bpermute_b32 v9, v1, v170 offset:60
	v_add_f32_e32 v3, v10, v3
	s_delay_alu instid0(VALU_DEP_1)
	v_add_f32_e32 v3, v11, v3
	s_wait_dscnt 0x4
	v_dual_sub_f32 v11, v183, v174 :: v_dual_sub_f32 v174, v186, v175
	v_fmac_f32_e32 v203, v6, v218
	ds_bpermute_b32 v6, v1, v171 offset:60
	v_add_f32_e32 v3, v12, v3
	v_mul_f32_e32 v11, v14, v11
	v_dual_fmac_f32 v203, v176, v220 :: v_dual_sub_f32 v176, v181, v227
	v_sub_f32_e32 v7, v179, v223
	s_delay_alu instid0(VALU_DEP_4) | instskip(SKIP_1) | instid1(VALU_DEP_3)
	v_add_f32_e32 v3, v13, v3
	s_wait_dscnt 0x2
	v_dual_sub_f32 v5, v185, v5 :: v_dual_mul_f32 v176, v12, v176
	ds_bpermute_b32 v12, v1, v170 offset:68
	v_dual_mul_f32 v7, v10, v7 :: v_dual_sub_f32 v10, v184, v209
	s_wait_dscnt 0x2
	v_sub_f32_e32 v9, v189, v9
	v_mul_f32_e32 v5, v16, v5
	s_delay_alu instid0(VALU_DEP_3)
	v_fmac_f32_e32 v203, v7, v222
	v_mul_f32_e32 v10, v13, v10
	ds_bpermute_b32 v7, v1, v171 offset:64
	v_mul_f32_e32 v13, v15, v174
	v_mul_f32_e32 v9, v17, v9
	v_fmac_f32_e32 v203, v8, v224
	ds_bpermute_b32 v8, v1, v170 offset:64
	v_fmac_f32_e32 v203, v176, v226
	s_delay_alu instid0(VALU_DEP_1)
	v_fmac_f32_e32 v203, v10, v172
	ds_bpermute_b32 v10, v1, v170 offset:72
	v_fmac_f32_e32 v203, v11, v2
	ds_bpermute_b32 v2, v1, v171 offset:68
	ds_bpermute_b32 v11, v1, v171 offset:72
	v_fmac_f32_e32 v203, v13, v173
	ds_bpermute_b32 v13, v1, v170 offset:76
	v_fmac_f32_e32 v203, v5, v4
	s_wait_dscnt 0x4
	v_sub_f32_e32 v4, v187, v8
	ds_bpermute_b32 v5, v1, v170 offset:80
	v_dual_sub_f32 v8, v191, v12 :: v_dual_fmac_f32 v203, v9, v6
	v_mul_f32_e32 v4, v18, v4
	ds_bpermute_b32 v6, v1, v171 offset:76
	s_wait_dscnt 0x5
	v_dual_mul_f32 v8, v19, v8 :: v_dual_sub_f32 v9, v190, v10
	ds_bpermute_b32 v10, v1, v170 offset:84
	v_fmac_f32_e32 v203, v4, v7
	ds_bpermute_b32 v4, v1, v171 offset:80
	v_mul_f32_e32 v7, v20, v9
	ds_bpermute_b32 v9, v1, v171 offset:84
	s_wait_dscnt 0x7
	v_fmac_f32_e32 v203, v8, v2
	ds_bpermute_b32 v8, v1, v170 offset:88
	s_wait_dscnt 0x6
	v_dual_sub_f32 v2, v193, v13 :: v_dual_fmac_f32 v203, v7, v11
	ds_bpermute_b32 v7, v1, v170 offset:92
	s_wait_dscnt 0x6
	v_dual_mul_f32 v2, v21, v2 :: v_dual_sub_f32 v5, v192, v5
	ds_bpermute_b32 v11, v1, v171 offset:116
	s_wait_dscnt 0x6
	v_fmac_f32_e32 v203, v2, v6
	ds_bpermute_b32 v2, v1, v171 offset:88
	s_wait_dscnt 0x6
	v_dual_mul_f32 v5, v22, v5 :: v_dual_sub_f32 v6, v195, v10
	ds_bpermute_b32 v10, v1, v170 offset:96
	s_wait_dscnt 0x6
	v_fmac_f32_e32 v203, v5, v4
	ds_bpermute_b32 v4, v1, v171 offset:92
	s_wait_dscnt 0x5
	v_dual_mul_f32 v5, v23, v6 :: v_dual_sub_f32 v6, v194, v8
	ds_bpermute_b32 v8, v1, v170 offset:100
	v_fmac_f32_e32 v203, v5, v9
	ds_bpermute_b32 v5, v1, v171 offset:96
	s_wait_dscnt 0x6
	v_dual_mul_f32 v6, v24, v6 :: v_dual_sub_f32 v7, v197, v7
	ds_bpermute_b32 v9, v1, v170 offset:104
	s_wait_dscnt 0x5
	v_fmac_f32_e32 v203, v6, v2
	ds_bpermute_b32 v2, v1, v171 offset:100
	s_wait_dscnt 0x5
	v_dual_mul_f32 v6, v25, v7 :: v_dual_sub_f32 v7, v196, v10
	ds_bpermute_b32 v10, v1, v170 offset:108
	s_wait_dscnt 0x5
	v_fmac_f32_e32 v203, v6, v4
	v_mul_f32_e32 v4, v26, v7
	ds_bpermute_b32 v6, v1, v171 offset:104
	s_wait_dscnt 0x5
	v_sub_f32_e32 v7, v199, v8
	ds_bpermute_b32 v8, v1, v170 offset:112
	s_wait_dscnt 0x5
	v_fmac_f32_e32 v203, v4, v5
	v_mul_f32_e32 v5, v27, v7
	ds_bpermute_b32 v4, v1, v171 offset:108
	s_wait_dscnt 0x5
	v_sub_f32_e32 v7, v198, v9
	ds_bpermute_b32 v9, v1, v170 offset:116
	s_wait_dscnt 0x5
	v_dual_fmac_f32 v203, v5, v2 :: v_dual_mul_f32 v2, v28, v7
	ds_bpermute_b32 v5, v1, v171 offset:112
	s_wait_dscnt 0x5
	v_sub_f32_e32 v10, v202, v10
	ds_bpermute_b32 v7, v1, v170 offset:120
	s_wait_dscnt 0x5
	v_fmac_f32_e32 v203, v2, v6
	v_mul_f32_e32 v2, v29, v10
	s_wait_dscnt 0x4
	v_dual_sub_f32 v6, v200, v8 :: v_dual_add_f32 v3, v14, v3
	ds_bpermute_b32 v8, v1, v171 offset:120
	ds_bpermute_b32 v171, v1, v171 offset:124
	s_wait_dscnt 0x5
	v_fmac_f32_e32 v203, v2, v4
	v_dual_add_f32 v3, v15, v3 :: v_dual_mul_f32 v4, v30, v6
	s_wait_dscnt 0x4
	v_sub_f32_e32 v6, v205, v9
	ds_bpermute_b32 v2, v1, v170 offset:124
	v_add_f32_e32 v3, v16, v3
	s_wait_dscnt 0x4
	v_dual_fmac_f32 v203, v4, v5 :: v_dual_mul_f32 v4, v31, v6
	s_wait_dscnt 0x3
	v_sub_f32_e32 v5, v204, v7
	v_add_f32_e32 v3, v17, v3
	s_delay_alu instid0(VALU_DEP_3) | instskip(NEXT) | instid1(VALU_DEP_2)
	v_fmac_f32_e32 v203, v4, v11
	v_dual_mul_f32 v4, v32, v5 :: v_dual_add_f32 v3, v18, v3
	s_wait_dscnt 0x2
	s_delay_alu instid0(VALU_DEP_1) | instskip(NEXT) | instid1(VALU_DEP_2)
	v_fmac_f32_e32 v203, v4, v8
	v_add_f32_e32 v3, v19, v3
	s_delay_alu instid0(VALU_DEP_1) | instskip(NEXT) | instid1(VALU_DEP_1)
	v_add_f32_e32 v3, v20, v3
	v_add_f32_e32 v3, v21, v3
	s_delay_alu instid0(VALU_DEP_1) | instskip(NEXT) | instid1(VALU_DEP_1)
	v_add_f32_e32 v3, v22, v3
	v_add_f32_e32 v3, v23, v3
	s_delay_alu instid0(VALU_DEP_1) | instskip(NEXT) | instid1(VALU_DEP_1)
	v_add_f32_e32 v3, v24, v3
	v_add_f32_e32 v3, v25, v3
	s_delay_alu instid0(VALU_DEP_1) | instskip(NEXT) | instid1(VALU_DEP_1)
	v_add_f32_e32 v3, v26, v3
	v_add_f32_e32 v3, v27, v3
	s_delay_alu instid0(VALU_DEP_1) | instskip(NEXT) | instid1(VALU_DEP_1)
	v_add_f32_e32 v3, v28, v3
	v_add_f32_e32 v3, v29, v3
	s_delay_alu instid0(VALU_DEP_1) | instskip(NEXT) | instid1(VALU_DEP_1)
	v_add_f32_e32 v3, v30, v3
	v_add_f32_e32 v3, v31, v3
	s_delay_alu instid0(VALU_DEP_1)
	v_add_f32_e32 v3, v32, v3
.LBB74_71:                              ;   in Loop: Header=BB74_3 Depth=1
	s_wait_alu 0xfffe
	s_and_b32 vcc_lo, exec_lo, s3
	s_wait_alu 0xfffe
	s_cbranch_vccz .LBB74_137
; %bb.72:                               ;   in Loop: Header=BB74_3 Depth=1
	s_load_b32 s3, s[20:21], 0x0
	v_mov_b32_e32 v170, 0
	s_wait_kmcnt 0x0
	s_cmp_lt_u32 ttmp9, s3
	s_cselect_b32 s18, 12, 18
	s_delay_alu instid0(SALU_CYCLE_1)
	s_add_nc_u64 s[34:35], s[20:21], s[18:19]
	s_load_u16 s3, s[34:35], 0x0
	s_wait_dscnt 0x0
	s_wait_kmcnt 0x0
	v_mad_u32_u24 v2, v38, s3, v40
	s_mov_b32 s3, exec_lo
	s_delay_alu instid0(VALU_DEP_1) | instskip(NEXT) | instid1(VALU_DEP_1)
	v_and_b32_e32 v2, 31, v2
	v_add_co_u32 v2, vcc_lo, v36, v2
	s_wait_alu 0xfffd
	v_add_co_ci_u32_e64 v3, null, 0, v37, vcc_lo
	v_dual_mov_b32 v37, 0 :: v_dual_mov_b32 v36, 0
	s_delay_alu instid0(VALU_DEP_2)
	v_cmpx_gt_i64_e64 s[4:5], v[2:3]
	s_cbranch_execz .LBB74_74
; %bb.73:                               ;   in Loop: Header=BB74_3 Depth=1
	v_lshlrev_b64_e32 v[2:3], 2, v[2:3]
	s_delay_alu instid0(VALU_DEP_1) | instskip(SKIP_1) | instid1(VALU_DEP_2)
	v_add_co_u32 v4, vcc_lo, s12, v2
	s_wait_alu 0xfffd
	v_add_co_ci_u32_e64 v5, null, s13, v3, vcc_lo
	v_add_co_u32 v2, vcc_lo, s14, v2
	s_wait_alu 0xfffd
	v_add_co_ci_u32_e64 v3, null, s15, v3, vcc_lo
	global_load_b32 v36, v[4:5], off
	global_load_b32 v37, v[2:3], off
.LBB74_74:                              ;   in Loop: Header=BB74_3 Depth=1
	s_wait_alu 0xfffe
	s_or_b32 exec_lo, exec_lo, s3
	v_mov_b32_e32 v32, v1
	v_dual_mov_b32 v2, v1 :: v_dual_mov_b32 v3, v1
	v_dual_mov_b32 v4, v1 :: v_dual_mov_b32 v5, v1
	;; [unrolled: 1-line block ×15, first 2 shown]
	v_mov_b32_e32 v33, v32
	s_delay_alu instid0(VALU_DEP_2) | instskip(NEXT) | instid1(VALU_DEP_3)
	v_mov_b32_e32 v32, v31
	v_mov_b32_e32 v31, v30
	v_mov_b32_e32 v30, v29
	v_mov_b32_e32 v29, v28
	v_mov_b32_e32 v28, v27
	v_mov_b32_e32 v27, v26
	v_mov_b32_e32 v26, v25
	v_mov_b32_e32 v25, v24
	v_mov_b32_e32 v24, v23
	v_mov_b32_e32 v23, v22
	v_mov_b32_e32 v22, v21
	v_mov_b32_e32 v21, v20
	v_mov_b32_e32 v20, v19
	v_mov_b32_e32 v19, v18
	v_mov_b32_e32 v18, v17
	v_mov_b32_e32 v17, v16
	v_mov_b32_e32 v16, v15
	v_mov_b32_e32 v15, v14
	v_mov_b32_e32 v14, v13
	v_mov_b32_e32 v13, v12
	v_mov_b32_e32 v12, v11
	v_mov_b32_e32 v11, v10
	v_mov_b32_e32 v10, v9
	v_mov_b32_e32 v9, v8
	v_mov_b32_e32 v8, v7
	v_mov_b32_e32 v7, v6
	v_mov_b32_e32 v6, v5
	v_mov_b32_e32 v5, v4
	v_mov_b32_e32 v4, v3
	v_mov_b32_e32 v3, v2
	v_mov_b32_e32 v2, v1
	s_and_saveexec_b32 s3, s2
	s_cbranch_execz .LBB74_76
; %bb.75:                               ;   in Loop: Header=BB74_3 Depth=1
	v_add_co_u32 v2, vcc_lo, v42, v34
	s_wait_alu 0xfffd
	v_add_co_ci_u32_e64 v3, null, v43, v35, vcc_lo
	v_add_co_u32 v4, vcc_lo, v44, v34
	s_wait_alu 0xfffd
	v_add_co_ci_u32_e64 v5, null, v45, v35, vcc_lo
	global_load_u16 v2, v[2:3], off
	global_load_u16 v170, v[4:5], off
	v_dual_mov_b32 v3, v1 :: v_dual_mov_b32 v4, v1
	v_dual_mov_b32 v5, v1 :: v_dual_mov_b32 v6, v1
	;; [unrolled: 1-line block ×15, first 2 shown]
	v_mov_b32_e32 v33, v1
	s_wait_loadcnt 0x1
	v_cvt_f32_f16_e32 v2, v2
	s_wait_loadcnt 0x0
	v_cvt_f32_f16_e64 v170, v170
.LBB74_76:                              ;   in Loop: Header=BB74_3 Depth=1
	s_wait_alu 0xfffe
	s_or_b32 exec_lo, exec_lo, s3
	v_dual_mov_b32 v171, 0 :: v_dual_mov_b32 v172, 0
	s_and_saveexec_b32 s3, s2
	s_cbranch_execz .LBB74_78
; %bb.77:                               ;   in Loop: Header=BB74_3 Depth=1
	v_add_co_u32 v172, vcc_lo, v165, v34
	s_wait_alu 0xfffd
	v_add_co_ci_u32_e64 v173, null, v166, v35, vcc_lo
	v_add_co_u32 v174, vcc_lo, v167, v34
	s_wait_alu 0xfffd
	v_add_co_ci_u32_e64 v175, null, v168, v35, vcc_lo
	global_load_u16 v3, v[172:173], off
	global_load_u16 v172, v[174:175], off
	s_wait_loadcnt 0x1
	v_cvt_f32_f16_e32 v3, v3
	s_wait_loadcnt 0x0
	v_cvt_f32_f16_e64 v172, v172
.LBB74_78:                              ;   in Loop: Header=BB74_3 Depth=1
	s_wait_alu 0xfffe
	s_or_b32 exec_lo, exec_lo, s3
	s_and_saveexec_b32 s3, s2
	s_cbranch_execz .LBB74_80
; %bb.79:                               ;   in Loop: Header=BB74_3 Depth=1
	v_add_co_u32 v173, vcc_lo, v161, v34
	s_wait_alu 0xfffd
	v_add_co_ci_u32_e64 v174, null, v162, v35, vcc_lo
	v_add_co_u32 v175, vcc_lo, v163, v34
	s_wait_alu 0xfffd
	v_add_co_ci_u32_e64 v176, null, v164, v35, vcc_lo
	global_load_u16 v4, v[173:174], off
	global_load_u16 v171, v[175:176], off
	s_wait_loadcnt 0x1
	v_cvt_f32_f16_e32 v4, v4
	s_wait_loadcnt 0x0
	v_cvt_f32_f16_e64 v171, v171
.LBB74_80:                              ;   in Loop: Header=BB74_3 Depth=1
	s_wait_alu 0xfffe
	s_or_b32 exec_lo, exec_lo, s3
	v_dual_mov_b32 v173, 0 :: v_dual_mov_b32 v174, 0
	s_and_saveexec_b32 s3, s2
	s_cbranch_execz .LBB74_82
; %bb.81:                               ;   in Loop: Header=BB74_3 Depth=1
	v_add_co_u32 v174, vcc_lo, v157, v34
	s_wait_alu 0xfffd
	v_add_co_ci_u32_e64 v175, null, v158, v35, vcc_lo
	v_add_co_u32 v176, vcc_lo, v159, v34
	s_wait_alu 0xfffd
	v_add_co_ci_u32_e64 v177, null, v160, v35, vcc_lo
	global_load_u16 v5, v[174:175], off
	global_load_u16 v174, v[176:177], off
	s_wait_loadcnt 0x1
	v_cvt_f32_f16_e32 v5, v5
	s_wait_loadcnt 0x0
	v_cvt_f32_f16_e64 v174, v174
.LBB74_82:                              ;   in Loop: Header=BB74_3 Depth=1
	s_wait_alu 0xfffe
	s_or_b32 exec_lo, exec_lo, s3
	s_and_saveexec_b32 s3, s2
	s_cbranch_execz .LBB74_84
; %bb.83:                               ;   in Loop: Header=BB74_3 Depth=1
	v_add_co_u32 v175, vcc_lo, v153, v34
	s_wait_alu 0xfffd
	v_add_co_ci_u32_e64 v176, null, v154, v35, vcc_lo
	v_add_co_u32 v177, vcc_lo, v155, v34
	s_wait_alu 0xfffd
	v_add_co_ci_u32_e64 v178, null, v156, v35, vcc_lo
	global_load_u16 v6, v[175:176], off
	global_load_u16 v173, v[177:178], off
	s_wait_loadcnt 0x1
	v_cvt_f32_f16_e32 v6, v6
	s_wait_loadcnt 0x0
	v_cvt_f32_f16_e64 v173, v173
.LBB74_84:                              ;   in Loop: Header=BB74_3 Depth=1
	;; [unrolled: 37-line block ×5, first 2 shown]
	s_wait_alu 0xfffe
	s_or_b32 exec_lo, exec_lo, s3
	v_dual_mov_b32 v181, 0 :: v_dual_mov_b32 v182, 0
	s_and_saveexec_b32 s3, s2
	s_cbranch_execz .LBB74_98
; %bb.97:                               ;   in Loop: Header=BB74_3 Depth=1
	v_add_co_u32 v182, vcc_lo, v125, v34
	s_wait_alu 0xfffd
	v_add_co_ci_u32_e64 v183, null, v126, v35, vcc_lo
	v_add_co_u32 v184, vcc_lo, v127, v34
	s_wait_alu 0xfffd
	v_add_co_ci_u32_e64 v185, null, v128, v35, vcc_lo
	global_load_u16 v13, v[182:183], off
	global_load_u16 v182, v[184:185], off
	s_wait_loadcnt 0x1
	v_cvt_f32_f16_e32 v13, v13
	s_wait_loadcnt 0x0
	v_cvt_f32_f16_e64 v182, v182
.LBB74_98:                              ;   in Loop: Header=BB74_3 Depth=1
	s_wait_alu 0xfffe
	s_or_b32 exec_lo, exec_lo, s3
	s_and_saveexec_b32 s3, s2
	s_cbranch_execz .LBB74_100
; %bb.99:                               ;   in Loop: Header=BB74_3 Depth=1
	v_add_co_u32 v183, vcc_lo, v121, v34
	s_wait_alu 0xfffd
	v_add_co_ci_u32_e64 v184, null, v122, v35, vcc_lo
	v_add_co_u32 v185, vcc_lo, v123, v34
	s_wait_alu 0xfffd
	v_add_co_ci_u32_e64 v186, null, v124, v35, vcc_lo
	global_load_u16 v14, v[183:184], off
	global_load_u16 v181, v[185:186], off
	s_wait_loadcnt 0x1
	v_cvt_f32_f16_e32 v14, v14
	s_wait_loadcnt 0x0
	v_cvt_f32_f16_e64 v181, v181
.LBB74_100:                             ;   in Loop: Header=BB74_3 Depth=1
	s_wait_alu 0xfffe
	s_or_b32 exec_lo, exec_lo, s3
	v_dual_mov_b32 v183, 0 :: v_dual_mov_b32 v184, 0
	s_and_saveexec_b32 s3, s2
	s_cbranch_execz .LBB74_102
; %bb.101:                              ;   in Loop: Header=BB74_3 Depth=1
	v_add_co_u32 v184, vcc_lo, v117, v34
	s_wait_alu 0xfffd
	v_add_co_ci_u32_e64 v185, null, v118, v35, vcc_lo
	v_add_co_u32 v186, vcc_lo, v119, v34
	s_wait_alu 0xfffd
	v_add_co_ci_u32_e64 v187, null, v120, v35, vcc_lo
	global_load_u16 v15, v[184:185], off
	global_load_u16 v184, v[186:187], off
	s_wait_loadcnt 0x1
	v_cvt_f32_f16_e32 v15, v15
	s_wait_loadcnt 0x0
	v_cvt_f32_f16_e64 v184, v184
.LBB74_102:                             ;   in Loop: Header=BB74_3 Depth=1
	s_wait_alu 0xfffe
	s_or_b32 exec_lo, exec_lo, s3
	s_and_saveexec_b32 s3, s2
	s_cbranch_execz .LBB74_104
; %bb.103:                              ;   in Loop: Header=BB74_3 Depth=1
	v_add_co_u32 v185, vcc_lo, v113, v34
	s_wait_alu 0xfffd
	v_add_co_ci_u32_e64 v186, null, v114, v35, vcc_lo
	v_add_co_u32 v187, vcc_lo, v115, v34
	s_wait_alu 0xfffd
	v_add_co_ci_u32_e64 v188, null, v116, v35, vcc_lo
	global_load_u16 v16, v[185:186], off
	global_load_u16 v183, v[187:188], off
	s_wait_loadcnt 0x1
	v_cvt_f32_f16_e32 v16, v16
	s_wait_loadcnt 0x0
	v_cvt_f32_f16_e64 v183, v183
.LBB74_104:                             ;   in Loop: Header=BB74_3 Depth=1
	s_wait_alu 0xfffe
	s_or_b32 exec_lo, exec_lo, s3
	v_dual_mov_b32 v185, 0 :: v_dual_mov_b32 v186, 0
	s_and_saveexec_b32 s3, s2
	s_cbranch_execz .LBB74_106
; %bb.105:                              ;   in Loop: Header=BB74_3 Depth=1
	v_add_co_u32 v186, vcc_lo, v109, v34
	s_wait_alu 0xfffd
	v_add_co_ci_u32_e64 v187, null, v110, v35, vcc_lo
	v_add_co_u32 v188, vcc_lo, v111, v34
	s_wait_alu 0xfffd
	v_add_co_ci_u32_e64 v189, null, v112, v35, vcc_lo
	global_load_u16 v17, v[186:187], off
	global_load_u16 v186, v[188:189], off
	s_wait_loadcnt 0x1
	v_cvt_f32_f16_e32 v17, v17
	s_wait_loadcnt 0x0
	v_cvt_f32_f16_e64 v186, v186
.LBB74_106:                             ;   in Loop: Header=BB74_3 Depth=1
	s_wait_alu 0xfffe
	s_or_b32 exec_lo, exec_lo, s3
	s_and_saveexec_b32 s3, s2
	s_cbranch_execz .LBB74_108
; %bb.107:                              ;   in Loop: Header=BB74_3 Depth=1
	v_add_co_u32 v187, vcc_lo, v105, v34
	s_wait_alu 0xfffd
	v_add_co_ci_u32_e64 v188, null, v106, v35, vcc_lo
	v_add_co_u32 v189, vcc_lo, v107, v34
	s_wait_alu 0xfffd
	v_add_co_ci_u32_e64 v190, null, v108, v35, vcc_lo
	global_load_u16 v18, v[187:188], off
	global_load_u16 v185, v[189:190], off
	s_wait_loadcnt 0x1
	v_cvt_f32_f16_e32 v18, v18
	s_wait_loadcnt 0x0
	v_cvt_f32_f16_e64 v185, v185
.LBB74_108:                             ;   in Loop: Header=BB74_3 Depth=1
	s_wait_alu 0xfffe
	s_or_b32 exec_lo, exec_lo, s3
	v_mov_b32_e32 v187, 0
	v_mov_b32_e32 v189, 0
	s_and_saveexec_b32 s3, s2
	s_cbranch_execz .LBB74_110
; %bb.109:                              ;   in Loop: Header=BB74_3 Depth=1
	v_add_co_u32 v188, vcc_lo, v101, v34
	s_wait_alu 0xfffd
	v_add_co_ci_u32_e64 v189, null, v102, v35, vcc_lo
	v_add_co_u32 v190, vcc_lo, v103, v34
	s_wait_alu 0xfffd
	v_add_co_ci_u32_e64 v191, null, v104, v35, vcc_lo
	global_load_u16 v19, v[188:189], off
	global_load_u16 v188, v[190:191], off
	s_wait_loadcnt 0x1
	v_cvt_f32_f16_e32 v19, v19
	s_wait_loadcnt 0x0
	v_cvt_f32_f16_e64 v189, v188
.LBB74_110:                             ;   in Loop: Header=BB74_3 Depth=1
	s_wait_alu 0xfffe
	s_or_b32 exec_lo, exec_lo, s3
	s_and_saveexec_b32 s3, s2
	s_cbranch_execz .LBB74_112
; %bb.111:                              ;   in Loop: Header=BB74_3 Depth=1
	v_add_co_u32 v187, vcc_lo, v97, v34
	s_wait_alu 0xfffd
	v_add_co_ci_u32_e64 v188, null, v98, v35, vcc_lo
	v_add_co_u32 v190, vcc_lo, v99, v34
	s_wait_alu 0xfffd
	v_add_co_ci_u32_e64 v191, null, v100, v35, vcc_lo
	global_load_u16 v20, v[187:188], off
	global_load_u16 v187, v[190:191], off
	s_wait_loadcnt 0x1
	v_cvt_f32_f16_e32 v20, v20
	s_wait_loadcnt 0x0
	v_cvt_f32_f16_e64 v187, v187
.LBB74_112:                             ;   in Loop: Header=BB74_3 Depth=1
	s_wait_alu 0xfffe
	s_or_b32 exec_lo, exec_lo, s3
	v_dual_mov_b32 v190, 0 :: v_dual_mov_b32 v191, 0
	s_and_saveexec_b32 s3, s2
	s_cbranch_execz .LBB74_114
; %bb.113:                              ;   in Loop: Header=BB74_3 Depth=1
	v_add_co_u32 v191, vcc_lo, v93, v34
	s_wait_alu 0xfffd
	v_add_co_ci_u32_e64 v192, null, v94, v35, vcc_lo
	v_add_co_u32 v193, vcc_lo, v95, v34
	s_wait_alu 0xfffd
	v_add_co_ci_u32_e64 v194, null, v96, v35, vcc_lo
	global_load_u16 v21, v[191:192], off
	global_load_u16 v188, v[193:194], off
	s_wait_loadcnt 0x1
	v_cvt_f32_f16_e32 v21, v21
	s_wait_loadcnt 0x0
	v_cvt_f32_f16_e64 v191, v188
.LBB74_114:                             ;   in Loop: Header=BB74_3 Depth=1
	s_wait_alu 0xfffe
	s_or_b32 exec_lo, exec_lo, s3
	s_and_saveexec_b32 s3, s2
	s_cbranch_execz .LBB74_116
; %bb.115:                              ;   in Loop: Header=BB74_3 Depth=1
	v_add_co_u32 v192, vcc_lo, v89, v34
	s_wait_alu 0xfffd
	v_add_co_ci_u32_e64 v193, null, v90, v35, vcc_lo
	v_add_co_u32 v194, vcc_lo, v91, v34
	s_wait_alu 0xfffd
	v_add_co_ci_u32_e64 v195, null, v92, v35, vcc_lo
	global_load_u16 v22, v[192:193], off
	global_load_u16 v188, v[194:195], off
	s_wait_loadcnt 0x1
	v_cvt_f32_f16_e32 v22, v22
	s_wait_loadcnt 0x0
	v_cvt_f32_f16_e64 v190, v188
.LBB74_116:                             ;   in Loop: Header=BB74_3 Depth=1
	s_wait_alu 0xfffe
	s_or_b32 exec_lo, exec_lo, s3
	v_dual_mov_b32 v192, 0 :: v_dual_mov_b32 v193, 0
	;; [unrolled: 37-line block ×5, first 2 shown]
	s_and_saveexec_b32 s3, s2
	s_cbranch_execz .LBB74_130
; %bb.129:                              ;   in Loop: Header=BB74_3 Depth=1
	v_add_co_u32 v199, vcc_lo, v62, v34
	s_wait_alu 0xfffd
	v_add_co_ci_u32_e64 v200, null, v63, v35, vcc_lo
	v_add_co_u32 v202, vcc_lo, v64, v34
	s_wait_alu 0xfffd
	v_add_co_ci_u32_e64 v203, null, v65, v35, vcc_lo
	global_load_u16 v29, v[199:200], off
	global_load_u16 v188, v[202:203], off
	s_wait_loadcnt 0x1
	v_cvt_f32_f16_e32 v29, v29
	s_wait_loadcnt 0x0
	v_cvt_f32_f16_e64 v199, v188
.LBB74_130:                             ;   in Loop: Header=BB74_3 Depth=1
	s_wait_alu 0xfffe
	s_or_b32 exec_lo, exec_lo, s3
	s_and_saveexec_b32 s3, s2
	s_cbranch_execz .LBB74_132
; %bb.131:                              ;   in Loop: Header=BB74_3 Depth=1
	v_add_co_u32 v202, vcc_lo, v58, v34
	s_wait_alu 0xfffd
	v_add_co_ci_u32_e64 v203, null, v59, v35, vcc_lo
	v_add_co_u32 v204, vcc_lo, v60, v34
	s_wait_alu 0xfffd
	v_add_co_ci_u32_e64 v205, null, v61, v35, vcc_lo
	global_load_u16 v30, v[202:203], off
	global_load_u16 v188, v[204:205], off
	s_wait_loadcnt 0x1
	v_cvt_f32_f16_e32 v30, v30
	s_wait_loadcnt 0x0
	v_cvt_f32_f16_e64 v198, v188
.LBB74_132:                             ;   in Loop: Header=BB74_3 Depth=1
	s_wait_alu 0xfffe
	s_or_b32 exec_lo, exec_lo, s3
	v_mov_b32_e32 v200, 0
	v_mov_b32_e32 v202, 0
	s_and_saveexec_b32 s3, s2
	s_cbranch_execnz .LBB74_139
; %bb.133:                              ;   in Loop: Header=BB74_3 Depth=1
	s_wait_alu 0xfffe
	s_or_b32 exec_lo, exec_lo, s3
	s_and_saveexec_b32 s3, s2
	s_cbranch_execnz .LBB74_140
.LBB74_134:                             ;   in Loop: Header=BB74_3 Depth=1
	s_wait_alu 0xfffe
	s_or_b32 exec_lo, exec_lo, s3
	v_mov_b32_e32 v188, 0
	s_and_saveexec_b32 s3, s2
	s_cbranch_execz .LBB74_136
.LBB74_135:                             ;   in Loop: Header=BB74_3 Depth=1
	v_add_co_u32 v203, vcc_lo, v46, v34
	s_wait_alu 0xfffd
	v_add_co_ci_u32_e64 v204, null, v47, v35, vcc_lo
	v_add_co_u32 v205, vcc_lo, v48, v34
	s_wait_alu 0xfffd
	v_add_co_ci_u32_e64 v206, null, v49, v35, vcc_lo
	global_load_u16 v33, v[203:204], off
	global_load_u16 v188, v[205:206], off
	s_wait_loadcnt 0x1
	v_cvt_f32_f16_e32 v33, v33
	s_wait_loadcnt 0x0
	v_cvt_f32_f16_e64 v188, v188
.LBB74_136:                             ;   in Loop: Header=BB74_3 Depth=1
	s_wait_alu 0xfffe
	s_or_b32 exec_lo, exec_lo, s3
	s_wait_loadcnt 0x1
	ds_bpermute_b32 v203, v1, v36
	ds_bpermute_b32 v206, v1, v36 offset:4
	ds_bpermute_b32 v208, v1, v36 offset:8
	;; [unrolled: 1-line block ×3, first 2 shown]
	s_wait_loadcnt 0x0
	ds_bpermute_b32 v204, v1, v37
	v_add_f32_e32 v201, v201, v2
	ds_bpermute_b32 v216, v1, v36 offset:24
	ds_bpermute_b32 v205, v1, v37 offset:4
	;; [unrolled: 1-line block ×14, first 2 shown]
	s_wait_dscnt 0x12
	v_sub_f32_e32 v170, v170, v203
	s_wait_dscnt 0x10
	v_dual_sub_f32 v172, v172, v206 :: v_dual_sub_f32 v171, v171, v208
	ds_bpermute_b32 v203, v1, v36 offset:36
	ds_bpermute_b32 v206, v1, v36 offset:44
	v_mul_f32_e32 v2, v2, v170
	v_dual_mul_f32 v172, v3, v172 :: v_dual_mul_f32 v171, v4, v171
	v_add_f32_e32 v3, v3, v201
	ds_bpermute_b32 v221, v1, v37 offset:36
	ds_bpermute_b32 v222, v1, v37 offset:40
	;; [unrolled: 1-line block ×3, first 2 shown]
	s_wait_dscnt 0x14
	v_dual_add_f32 v3, v4, v3 :: v_dual_sub_f32 v4, v173, v212
	s_delay_alu instid0(VALU_DEP_1) | instskip(SKIP_1) | instid1(VALU_DEP_1)
	v_dual_add_f32 v3, v5, v3 :: v_dual_mul_f32 v4, v6, v4
	s_wait_dscnt 0x12
	v_dual_add_f32 v3, v6, v3 :: v_dual_sub_f32 v6, v175, v216
	v_fmac_f32_e32 v169, v2, v204
	ds_bpermute_b32 v2, v1, v37 offset:48
	v_dual_add_f32 v3, v7, v3 :: v_dual_mul_f32 v6, v8, v6
	s_wait_dscnt 0x11
	v_dual_sub_f32 v174, v174, v210 :: v_dual_fmac_f32 v169, v172, v205
	ds_bpermute_b32 v172, v1, v36 offset:48
	v_add_f32_e32 v3, v8, v3
	s_wait_dscnt 0x6
	v_dual_sub_f32 v8, v180, v203 :: v_dual_mul_f32 v173, v5, v174
	v_dual_fmac_f32 v169, v171, v207 :: v_dual_sub_f32 v174, v178, v218
	v_sub_f32_e32 v5, v176, v214
	s_delay_alu instid0(VALU_DEP_3) | instskip(NEXT) | instid1(VALU_DEP_3)
	v_dual_add_f32 v3, v9, v3 :: v_dual_mul_f32 v8, v11, v8
	v_fmac_f32_e32 v169, v173, v209
	ds_bpermute_b32 v173, v1, v36 offset:52
	v_dual_mul_f32 v5, v7, v5 :: v_dual_mul_f32 v174, v9, v174
	v_sub_f32_e32 v7, v177, v220
	v_fmac_f32_e32 v169, v4, v211
	v_add_f32_e32 v3, v10, v3
	ds_bpermute_b32 v171, v1, v37 offset:52
	ds_bpermute_b32 v9, v1, v36 offset:60
	ds_bpermute_b32 v4, v1, v37 offset:56
	v_add_f32_e32 v3, v11, v3
	s_wait_dscnt 0x4
	v_sub_f32_e32 v11, v181, v172
	s_delay_alu instid0(VALU_DEP_2) | instskip(SKIP_1) | instid1(VALU_DEP_2)
	v_add_f32_e32 v3, v12, v3
	s_wait_dscnt 0x3
	v_dual_mul_f32 v11, v14, v11 :: v_dual_sub_f32 v172, v184, v173
	v_mul_f32_e32 v7, v10, v7
	v_dual_sub_f32 v10, v182, v206 :: v_dual_fmac_f32 v169, v5, v213
	ds_bpermute_b32 v5, v1, v36 offset:56
	v_add_f32_e32 v3, v13, v3
	v_dual_mul_f32 v10, v13, v10 :: v_dual_fmac_f32 v169, v6, v215
	ds_bpermute_b32 v6, v1, v37 offset:60
	v_mul_f32_e32 v13, v15, v172
	s_wait_dscnt 0x3
	v_sub_f32_e32 v9, v186, v9
	v_add_f32_e32 v3, v14, v3
	v_dual_fmac_f32 v169, v174, v217 :: v_dual_sub_f32 v174, v179, v223
	s_delay_alu instid0(VALU_DEP_3) | instskip(NEXT) | instid1(VALU_DEP_3)
	v_mul_f32_e32 v9, v17, v9
	v_add_f32_e32 v3, v15, v3
	s_delay_alu instid0(VALU_DEP_3)
	v_dual_fmac_f32 v169, v7, v219 :: v_dual_mul_f32 v174, v12, v174
	ds_bpermute_b32 v12, v1, v36 offset:68
	ds_bpermute_b32 v7, v1, v37 offset:64
	v_add_f32_e32 v3, v16, v3
	v_fmac_f32_e32 v169, v8, v221
	ds_bpermute_b32 v8, v1, v36 offset:64
	s_wait_dscnt 0x4
	v_sub_f32_e32 v5, v183, v5
	v_add_f32_e32 v3, v17, v3
	v_fmac_f32_e32 v169, v174, v222
	s_delay_alu instid0(VALU_DEP_3) | instskip(NEXT) | instid1(VALU_DEP_3)
	v_mul_f32_e32 v5, v16, v5
	v_add_f32_e32 v3, v18, v3
	s_delay_alu instid0(VALU_DEP_3)
	v_fmac_f32_e32 v169, v10, v170
	ds_bpermute_b32 v10, v1, v36 offset:72
	v_add_f32_e32 v3, v19, v3
	v_fmac_f32_e32 v169, v11, v2
	ds_bpermute_b32 v2, v1, v37 offset:68
	ds_bpermute_b32 v11, v1, v37 offset:72
	v_add_f32_e32 v3, v20, v3
	v_fmac_f32_e32 v169, v13, v171
	ds_bpermute_b32 v13, v1, v36 offset:76
	ds_bpermute_b32 v171, v1, v37 offset:124
	v_add_f32_e32 v3, v21, v3
	v_fmac_f32_e32 v169, v5, v4
	s_wait_dscnt 0x5
	v_sub_f32_e32 v4, v185, v8
	ds_bpermute_b32 v8, v1, v36 offset:80
	v_sub_f32_e32 v5, v189, v12
	v_add_f32_e32 v3, v22, v3
	v_dual_fmac_f32 v169, v9, v6 :: v_dual_mul_f32 v4, v18, v4
	ds_bpermute_b32 v6, v1, v37 offset:76
	s_wait_dscnt 0x6
	v_sub_f32_e32 v9, v187, v10
	ds_bpermute_b32 v10, v1, v36 offset:84
	v_mul_f32_e32 v5, v19, v5
	v_fmac_f32_e32 v169, v4, v7
	ds_bpermute_b32 v4, v1, v37 offset:80
	v_mul_f32_e32 v7, v20, v9
	ds_bpermute_b32 v9, v1, v37 offset:84
	v_add_f32_e32 v3, v23, v3
	s_wait_dscnt 0x8
	v_fmac_f32_e32 v169, v5, v2
	ds_bpermute_b32 v2, v1, v36 offset:88
	s_wait_dscnt 0x7
	v_sub_f32_e32 v5, v191, v13
	v_add_f32_e32 v3, v24, v3
	v_fmac_f32_e32 v169, v7, v11
	ds_bpermute_b32 v7, v1, v36 offset:92
	s_wait_dscnt 0x6
	v_dual_mul_f32 v5, v21, v5 :: v_dual_sub_f32 v8, v190, v8
	v_add_f32_e32 v3, v25, v3
	s_wait_dscnt 0x5
	s_delay_alu instid0(VALU_DEP_2)
	v_fmac_f32_e32 v169, v5, v6
	ds_bpermute_b32 v5, v1, v37 offset:88
	v_mul_f32_e32 v6, v22, v8
	s_wait_dscnt 0x5
	v_sub_f32_e32 v8, v193, v10
	ds_bpermute_b32 v10, v1, v36 offset:96
	v_add_f32_e32 v3, v26, v3
	s_wait_dscnt 0x5
	v_fmac_f32_e32 v169, v6, v4
	ds_bpermute_b32 v4, v1, v37 offset:92
	v_mul_f32_e32 v6, v23, v8
	s_wait_dscnt 0x4
	v_sub_f32_e32 v2, v192, v2
	ds_bpermute_b32 v8, v1, v36 offset:100
	v_add_f32_e32 v3, v27, v3
	v_fmac_f32_e32 v169, v6, v9
	ds_bpermute_b32 v6, v1, v37 offset:96
	s_wait_dscnt 0x5
	v_dual_mul_f32 v2, v24, v2 :: v_dual_sub_f32 v7, v195, v7
	ds_bpermute_b32 v9, v1, v36 offset:104
	v_add_f32_e32 v3, v28, v3
	s_wait_dscnt 0x5
	v_fmac_f32_e32 v169, v2, v5
	ds_bpermute_b32 v2, v1, v37 offset:100
	v_mul_f32_e32 v5, v25, v7
	s_wait_dscnt 0x5
	v_sub_f32_e32 v7, v194, v10
	ds_bpermute_b32 v10, v1, v36 offset:108
	v_add_f32_e32 v3, v29, v3
	s_wait_dscnt 0x5
	v_dual_fmac_f32 v169, v5, v4 :: v_dual_mul_f32 v4, v26, v7
	ds_bpermute_b32 v5, v1, v37 offset:104
	s_wait_dscnt 0x5
	v_sub_f32_e32 v7, v197, v8
	ds_bpermute_b32 v8, v1, v36 offset:112
	v_add_f32_e32 v3, v30, v3
	s_wait_dscnt 0x5
	v_fmac_f32_e32 v169, v4, v6
	ds_bpermute_b32 v6, v1, v37 offset:108
	s_wait_dscnt 0x5
	v_dual_mul_f32 v4, v27, v7 :: v_dual_sub_f32 v7, v196, v9
	ds_bpermute_b32 v9, v1, v36 offset:116
	v_add_f32_e32 v3, v31, v3
	s_wait_dscnt 0x5
	v_fmac_f32_e32 v169, v4, v2
	v_mul_f32_e32 v2, v28, v7
	ds_bpermute_b32 v4, v1, v37 offset:112
	s_wait_dscnt 0x5
	v_sub_f32_e32 v7, v199, v10
	ds_bpermute_b32 v10, v1, v36 offset:120
	v_add_f32_e32 v3, v32, v3
	s_wait_dscnt 0x5
	v_dual_fmac_f32 v169, v2, v5 :: v_dual_mul_f32 v2, v29, v7
	ds_bpermute_b32 v5, v1, v37 offset:116
	s_wait_dscnt 0x5
	v_sub_f32_e32 v7, v198, v8
	s_wait_dscnt 0x4
	v_fmac_f32_e32 v169, v2, v6
	ds_bpermute_b32 v6, v1, v37 offset:120
	v_mul_f32_e32 v2, v30, v7
	s_wait_dscnt 0x4
	v_sub_f32_e32 v7, v202, v9
	s_wait_dscnt 0x3
	s_delay_alu instid0(VALU_DEP_1)
	v_dual_fmac_f32 v169, v2, v4 :: v_dual_mul_f32 v4, v31, v7
	s_wait_dscnt 0x2
	v_sub_f32_e32 v7, v200, v10
	ds_bpermute_b32 v2, v1, v36 offset:124
	s_wait_dscnt 0x2
	v_fmac_f32_e32 v169, v4, v5
	v_mul_f32_e32 v4, v32, v7
	s_wait_dscnt 0x1
	s_delay_alu instid0(VALU_DEP_1) | instskip(NEXT) | instid1(VALU_DEP_1)
	v_fmac_f32_e32 v169, v4, v6
	v_mov_b32_e32 v203, v169
.LBB74_137:                             ;   in Loop: Header=BB74_3 Depth=1
	v_add_co_u32 v42, vcc_lo, v42, s24
	s_wait_alu 0xfffd
	v_add_co_ci_u32_e64 v43, null, s25, v43, vcc_lo
	v_add_co_u32 v44, vcc_lo, v44, s24
	s_wait_alu 0xfffd
	v_add_co_ci_u32_e64 v45, null, s25, v45, vcc_lo
	;; [unrolled: 3-line block ×59, first 2 shown]
	v_add_co_u32 v159, vcc_lo, v159, s24
	s_wait_dscnt 0x0
	v_dual_sub_f32 v2, v188, v2 :: v_dual_add_f32 v201, v3, v33
	s_wait_alu 0xfffd
	v_add_co_ci_u32_e64 v160, null, s25, v160, vcc_lo
	v_add_co_u32 v161, vcc_lo, v161, s24
	s_wait_alu 0xfffd
	v_add_co_ci_u32_e64 v162, null, s25, v162, vcc_lo
	v_add_co_u32 v163, vcc_lo, v163, s24
	;; [unrolled: 3-line block ×3, first 2 shown]
	s_add_nc_u64 s[28:29], s[28:29], s[22:23]
	v_mul_f32_e32 v2, v33, v2
	s_wait_alu 0xfffd
	v_add_co_ci_u32_e64 v166, null, s25, v166, vcc_lo
	v_add_co_u32 v167, vcc_lo, v167, s24
	s_wait_alu 0xfffe
	v_cmp_lt_i64_e64 s3, s[28:29], s[4:5]
	s_wait_alu 0xfffd
	v_add_co_ci_u32_e64 v168, null, s25, v168, vcc_lo
	v_add_co_u32 v39, vcc_lo, v39, s22
	v_fmac_f32_e32 v203, v2, v171
	s_wait_alu 0xfffd
	v_add_co_ci_u32_e64 v41, null, 0, v41, vcc_lo
	s_and_b32 vcc_lo, exec_lo, s3
	s_add_nc_u64 s[26:27], s[26:27], s[22:23]
	s_wait_alu 0xfffe
	s_cbranch_vccz .LBB74_142
; %bb.138:                              ;   in Loop: Header=BB74_3 Depth=1
	v_mov_b32_e32 v169, v203
	s_branch .LBB74_3
.LBB74_139:                             ;   in Loop: Header=BB74_3 Depth=1
	v_add_co_u32 v202, vcc_lo, v54, v34
	s_wait_alu 0xfffd
	v_add_co_ci_u32_e64 v203, null, v55, v35, vcc_lo
	v_add_co_u32 v204, vcc_lo, v56, v34
	s_wait_alu 0xfffd
	v_add_co_ci_u32_e64 v205, null, v57, v35, vcc_lo
	global_load_u16 v31, v[202:203], off
	global_load_u16 v188, v[204:205], off
	s_wait_loadcnt 0x1
	v_cvt_f32_f16_e32 v31, v31
	s_wait_loadcnt 0x0
	v_cvt_f32_f16_e64 v202, v188
	s_wait_alu 0xfffe
	s_or_b32 exec_lo, exec_lo, s3
	s_and_saveexec_b32 s3, s2
	s_cbranch_execz .LBB74_134
.LBB74_140:                             ;   in Loop: Header=BB74_3 Depth=1
	v_add_co_u32 v203, vcc_lo, v50, v34
	s_wait_alu 0xfffd
	v_add_co_ci_u32_e64 v204, null, v51, v35, vcc_lo
	v_add_co_u32 v205, vcc_lo, v52, v34
	s_wait_alu 0xfffd
	v_add_co_ci_u32_e64 v206, null, v53, v35, vcc_lo
	global_load_u16 v32, v[203:204], off
	global_load_u16 v188, v[205:206], off
	s_wait_loadcnt 0x1
	v_cvt_f32_f16_e32 v32, v32
	s_wait_loadcnt 0x0
	v_cvt_f32_f16_e64 v200, v188
	s_wait_alu 0xfffe
	s_or_b32 exec_lo, exec_lo, s3
	v_mov_b32_e32 v188, 0
	s_and_saveexec_b32 s3, s2
	s_cbranch_execnz .LBB74_135
	s_branch .LBB74_136
.LBB74_141:
                                        ; implicit-def: $vgpr203
                                        ; implicit-def: $vgpr201
	s_branch .LBB74_143
.LBB74_142:
	s_cbranch_execnz .LBB74_220
.LBB74_143:
	v_mov_b32_e32 v203, 0
	v_mov_b32_e32 v201, 0
	s_and_not1_b32 vcc_lo, exec_lo, s31
	s_wait_alu 0xfffe
	s_cbranch_vccnz .LBB74_220
; %bb.144:
	v_bfe_u32 v0, v228, 10, 10
	s_lshl_b64 s[2:3], s[16:17], 1
	s_mov_b64 s[20:21], 31
	s_mov_b64 s[22:23], s[16:17]
	s_delay_alu instid0(VALU_DEP_1)
	v_dual_mov_b32 v238, 0 :: v_dual_lshlrev_b32 v1, 6, v0
	v_lshlrev_b32_e32 v2, 5, v0
	s_clause 0x1
	scratch_store_b32 off, v0, off offset:296
	scratch_store_b32 off, v228, off offset:304
	v_mov_b32_e32 v205, 0
	s_wait_alu 0xfffe
	v_add_co_u32 v3, s2, v1, s2
	v_add_co_u32 v0, s18, v2, s16
	s_delay_alu instid0(VALU_DEP_1)
	v_add_co_ci_u32_e64 v9, null, 0, 0, s18
	scratch_store_b32 off, v2, off          ; 4-byte Folded Spill
	v_mul_lo_u32 v5, s7, v0
	v_mad_co_u64_u32 v[1:2], null, s6, v0, 0
	v_mul_lo_u32 v6, s6, v9
	s_wait_alu 0xf1ff
	v_add_co_ci_u32_e64 v4, null, 0, s3, s2
	v_add_co_u32 v7, vcc_lo, v3, 2
	s_load_b32 s2, s[0:1], 0x44
	v_add_co_ci_u32_e64 v8, null, 0, v4, vcc_lo
	v_add_co_u32 v11, vcc_lo, v3, 4
	s_wait_alu 0xfffd
	v_add_co_ci_u32_e64 v12, null, 0, v4, vcc_lo
	v_add3_u32 v2, v2, v6, v5
	v_add_co_u32 v5, vcc_lo, v3, 6
	s_wait_alu 0xfffd
	v_add_co_ci_u32_e64 v6, null, 0, v4, vcc_lo
	v_add_co_u32 v14, vcc_lo, v3, 8
	s_wait_alu 0xfffd
	v_add_co_ci_u32_e64 v16, null, 0, v4, vcc_lo
	v_mad_co_u64_u32 v[34:35], null, s6, v7, s[8:9]
	v_mul_lo_u32 v10, s7, v7
	v_mul_lo_u32 v8, s6, v8
	v_mad_co_u64_u32 v[42:43], null, s6, v7, s[10:11]
	v_mad_co_u64_u32 v[40:41], null, s6, v14, s[8:9]
	v_mul_lo_u32 v16, s6, v16
	v_mul_lo_u32 v7, s7, v14
	v_mad_co_u64_u32 v[50:51], null, s6, v14, s[10:11]
	v_add_co_u32 v17, vcc_lo, v3, 10
	v_mad_co_u64_u32 v[38:39], null, s6, v5, s[8:9]
	v_mul_lo_u32 v15, s7, v5
	s_wait_alu 0xfffd
	v_add_co_ci_u32_e64 v18, null, 0, v4, vcc_lo
	v_mad_co_u64_u32 v[48:49], null, s6, v5, s[10:11]
	v_add_co_u32 v5, vcc_lo, v3, 12
	v_mul_lo_u32 v6, s6, v6
	v_add3_u32 v35, v10, v35, v8
	v_add3_u32 v43, v10, v43, v8
	s_wait_alu 0xfffd
	v_add_co_ci_u32_e64 v8, null, 0, v4, vcc_lo
	v_mad_co_u64_u32 v[52:53], null, s6, v5, s[8:9]
	v_add3_u32 v41, v7, v41, v16
	v_add3_u32 v51, v7, v51, v16
	v_mul_lo_u32 v7, s7, v5
	v_mad_co_u64_u32 v[56:57], null, s6, v5, s[10:11]
	v_add_co_u32 v5, vcc_lo, v3, 14
	v_add3_u32 v39, v15, v39, v6
	v_add3_u32 v49, v15, v49, v6
	v_mul_lo_u32 v6, s6, v8
	s_wait_alu 0xfffd
	v_add_co_ci_u32_e64 v8, null, 0, v4, vcc_lo
	v_mad_co_u64_u32 v[58:59], null, s6, v5, s[8:9]
	v_mul_lo_u32 v10, s7, v5
	v_mad_co_u64_u32 v[60:61], null, s6, v5, s[10:11]
	v_add_co_u32 v5, vcc_lo, v3, 16
	v_mad_co_u64_u32 v[36:37], null, s6, v11, s[8:9]
	v_mul_lo_u32 v13, s7, v11
	v_mad_co_u64_u32 v[46:47], null, s6, v11, s[10:11]
	s_wait_alu 0xfffd
	v_add_co_ci_u32_e64 v11, null, 0, v4, vcc_lo
	v_add3_u32 v53, v7, v53, v6
	v_add3_u32 v57, v7, v57, v6
	v_mul_lo_u32 v7, s7, v5
	s_delay_alu instid0(VALU_DEP_4)
	v_mul_lo_u32 v6, s6, v11
	v_mad_co_u64_u32 v[62:63], null, s6, v5, s[8:9]
	v_mad_co_u64_u32 v[64:65], null, s6, v5, s[10:11]
	v_add_co_u32 v5, vcc_lo, v3, 18
	v_mul_lo_u32 v8, s6, v8
	v_mul_lo_u32 v12, s6, v12
	v_add3_u32 v63, v7, v63, v6
	s_delay_alu instid0(VALU_DEP_4)
	v_mad_co_u64_u32 v[66:67], null, s6, v5, s[8:9]
	v_add3_u32 v65, v7, v65, v6
	s_wait_alu 0xfffd
	v_add_co_ci_u32_e64 v6, null, 0, v4, vcc_lo
	v_mul_lo_u32 v7, s7, v5
	v_mad_co_u64_u32 v[68:69], null, s6, v5, s[10:11]
	s_delay_alu instid0(VALU_DEP_3) | instskip(SKIP_4) | instid1(VALU_DEP_4)
	v_mul_lo_u32 v6, s6, v6
	v_add_co_u32 v5, vcc_lo, v3, 20
	v_add3_u32 v59, v10, v59, v8
	v_add3_u32 v61, v10, v61, v8
	v_add3_u32 v37, v13, v37, v12
	v_mad_co_u64_u32 v[70:71], null, s6, v5, s[8:9]
	v_add3_u32 v67, v7, v67, v6
	v_add3_u32 v69, v7, v69, v6
	s_wait_alu 0xfffd
	v_add_co_ci_u32_e64 v6, null, 0, v4, vcc_lo
	v_mul_lo_u32 v7, s7, v5
	v_mad_co_u64_u32 v[72:73], null, s6, v5, s[10:11]
	s_delay_alu instid0(VALU_DEP_3) | instskip(SKIP_3) | instid1(VALU_DEP_3)
	v_mul_lo_u32 v6, s6, v6
	v_add_co_u32 v5, vcc_lo, v3, 22
	v_add3_u32 v47, v13, v47, v12
	v_mad_co_u64_u32 v[44:45], null, s6, v17, s[8:9]
	v_mad_co_u64_u32 v[74:75], null, s6, v5, s[8:9]
	v_add3_u32 v71, v7, v71, v6
	v_add3_u32 v73, v7, v73, v6
	s_wait_alu 0xfffd
	v_add_co_ci_u32_e64 v6, null, 0, v4, vcc_lo
	v_mul_lo_u32 v7, s7, v5
	v_mad_co_u64_u32 v[76:77], null, s6, v5, s[10:11]
	s_delay_alu instid0(VALU_DEP_3) | instskip(SKIP_3) | instid1(VALU_DEP_3)
	v_mul_lo_u32 v6, s6, v6
	v_add_co_u32 v5, vcc_lo, v3, 24
	v_mul_lo_u32 v19, s7, v17
	v_mad_co_u64_u32 v[54:55], null, s6, v17, s[10:11]
	v_mad_co_u64_u32 v[78:79], null, s6, v5, s[8:9]
	v_add3_u32 v75, v7, v75, v6
	v_add3_u32 v77, v7, v77, v6
	s_wait_alu 0xfffd
	v_add_co_ci_u32_e64 v6, null, 0, v4, vcc_lo
	v_mul_lo_u32 v7, s7, v5
	v_mad_co_u64_u32 v[80:81], null, s6, v5, s[10:11]
	s_delay_alu instid0(VALU_DEP_3) | instskip(SKIP_3) | instid1(VALU_DEP_2)
	v_mul_lo_u32 v6, s6, v6
	v_add_co_u32 v5, vcc_lo, v3, 26
	v_mul_lo_u32 v18, s6, v18
	s_mov_b32 s3, 0
	v_mad_co_u64_u32 v[82:83], null, s6, v5, s[8:9]
	s_delay_alu instid0(VALU_DEP_4)
	v_add3_u32 v79, v7, v79, v6
	v_add3_u32 v81, v7, v81, v6
	s_wait_alu 0xfffd
	v_add_co_ci_u32_e64 v6, null, 0, v4, vcc_lo
	v_mul_lo_u32 v7, s7, v5
	v_mad_co_u64_u32 v[84:85], null, s6, v5, s[10:11]
	s_delay_alu instid0(VALU_DEP_3) | instskip(SKIP_3) | instid1(VALU_DEP_3)
	v_mul_lo_u32 v6, s6, v6
	v_add_co_u32 v5, vcc_lo, v3, 28
	v_add3_u32 v45, v19, v45, v18
	v_add3_u32 v55, v19, v55, v18
	v_mad_co_u64_u32 v[86:87], null, s6, v5, s[8:9]
	v_add3_u32 v83, v7, v83, v6
	v_add3_u32 v85, v7, v85, v6
	s_wait_alu 0xfffd
	v_add_co_ci_u32_e64 v6, null, 0, v4, vcc_lo
	v_mul_lo_u32 v7, s7, v5
	v_mad_co_u64_u32 v[88:89], null, s6, v5, s[10:11]
	s_delay_alu instid0(VALU_DEP_3) | instskip(SKIP_1) | instid1(VALU_DEP_1)
	v_mul_lo_u32 v6, s6, v6
	v_add_co_u32 v5, vcc_lo, v3, 30
	v_mad_co_u64_u32 v[90:91], null, s6, v5, s[8:9]
	s_delay_alu instid0(VALU_DEP_3)
	v_add3_u32 v87, v7, v87, v6
	v_add3_u32 v89, v7, v89, v6
	s_wait_alu 0xfffd
	v_add_co_ci_u32_e64 v6, null, 0, v4, vcc_lo
	v_mul_lo_u32 v7, s7, v5
	v_mad_co_u64_u32 v[92:93], null, s6, v5, s[10:11]
	s_delay_alu instid0(VALU_DEP_3) | instskip(SKIP_1) | instid1(VALU_DEP_1)
	v_mul_lo_u32 v6, s6, v6
	v_add_co_u32 v5, vcc_lo, v3, 32
	v_mad_co_u64_u32 v[94:95], null, s6, v5, s[8:9]
	s_delay_alu instid0(VALU_DEP_3)
	;; [unrolled: 11-line block ×16, first 2 shown]
	v_add3_u32 v147, v7, v147, v6
	v_add3_u32 v149, v7, v149, v6
	s_wait_alu 0xfffd
	v_add_co_ci_u32_e64 v6, null, 0, v4, vcc_lo
	v_add_co_u32 v3, vcc_lo, v3, 62
	s_wait_alu 0xfffd
	v_add_co_ci_u32_e64 v4, null, 0, v4, vcc_lo
	v_mul_lo_u32 v7, s7, v5
	v_mad_co_u64_u32 v[152:153], null, s6, v5, s[10:11]
	s_delay_alu instid0(VALU_DEP_3)
	v_mul_lo_u32 v4, s6, v4
	v_mul_lo_u32 v5, s7, v3
	v_mad_co_u64_u32 v[154:155], null, s6, v3, s[8:9]
	v_mad_co_u64_u32 v[156:157], null, s6, v3, s[10:11]
	v_mul_lo_u32 v6, s6, v6
	v_add_co_u32 v3, vcc_lo, v0, 31
	s_delay_alu instid0(VALU_DEP_4) | instskip(NEXT) | instid1(VALU_DEP_4)
	v_add3_u32 v155, v5, v155, v4
	v_add3_u32 v157, v5, v157, v4
	s_wait_alu 0xfffd
	v_add_co_ci_u32_e64 v4, null, 0, v9, vcc_lo
	v_add3_u32 v151, v7, v151, v6
	v_add3_u32 v153, v7, v153, v6
	v_mul_lo_u32 v6, s7, v3
	s_delay_alu instid0(VALU_DEP_4) | instskip(SKIP_1) | instid1(VALU_DEP_1)
	v_mul_lo_u32 v5, s6, v4
	v_mad_co_u64_u32 v[3:4], null, s6, v3, 0
	v_add3_u32 v4, v4, v5, v6
	v_add_co_u32 v5, vcc_lo, v0, 30
	s_wait_alu 0xfffd
	v_add_co_ci_u32_e64 v6, null, 0, v9, vcc_lo
	s_delay_alu instid0(VALU_DEP_2) | instskip(NEXT) | instid1(VALU_DEP_2)
	v_mul_lo_u32 v8, s7, v5
	v_mul_lo_u32 v7, s6, v6
	v_mad_co_u64_u32 v[5:6], null, s6, v5, 0
	s_delay_alu instid0(VALU_DEP_1) | instskip(SKIP_3) | instid1(VALU_DEP_2)
	v_add3_u32 v6, v6, v7, v8
	v_add_co_u32 v7, vcc_lo, v0, 29
	s_wait_alu 0xfffd
	v_add_co_ci_u32_e64 v8, null, 0, v9, vcc_lo
	v_mul_lo_u32 v11, s7, v7
	s_delay_alu instid0(VALU_DEP_2) | instskip(SKIP_1) | instid1(VALU_DEP_1)
	v_mul_lo_u32 v10, s6, v8
	v_mad_co_u64_u32 v[7:8], null, s6, v7, 0
	v_add3_u32 v8, v8, v10, v11
	v_add_co_u32 v10, vcc_lo, v0, 28
	s_wait_alu 0xfffd
	v_add_co_ci_u32_e64 v11, null, 0, v9, vcc_lo
	s_delay_alu instid0(VALU_DEP_2) | instskip(NEXT) | instid1(VALU_DEP_2)
	v_mul_lo_u32 v13, s7, v10
	v_mul_lo_u32 v12, s6, v11
	v_mad_co_u64_u32 v[10:11], null, s6, v10, 0
	s_delay_alu instid0(VALU_DEP_1) | instskip(SKIP_3) | instid1(VALU_DEP_2)
	v_add3_u32 v11, v11, v12, v13
	v_add_co_u32 v12, vcc_lo, v0, 27
	s_wait_alu 0xfffd
	v_add_co_ci_u32_e64 v13, null, 0, v9, vcc_lo
	v_mul_lo_u32 v15, s7, v12
	s_delay_alu instid0(VALU_DEP_2) | instskip(SKIP_1) | instid1(VALU_DEP_1)
	;; [unrolled: 17-line block ×8, first 2 shown]
	v_mul_lo_u32 v162, s6, v161
	v_mad_co_u64_u32 v[160:161], null, s6, v160, 0
	v_add3_u32 v161, v161, v162, v163
	v_add_co_u32 v162, vcc_lo, v0, 14
	s_wait_alu 0xfffd
	v_add_co_ci_u32_e64 v163, null, 0, v9, vcc_lo
	s_delay_alu instid0(VALU_DEP_2) | instskip(NEXT) | instid1(VALU_DEP_2)
	v_mul_lo_u32 v165, s7, v162
	v_mul_lo_u32 v164, s6, v163
	v_mad_co_u64_u32 v[162:163], null, s6, v162, 0
	s_delay_alu instid0(VALU_DEP_1) | instskip(SKIP_3) | instid1(VALU_DEP_2)
	v_add3_u32 v163, v163, v164, v165
	v_add_co_u32 v164, vcc_lo, v0, 13
	s_wait_alu 0xfffd
	v_add_co_ci_u32_e64 v165, null, 0, v9, vcc_lo
	v_mul_lo_u32 v166, s7, v164
	v_mad_co_u64_u32 v[168:169], null, s6, v164, 0
	s_delay_alu instid0(VALU_DEP_3) | instskip(SKIP_1) | instid1(VALU_DEP_1)
	v_mul_lo_u32 v165, s6, v165
	v_add_co_u32 v164, vcc_lo, v0, 12
	v_mad_co_u64_u32 v[170:171], null, s6, v164, 0
	s_delay_alu instid0(VALU_DEP_3) | instskip(SKIP_4) | instid1(VALU_DEP_3)
	v_add3_u32 v169, v169, v165, v166
	s_wait_alu 0xfffd
	v_add_co_ci_u32_e64 v165, null, 0, v9, vcc_lo
	v_mul_lo_u32 v166, s7, v164
	v_add_co_u32 v164, vcc_lo, v0, 11
	v_mul_lo_u32 v165, s6, v165
	s_delay_alu instid0(VALU_DEP_2) | instskip(NEXT) | instid1(VALU_DEP_2)
	v_mad_co_u64_u32 v[172:173], null, s6, v164, 0
	v_add3_u32 v171, v171, v165, v166
	s_wait_alu 0xfffd
	v_add_co_ci_u32_e64 v165, null, 0, v9, vcc_lo
	v_mul_lo_u32 v166, s7, v164
	v_add_co_u32 v164, vcc_lo, v0, 10
	s_delay_alu instid0(VALU_DEP_3) | instskip(NEXT) | instid1(VALU_DEP_2)
	v_mul_lo_u32 v165, s6, v165
	v_mad_co_u64_u32 v[174:175], null, s6, v164, 0
	s_delay_alu instid0(VALU_DEP_2) | instskip(SKIP_4) | instid1(VALU_DEP_3)
	v_add3_u32 v173, v173, v165, v166
	s_wait_alu 0xfffd
	v_add_co_ci_u32_e64 v165, null, 0, v9, vcc_lo
	v_mul_lo_u32 v166, s7, v164
	v_add_co_u32 v164, vcc_lo, v0, 9
	v_mul_lo_u32 v165, s6, v165
	s_delay_alu instid0(VALU_DEP_2) | instskip(NEXT) | instid1(VALU_DEP_2)
	v_mad_co_u64_u32 v[176:177], null, s6, v164, 0
	v_add3_u32 v175, v175, v165, v166
	s_wait_alu 0xfffd
	v_add_co_ci_u32_e64 v165, null, 0, v9, vcc_lo
	v_mul_lo_u32 v166, s7, v164
	v_add_co_u32 v164, vcc_lo, v0, 8
	s_delay_alu instid0(VALU_DEP_3) | instskip(NEXT) | instid1(VALU_DEP_2)
	v_mul_lo_u32 v165, s6, v165
	v_mad_co_u64_u32 v[178:179], null, s6, v164, 0
	s_delay_alu instid0(VALU_DEP_2) | instskip(SKIP_4) | instid1(VALU_DEP_3)
	;; [unrolled: 17-line block ×4, first 2 shown]
	v_add3_u32 v185, v185, v165, v166
	s_wait_alu 0xfffd
	v_add_co_ci_u32_e64 v165, null, 0, v9, vcc_lo
	v_mul_lo_u32 v166, s7, v164
	v_add_co_u32 v164, vcc_lo, v0, 3
	v_mul_lo_u32 v165, s6, v165
	s_delay_alu instid0(VALU_DEP_2) | instskip(NEXT) | instid1(VALU_DEP_2)
	v_mad_co_u64_u32 v[189:190], null, s6, v164, 0
	v_add3_u32 v187, v187, v165, v166
	s_wait_alu 0xfffd
	v_add_co_ci_u32_e64 v165, null, 0, v9, vcc_lo
	v_add_co_u32 v0, vcc_lo, v0, 2
	s_wait_alu 0xfffd
	v_add_co_ci_u32_e64 v9, null, 0, v9, vcc_lo
	v_mul_lo_u32 v166, s7, v164
	s_delay_alu instid0(VALU_DEP_3) | instskip(SKIP_1) | instid1(VALU_DEP_4)
	v_mul_lo_u32 v164, s7, v0
	v_mad_co_u64_u32 v[193:194], null, s6, v0, 0
	v_mul_lo_u32 v9, s6, v9
	v_mul_lo_u32 v165, s6, v165
	v_add_co_u32 v197, vcc_lo, v1, s6
	v_lshlrev_b64_e32 v[0:1], 1, v[1:2]
	s_wait_alu 0xfffd
	v_add_co_ci_u32_e64 v198, null, s7, v2, vcc_lo
	v_add3_u32 v194, v194, v9, v164
	v_add3_u32 v190, v190, v165, v166
	s_delay_alu instid0(VALU_DEP_4)
	v_add_co_u32 v164, vcc_lo, s8, v0
	s_wait_alu 0xfffd
	v_add_co_ci_u32_e64 v165, null, s9, v1, vcc_lo
	v_add_co_u32 v166, vcc_lo, s10, v0
	s_wait_alu 0xfffd
	v_add_co_ci_u32_e64 v167, null, s11, v1, vcc_lo
	v_lshlrev_b64_e32 v[0:1], 1, v[3:4]
	s_delay_alu instid0(VALU_DEP_1)
	v_add_co_u32 v2, vcc_lo, s8, v0
	scratch_store_b32 off, v2, off offset:4 ; 4-byte Folded Spill
	s_wait_alu 0xfffd
	v_add_co_ci_u32_e64 v2, null, s9, v1, vcc_lo
	v_add_co_u32 v0, vcc_lo, s10, v0
	s_clause 0x1
	scratch_store_b32 off, v2, off offset:8
	scratch_store_b32 off, v0, off offset:12
	s_wait_alu 0xfffd
	v_add_co_ci_u32_e64 v0, null, s11, v1, vcc_lo
	scratch_store_b32 off, v0, off offset:16 ; 4-byte Folded Spill
	v_lshlrev_b64_e32 v[0:1], 1, v[5:6]
	s_delay_alu instid0(VALU_DEP_1)
	v_add_co_u32 v2, vcc_lo, s8, v0
	scratch_store_b32 off, v2, off offset:20 ; 4-byte Folded Spill
	s_wait_alu 0xfffd
	v_add_co_ci_u32_e64 v2, null, s9, v1, vcc_lo
	v_add_co_u32 v0, vcc_lo, s10, v0
	s_clause 0x1
	scratch_store_b32 off, v2, off offset:24
	scratch_store_b32 off, v0, off offset:28
	s_wait_alu 0xfffd
	v_add_co_ci_u32_e64 v0, null, s11, v1, vcc_lo
	scratch_store_b32 off, v0, off offset:32 ; 4-byte Folded Spill
	;; [unrolled: 13-line block ×18, first 2 shown]
	v_lshlrev_b64_e32 v[0:1], 1, v[168:169]
	s_delay_alu instid0(VALU_DEP_1) | instskip(SKIP_1) | instid1(VALU_DEP_2)
	v_add_co_u32 v240, vcc_lo, s8, v0
	s_wait_alu 0xfffd
	v_add_co_ci_u32_e64 v241, null, s9, v1, vcc_lo
	v_add_co_u32 v242, vcc_lo, s10, v0
	s_wait_alu 0xfffd
	v_add_co_ci_u32_e64 v243, null, s11, v1, vcc_lo
	v_lshlrev_b64_e32 v[0:1], 1, v[170:171]
	s_delay_alu instid0(VALU_DEP_1) | instskip(SKIP_1) | instid1(VALU_DEP_2)
	v_add_co_u32 v244, vcc_lo, s8, v0
	s_wait_alu 0xfffd
	v_add_co_ci_u32_e64 v245, null, s9, v1, vcc_lo
	v_add_co_u32 v246, vcc_lo, s10, v0
	s_wait_alu 0xfffd
	v_add_co_ci_u32_e64 v247, null, s11, v1, vcc_lo
	;; [unrolled: 8-line block ×12, first 2 shown]
	v_lshlrev_b64_e32 v[1:2], 1, v[197:198]
	s_delay_alu instid0(VALU_DEP_1) | instskip(SKIP_1) | instid1(VALU_DEP_2)
	v_add_co_u32 v197, vcc_lo, s8, v1
	s_wait_alu 0xfffd
	v_add_co_ci_u32_e64 v198, null, s9, v2, vcc_lo
	v_add_co_u32 v199, vcc_lo, s10, v1
	v_and_b32_e32 v1, 0x3ff, v228
	s_wait_alu 0xfffd
	v_add_co_ci_u32_e64 v200, null, s11, v2, vcc_lo
	s_wait_kmcnt 0x0
	s_lshl_b32 s8, s2, 5
	s_wait_alu 0xfffe
	s_mov_b32 s9, s3
	scratch_store_b32 off, v1, off offset:300 ; 4-byte Folded Spill
	v_dual_mov_b32 v1, 0 :: v_dual_add_nc_u32 v2, s30, v1
	s_wait_alu 0xfffe
	s_mul_u64 s[18:19], s[6:7], s[8:9]
	s_add_nc_u64 s[10:11], s[0:1], 64
	s_wait_alu 0xfffe
	s_lshl_b64 s[18:19], s[18:19], 1
	v_dual_mov_b32 v3, v1 :: v_dual_mov_b32 v202, v1
	s_delay_alu instid0(VALU_DEP_1)
	v_lshlrev_b64_e32 v[158:159], 1, v[2:3]
.LBB74_145:                             ; =>This Inner Loop Header: Depth=1
	scratch_load_b32 v2, off, off           ; 4-byte Folded Reload
	s_add_nc_u64 s[24:25], s[16:17], s[20:21]
                                        ; implicit-def: $vgpr201
                                        ; implicit-def: $vgpr203
	s_wait_alu 0xfffe
	v_cmp_ge_i64_e64 s2, s[24:25], s[4:5]
	s_wait_loadcnt 0x0
	v_add_co_u32 v160, vcc_lo, s16, v2
	s_wait_alu 0xfffd
	v_add_co_ci_u32_e64 v161, null, 0, v202, vcc_lo
	s_and_b32 vcc_lo, exec_lo, s2
	s_mov_b32 s2, -1
	s_wait_alu 0xfffe
	s_cbranch_vccz .LBB74_213
; %bb.146:                              ;   in Loop: Header=BB74_145 Depth=1
	s_load_b32 s2, s[10:11], 0xc
	s_clause 0x1
	scratch_load_b32 v2, off, off offset:296
	scratch_load_b32 v3, off, off offset:300
	v_dual_mov_b32 v204, 0 :: v_dual_mov_b32 v201, 0
	v_mov_b32_e32 v223, 0
	s_wait_kmcnt 0x0
	s_and_b32 s2, s2, 0xffff
	s_wait_loadcnt 0x0
	s_wait_alu 0xfffe
	v_mad_u32_u24 v2, v2, s2, v3
	s_mov_b32 s2, exec_lo
	s_delay_alu instid0(VALU_DEP_1) | instskip(NEXT) | instid1(VALU_DEP_1)
	v_and_b32_e32 v2, 31, v2
	v_add_co_u32 v2, vcc_lo, v160, v2
	s_wait_alu 0xfffd
	v_add_co_ci_u32_e64 v3, null, 0, v161, vcc_lo
	s_delay_alu instid0(VALU_DEP_1)
	v_cmpx_gt_i64_e64 s[4:5], v[2:3]
	s_cbranch_execz .LBB74_148
; %bb.147:                              ;   in Loop: Header=BB74_145 Depth=1
	v_lshlrev_b64_e32 v[2:3], 2, v[2:3]
	s_delay_alu instid0(VALU_DEP_1) | instskip(SKIP_1) | instid1(VALU_DEP_2)
	v_add_co_u32 v4, vcc_lo, s12, v2
	s_wait_alu 0xfffd
	v_add_co_ci_u32_e64 v5, null, s13, v3, vcc_lo
	v_add_co_u32 v2, vcc_lo, s14, v2
	s_wait_alu 0xfffd
	v_add_co_ci_u32_e64 v3, null, s15, v3, vcc_lo
	global_load_b32 v201, v[4:5], off
	global_load_b32 v204, v[2:3], off
.LBB74_148:                             ;   in Loop: Header=BB74_145 Depth=1
	s_wait_alu 0xfffe
	s_or_b32 exec_lo, exec_lo, s2
	v_mov_b32_e32 v32, v1
	v_dual_mov_b32 v2, v1 :: v_dual_mov_b32 v3, v1
	v_dual_mov_b32 v4, v1 :: v_dual_mov_b32 v5, v1
	;; [unrolled: 1-line block ×15, first 2 shown]
	v_mov_b32_e32 v33, v32
	s_delay_alu instid0(VALU_DEP_2) | instskip(NEXT) | instid1(VALU_DEP_3)
	v_mov_b32_e32 v32, v31
	v_mov_b32_e32 v31, v30
	;; [unrolled: 1-line block ×31, first 2 shown]
	s_mov_b32 s2, exec_lo
	v_cmpx_gt_i64_e64 s[4:5], v[160:161]
	s_cbranch_execz .LBB74_150
; %bb.149:                              ;   in Loop: Header=BB74_145 Depth=1
	v_add_co_u32 v2, vcc_lo, v164, v158
	s_wait_alu 0xfffd
	v_add_co_ci_u32_e64 v3, null, v165, v159, vcc_lo
	v_dual_mov_b32 v5, v1 :: v_dual_mov_b32 v6, v1
	v_dual_mov_b32 v7, v1 :: v_dual_mov_b32 v8, v1
	global_load_u16 v4, v[2:3], off
	v_add_co_u32 v2, vcc_lo, v166, v158
	s_wait_alu 0xfffd
	v_add_co_ci_u32_e64 v3, null, v167, v159, vcc_lo
	v_dual_mov_b32 v9, v1 :: v_dual_mov_b32 v10, v1
	v_dual_mov_b32 v11, v1 :: v_dual_mov_b32 v12, v1
	global_load_u16 v203, v[2:3], off
	v_mov_b32_e32 v3, v1
	v_dual_mov_b32 v13, v1 :: v_dual_mov_b32 v14, v1
	v_dual_mov_b32 v15, v1 :: v_dual_mov_b32 v16, v1
	;; [unrolled: 1-line block ×10, first 2 shown]
	v_mov_b32_e32 v33, v1
	s_wait_loadcnt 0x1
	v_cvt_f32_f16_e32 v2, v4
	v_mov_b32_e32 v4, v1
	s_wait_loadcnt 0x0
	v_cvt_f32_f16_e64 v223, v203
.LBB74_150:                             ;   in Loop: Header=BB74_145 Depth=1
	s_wait_alu 0xfffe
	s_or_b32 exec_lo, exec_lo, s2
	v_add_co_u32 v206, vcc_lo, v160, 1
	s_wait_alu 0xfffd
	v_add_co_ci_u32_e64 v207, null, 0, v161, vcc_lo
	v_dual_mov_b32 v224, 0 :: v_dual_mov_b32 v225, 0
	s_mov_b32 s2, exec_lo
	s_delay_alu instid0(VALU_DEP_2)
	v_cmpx_gt_i64_e64 s[4:5], v[206:207]
	s_cbranch_execz .LBB74_152
; %bb.151:                              ;   in Loop: Header=BB74_145 Depth=1
	v_add_co_u32 v206, vcc_lo, v199, v158
	s_wait_alu 0xfffd
	v_add_co_ci_u32_e64 v207, null, v200, v159, vcc_lo
	v_add_co_u32 v208, vcc_lo, v197, v158
	s_wait_alu 0xfffd
	v_add_co_ci_u32_e64 v209, null, v198, v159, vcc_lo
	global_load_u16 v3, v[206:207], off
	global_load_u16 v203, v[208:209], off
	s_wait_loadcnt 0x1
	v_cvt_f32_f16_e64 v225, v3
	s_wait_loadcnt 0x0
	v_cvt_f32_f16_e64 v3, v203
.LBB74_152:                             ;   in Loop: Header=BB74_145 Depth=1
	s_wait_alu 0xfffe
	s_or_b32 exec_lo, exec_lo, s2
	v_add_co_u32 v206, vcc_lo, v160, 2
	s_wait_alu 0xfffd
	v_add_co_ci_u32_e64 v207, null, 0, v161, vcc_lo
	s_mov_b32 s2, exec_lo
	v_cmpx_gt_i64_e64 s[4:5], v[206:207]
	s_cbranch_execz .LBB74_154
; %bb.153:                              ;   in Loop: Header=BB74_145 Depth=1
	v_add_co_u32 v206, vcc_lo, v195, v158
	s_wait_alu 0xfffd
	v_add_co_ci_u32_e64 v207, null, v196, v159, vcc_lo
	v_add_co_u32 v208, vcc_lo, v193, v158
	s_wait_alu 0xfffd
	v_add_co_ci_u32_e64 v209, null, v194, v159, vcc_lo
	global_load_u16 v4, v[206:207], off
	global_load_u16 v203, v[208:209], off
	s_wait_loadcnt 0x1
	v_cvt_f32_f16_e64 v224, v4
	s_wait_loadcnt 0x0
	v_cvt_f32_f16_e64 v4, v203
.LBB74_154:                             ;   in Loop: Header=BB74_145 Depth=1
	s_wait_alu 0xfffe
	s_or_b32 exec_lo, exec_lo, s2
	v_add_co_u32 v206, vcc_lo, v160, 3
	s_wait_alu 0xfffd
	v_add_co_ci_u32_e64 v207, null, 0, v161, vcc_lo
	v_dual_mov_b32 v226, 0 :: v_dual_mov_b32 v227, 0
	s_mov_b32 s2, exec_lo
	s_delay_alu instid0(VALU_DEP_2)
	v_cmpx_gt_i64_e64 s[4:5], v[206:207]
	s_cbranch_execz .LBB74_156
; %bb.155:                              ;   in Loop: Header=BB74_145 Depth=1
	v_add_co_u32 v206, vcc_lo, v191, v158
	s_wait_alu 0xfffd
	v_add_co_ci_u32_e64 v207, null, v192, v159, vcc_lo
	v_add_co_u32 v208, vcc_lo, v189, v158
	s_wait_alu 0xfffd
	v_add_co_ci_u32_e64 v209, null, v190, v159, vcc_lo
	global_load_u16 v5, v[206:207], off
	global_load_u16 v203, v[208:209], off
	s_wait_loadcnt 0x1
	v_cvt_f32_f16_e64 v227, v5
	s_wait_loadcnt 0x0
	v_cvt_f32_f16_e64 v5, v203
.LBB74_156:                             ;   in Loop: Header=BB74_145 Depth=1
	s_wait_alu 0xfffe
	s_or_b32 exec_lo, exec_lo, s2
	v_add_co_u32 v206, vcc_lo, v160, 4
	s_wait_alu 0xfffd
	v_add_co_ci_u32_e64 v207, null, 0, v161, vcc_lo
	s_mov_b32 s2, exec_lo
	v_cmpx_gt_i64_e64 s[4:5], v[206:207]
	s_cbranch_execz .LBB74_158
; %bb.157:                              ;   in Loop: Header=BB74_145 Depth=1
	v_add_co_u32 v206, vcc_lo, v187, v158
	s_wait_alu 0xfffd
	v_add_co_ci_u32_e64 v207, null, v188, v159, vcc_lo
	v_add_co_u32 v208, vcc_lo, v185, v158
	s_wait_alu 0xfffd
	v_add_co_ci_u32_e64 v209, null, v186, v159, vcc_lo
	global_load_u16 v6, v[206:207], off
	global_load_u16 v203, v[208:209], off
	s_wait_loadcnt 0x1
	v_cvt_f32_f16_e64 v226, v6
	s_wait_loadcnt 0x0
	v_cvt_f32_f16_e64 v6, v203
.LBB74_158:                             ;   in Loop: Header=BB74_145 Depth=1
	;; [unrolled: 46-line block ×6, first 2 shown]
	s_wait_alu 0xfffe
	s_or_b32 exec_lo, exec_lo, s2
	v_add_co_u32 v206, vcc_lo, v160, 13
	s_wait_alu 0xfffd
	v_add_co_ci_u32_e64 v207, null, 0, v161, vcc_lo
	v_dual_mov_b32 v236, 0 :: v_dual_mov_b32 v237, 0
	s_mov_b32 s2, exec_lo
	s_delay_alu instid0(VALU_DEP_2)
	v_cmpx_gt_i64_e64 s[4:5], v[206:207]
	s_cbranch_execz .LBB74_176
; %bb.175:                              ;   in Loop: Header=BB74_145 Depth=1
	v_add_co_u32 v206, vcc_lo, v242, v158
	s_wait_alu 0xfffd
	v_add_co_ci_u32_e64 v207, null, v243, v159, vcc_lo
	v_add_co_u32 v208, vcc_lo, v240, v158
	s_wait_alu 0xfffd
	v_add_co_ci_u32_e64 v209, null, v241, v159, vcc_lo
	global_load_u16 v15, v[206:207], off
	global_load_u16 v203, v[208:209], off
	s_wait_loadcnt 0x1
	v_cvt_f32_f16_e64 v237, v15
	s_wait_loadcnt 0x0
	v_cvt_f32_f16_e64 v15, v203
.LBB74_176:                             ;   in Loop: Header=BB74_145 Depth=1
	s_wait_alu 0xfffe
	s_or_b32 exec_lo, exec_lo, s2
	v_add_co_u32 v206, vcc_lo, v160, 14
	s_wait_alu 0xfffd
	v_add_co_ci_u32_e64 v207, null, 0, v161, vcc_lo
	s_mov_b32 s2, exec_lo
	v_cmpx_gt_i64_e64 s[4:5], v[206:207]
	s_cbranch_execz .LBB74_178
; %bb.177:                              ;   in Loop: Header=BB74_145 Depth=1
	scratch_load_b32 v16, off, off offset:284 ; 4-byte Folded Reload
	s_wait_loadcnt 0x0
	v_add_co_u32 v206, vcc_lo, v16, v158
	scratch_load_b32 v16, off, off offset:288 ; 4-byte Folded Reload
	s_wait_loadcnt 0x0
	s_wait_alu 0xfffd
	v_add_co_ci_u32_e64 v207, null, v16, v159, vcc_lo
	scratch_load_b32 v16, off, off offset:276 ; 4-byte Folded Reload
	s_wait_loadcnt 0x0
	v_add_co_u32 v208, vcc_lo, v16, v158
	scratch_load_b32 v16, off, off offset:280 ; 4-byte Folded Reload
	s_wait_loadcnt 0x0
	s_wait_alu 0xfffd
	v_add_co_ci_u32_e64 v209, null, v16, v159, vcc_lo
	global_load_u16 v16, v[206:207], off
	global_load_u16 v203, v[208:209], off
	s_wait_loadcnt 0x1
	v_cvt_f32_f16_e64 v236, v16
	s_wait_loadcnt 0x0
	v_cvt_f32_f16_e64 v16, v203
.LBB74_178:                             ;   in Loop: Header=BB74_145 Depth=1
	s_wait_alu 0xfffe
	s_or_b32 exec_lo, exec_lo, s2
	v_add_co_u32 v206, vcc_lo, v160, 15
	s_wait_alu 0xfffd
	v_add_co_ci_u32_e64 v207, null, 0, v161, vcc_lo
	v_mov_b32_e32 v239, 0
	v_mov_b32_e32 v203, 0
	s_mov_b32 s2, exec_lo
	scratch_store_b32 off, v203, off offset:292 ; 4-byte Folded Spill
	v_cmpx_gt_i64_e64 s[4:5], v[206:207]
	s_cbranch_execz .LBB74_180
; %bb.179:                              ;   in Loop: Header=BB74_145 Depth=1
	scratch_load_b32 v17, off, off offset:268 ; 4-byte Folded Reload
	s_wait_loadcnt 0x0
	v_add_co_u32 v206, vcc_lo, v17, v158
	scratch_load_b32 v17, off, off offset:272 ; 4-byte Folded Reload
	s_wait_loadcnt 0x0
	s_wait_alu 0xfffd
	v_add_co_ci_u32_e64 v207, null, v17, v159, vcc_lo
	scratch_load_b32 v17, off, off offset:260 ; 4-byte Folded Reload
	s_wait_loadcnt 0x0
	v_add_co_u32 v208, vcc_lo, v17, v158
	scratch_load_b32 v17, off, off offset:264 ; 4-byte Folded Reload
	s_wait_loadcnt 0x0
	s_wait_alu 0xfffd
	v_add_co_ci_u32_e64 v209, null, v17, v159, vcc_lo
	global_load_u16 v17, v[206:207], off
	global_load_u16 v203, v[208:209], off
	s_wait_loadcnt 0x1
	v_cvt_f32_f16_e32 v17, v17
	scratch_store_b32 off, v17, off offset:292 ; 4-byte Folded Spill
	s_wait_loadcnt 0x0
	v_cvt_f32_f16_e64 v17, v203
.LBB74_180:                             ;   in Loop: Header=BB74_145 Depth=1
	s_wait_alu 0xfffe
	s_or_b32 exec_lo, exec_lo, s2
	v_add_co_u32 v206, vcc_lo, v160, 16
	s_wait_alu 0xfffd
	v_add_co_ci_u32_e64 v207, null, 0, v161, vcc_lo
	s_mov_b32 s2, exec_lo
	v_cmpx_gt_i64_e64 s[4:5], v[206:207]
	s_cbranch_execz .LBB74_182
; %bb.181:                              ;   in Loop: Header=BB74_145 Depth=1
	scratch_load_b32 v18, off, off offset:252 ; 4-byte Folded Reload
	s_wait_loadcnt 0x0
	v_add_co_u32 v206, vcc_lo, v18, v158
	scratch_load_b32 v18, off, off offset:256 ; 4-byte Folded Reload
	s_wait_loadcnt 0x0
	s_wait_alu 0xfffd
	v_add_co_ci_u32_e64 v207, null, v18, v159, vcc_lo
	scratch_load_b32 v18, off, off offset:244 ; 4-byte Folded Reload
	s_wait_loadcnt 0x0
	v_add_co_u32 v208, vcc_lo, v18, v158
	scratch_load_b32 v18, off, off offset:248 ; 4-byte Folded Reload
	s_wait_loadcnt 0x0
	s_wait_alu 0xfffd
	v_add_co_ci_u32_e64 v209, null, v18, v159, vcc_lo
	global_load_u16 v18, v[206:207], off
	global_load_u16 v203, v[208:209], off
	s_wait_loadcnt 0x1
	v_cvt_f32_f16_e64 v239, v18
	s_wait_loadcnt 0x0
	v_cvt_f32_f16_e64 v18, v203
.LBB74_182:                             ;   in Loop: Header=BB74_145 Depth=1
	s_wait_alu 0xfffe
	s_or_b32 exec_lo, exec_lo, s2
	v_add_co_u32 v206, vcc_lo, v160, 17
	s_wait_alu 0xfffd
	v_add_co_ci_u32_e64 v207, null, 0, v161, vcc_lo
	v_mov_b32_e32 v203, 0
	s_delay_alu instid0(VALU_DEP_2)
	v_cmp_gt_i64_e32 vcc_lo, s[4:5], v[206:207]
	v_mov_b32_e32 v206, 0
	s_and_saveexec_b32 s2, vcc_lo
	s_cbranch_execz .LBB74_184
; %bb.183:                              ;   in Loop: Header=BB74_145 Depth=1
	scratch_load_b32 v19, off, off offset:236 ; 4-byte Folded Reload
	s_wait_loadcnt 0x0
	v_add_co_u32 v206, vcc_lo, v19, v158
	scratch_load_b32 v19, off, off offset:240 ; 4-byte Folded Reload
	s_wait_loadcnt 0x0
	s_wait_alu 0xfffd
	v_add_co_ci_u32_e64 v207, null, v19, v159, vcc_lo
	scratch_load_b32 v19, off, off offset:228 ; 4-byte Folded Reload
	s_wait_loadcnt 0x0
	v_add_co_u32 v208, vcc_lo, v19, v158
	scratch_load_b32 v19, off, off offset:232 ; 4-byte Folded Reload
	s_wait_loadcnt 0x0
	s_wait_alu 0xfffd
	v_add_co_ci_u32_e64 v209, null, v19, v159, vcc_lo
	global_load_u16 v19, v[206:207], off
	global_load_u16 v207, v[208:209], off
	s_wait_loadcnt 0x1
	v_cvt_f32_f16_e64 v206, v19
	s_wait_loadcnt 0x0
	v_cvt_f32_f16_e64 v19, v207
.LBB74_184:                             ;   in Loop: Header=BB74_145 Depth=1
	s_wait_alu 0xfffe
	s_or_b32 exec_lo, exec_lo, s2
	v_add_co_u32 v207, vcc_lo, v160, 18
	s_wait_alu 0xfffd
	v_add_co_ci_u32_e64 v208, null, 0, v161, vcc_lo
	s_mov_b32 s2, exec_lo
	v_cmpx_gt_i64_e64 s[4:5], v[207:208]
	s_cbranch_execz .LBB74_186
; %bb.185:                              ;   in Loop: Header=BB74_145 Depth=1
	scratch_load_b32 v20, off, off offset:220 ; 4-byte Folded Reload
	s_wait_loadcnt 0x0
	v_add_co_u32 v207, vcc_lo, v20, v158
	scratch_load_b32 v20, off, off offset:224 ; 4-byte Folded Reload
	s_wait_loadcnt 0x0
	s_wait_alu 0xfffd
	v_add_co_ci_u32_e64 v208, null, v20, v159, vcc_lo
	scratch_load_b32 v20, off, off offset:212 ; 4-byte Folded Reload
	s_wait_loadcnt 0x0
	v_add_co_u32 v209, vcc_lo, v20, v158
	scratch_load_b32 v20, off, off offset:216 ; 4-byte Folded Reload
	s_wait_loadcnt 0x0
	s_wait_alu 0xfffd
	v_add_co_ci_u32_e64 v210, null, v20, v159, vcc_lo
	global_load_u16 v20, v[207:208], off
	global_load_u16 v207, v[209:210], off
	s_wait_loadcnt 0x1
	v_cvt_f32_f16_e64 v203, v20
	s_wait_loadcnt 0x0
	v_cvt_f32_f16_e64 v20, v207
.LBB74_186:                             ;   in Loop: Header=BB74_145 Depth=1
	s_wait_alu 0xfffe
	s_or_b32 exec_lo, exec_lo, s2
	v_add_co_u32 v207, vcc_lo, v160, 19
	s_wait_alu 0xfffd
	v_add_co_ci_u32_e64 v208, null, 0, v161, vcc_lo
	s_delay_alu instid0(VALU_DEP_1)
	v_cmp_gt_i64_e32 vcc_lo, s[4:5], v[207:208]
	v_dual_mov_b32 v207, 0 :: v_dual_mov_b32 v208, 0
	s_and_saveexec_b32 s2, vcc_lo
	s_cbranch_execz .LBB74_188
; %bb.187:                              ;   in Loop: Header=BB74_145 Depth=1
	scratch_load_b32 v21, off, off offset:204 ; 4-byte Folded Reload
	s_wait_loadcnt 0x0
	v_add_co_u32 v208, vcc_lo, v21, v158
	scratch_load_b32 v21, off, off offset:208 ; 4-byte Folded Reload
	s_wait_loadcnt 0x0
	s_wait_alu 0xfffd
	v_add_co_ci_u32_e64 v209, null, v21, v159, vcc_lo
	scratch_load_b32 v21, off, off offset:196 ; 4-byte Folded Reload
	s_wait_loadcnt 0x0
	v_add_co_u32 v210, vcc_lo, v21, v158
	scratch_load_b32 v21, off, off offset:200 ; 4-byte Folded Reload
	s_wait_loadcnt 0x0
	s_wait_alu 0xfffd
	v_add_co_ci_u32_e64 v211, null, v21, v159, vcc_lo
	global_load_u16 v21, v[208:209], off
	global_load_u16 v209, v[210:211], off
	s_wait_loadcnt 0x1
	v_cvt_f32_f16_e64 v208, v21
	s_wait_loadcnt 0x0
	v_cvt_f32_f16_e64 v21, v209
.LBB74_188:                             ;   in Loop: Header=BB74_145 Depth=1
	s_wait_alu 0xfffe
	s_or_b32 exec_lo, exec_lo, s2
	v_add_co_u32 v209, vcc_lo, v160, 20
	s_wait_alu 0xfffd
	v_add_co_ci_u32_e64 v210, null, 0, v161, vcc_lo
	s_mov_b32 s2, exec_lo
	v_cmpx_gt_i64_e64 s[4:5], v[209:210]
	s_cbranch_execz .LBB74_190
; %bb.189:                              ;   in Loop: Header=BB74_145 Depth=1
	scratch_load_b32 v22, off, off offset:188 ; 4-byte Folded Reload
	s_wait_loadcnt 0x0
	v_add_co_u32 v209, vcc_lo, v22, v158
	scratch_load_b32 v22, off, off offset:192 ; 4-byte Folded Reload
	s_wait_loadcnt 0x0
	s_wait_alu 0xfffd
	v_add_co_ci_u32_e64 v210, null, v22, v159, vcc_lo
	scratch_load_b32 v22, off, off offset:180 ; 4-byte Folded Reload
	s_wait_loadcnt 0x0
	v_add_co_u32 v211, vcc_lo, v22, v158
	scratch_load_b32 v22, off, off offset:184 ; 4-byte Folded Reload
	s_wait_loadcnt 0x0
	s_wait_alu 0xfffd
	v_add_co_ci_u32_e64 v212, null, v22, v159, vcc_lo
	global_load_u16 v22, v[209:210], off
	global_load_u16 v209, v[211:212], off
	s_wait_loadcnt 0x1
	v_cvt_f32_f16_e64 v207, v22
	s_wait_loadcnt 0x0
	v_cvt_f32_f16_e64 v22, v209
.LBB74_190:                             ;   in Loop: Header=BB74_145 Depth=1
	s_wait_alu 0xfffe
	s_or_b32 exec_lo, exec_lo, s2
	v_add_co_u32 v209, vcc_lo, v160, 21
	s_wait_alu 0xfffd
	v_add_co_ci_u32_e64 v210, null, 0, v161, vcc_lo
	s_delay_alu instid0(VALU_DEP_1)
	v_cmp_gt_i64_e32 vcc_lo, s[4:5], v[209:210]
	v_dual_mov_b32 v209, 0 :: v_dual_mov_b32 v210, 0
	;; [unrolled: 62-line block ×6, first 2 shown]
	s_and_saveexec_b32 s2, vcc_lo
	s_cbranch_execz .LBB74_208
; %bb.207:                              ;   in Loop: Header=BB74_145 Depth=1
	scratch_load_b32 v31, off, off offset:44 ; 4-byte Folded Reload
	s_wait_loadcnt 0x0
	v_add_co_u32 v218, vcc_lo, v31, v158
	scratch_load_b32 v31, off, off offset:48 ; 4-byte Folded Reload
	s_wait_loadcnt 0x0
	s_wait_alu 0xfffd
	v_add_co_ci_u32_e64 v219, null, v31, v159, vcc_lo
	scratch_load_b32 v31, off, off offset:36 ; 4-byte Folded Reload
	s_wait_loadcnt 0x0
	v_add_co_u32 v220, vcc_lo, v31, v158
	scratch_load_b32 v31, off, off offset:40 ; 4-byte Folded Reload
	s_wait_loadcnt 0x0
	s_wait_alu 0xfffd
	v_add_co_ci_u32_e64 v221, null, v31, v159, vcc_lo
	global_load_u16 v31, v[218:219], off
	global_load_u16 v219, v[220:221], off
	s_wait_loadcnt 0x1
	v_cvt_f32_f16_e64 v218, v31
	s_wait_loadcnt 0x0
	v_cvt_f32_f16_e64 v31, v219
.LBB74_208:                             ;   in Loop: Header=BB74_145 Depth=1
	s_wait_alu 0xfffe
	s_or_b32 exec_lo, exec_lo, s2
	v_add_co_u32 v219, vcc_lo, v160, 30
	s_wait_alu 0xfffd
	v_add_co_ci_u32_e64 v220, null, 0, v161, vcc_lo
	s_mov_b32 s2, exec_lo
	v_cmpx_gt_i64_e64 s[4:5], v[219:220]
	s_cbranch_execz .LBB74_210
; %bb.209:                              ;   in Loop: Header=BB74_145 Depth=1
	scratch_load_b32 v32, off, off offset:28 ; 4-byte Folded Reload
	s_wait_loadcnt 0x0
	v_add_co_u32 v219, vcc_lo, v32, v158
	scratch_load_b32 v32, off, off offset:32 ; 4-byte Folded Reload
	s_wait_loadcnt 0x0
	s_wait_alu 0xfffd
	v_add_co_ci_u32_e64 v220, null, v32, v159, vcc_lo
	scratch_load_b32 v32, off, off offset:20 ; 4-byte Folded Reload
	s_wait_loadcnt 0x0
	v_add_co_u32 v221, vcc_lo, v32, v158
	scratch_load_b32 v32, off, off offset:24 ; 4-byte Folded Reload
	s_wait_loadcnt 0x0
	s_wait_alu 0xfffd
	v_add_co_ci_u32_e64 v222, null, v32, v159, vcc_lo
	global_load_u16 v32, v[219:220], off
	global_load_u16 v219, v[221:222], off
	s_wait_loadcnt 0x1
	v_cvt_f32_f16_e64 v217, v32
	s_wait_loadcnt 0x0
	v_cvt_f32_f16_e64 v32, v219
.LBB74_210:                             ;   in Loop: Header=BB74_145 Depth=1
	s_wait_alu 0xfffe
	s_or_b32 exec_lo, exec_lo, s2
	v_add_co_u32 v219, vcc_lo, v160, 31
	s_wait_alu 0xfffd
	v_add_co_ci_u32_e64 v220, null, 0, v161, vcc_lo
	s_delay_alu instid0(VALU_DEP_1)
	v_cmp_gt_i64_e32 vcc_lo, s[4:5], v[219:220]
	v_mov_b32_e32 v219, 0
	s_and_saveexec_b32 s2, vcc_lo
	s_cbranch_execz .LBB74_212
; %bb.211:                              ;   in Loop: Header=BB74_145 Depth=1
	scratch_load_b32 v33, off, off offset:12 ; 4-byte Folded Reload
	s_wait_loadcnt 0x0
	v_add_co_u32 v219, vcc_lo, v33, v158
	scratch_load_b32 v33, off, off offset:16 ; 4-byte Folded Reload
	s_wait_loadcnt 0x0
	s_wait_alu 0xfffd
	v_add_co_ci_u32_e64 v220, null, v33, v159, vcc_lo
	scratch_load_b32 v33, off, off offset:4 ; 4-byte Folded Reload
	s_wait_loadcnt 0x0
	v_add_co_u32 v221, vcc_lo, v33, v158
	scratch_load_b32 v33, off, off offset:8 ; 4-byte Folded Reload
	s_wait_loadcnt 0x0
	s_wait_alu 0xfffd
	v_add_co_ci_u32_e64 v222, null, v33, v159, vcc_lo
	global_load_u16 v33, v[219:220], off
	global_load_u16 v220, v[221:222], off
	s_wait_loadcnt 0x1
	v_cvt_f32_f16_e64 v219, v33
	s_wait_loadcnt 0x0
	v_cvt_f32_f16_e64 v33, v220
.LBB74_212:                             ;   in Loop: Header=BB74_145 Depth=1
	s_wait_alu 0xfffe
	s_or_b32 exec_lo, exec_lo, s2
	s_wait_loadcnt 0x1
	ds_bpermute_b32 v220, v1, v201
	ds_bpermute_b32 v222, v1, v201 offset:8
	ds_bpermute_b32 v221, v1, v201 offset:4
	s_mov_b32 s2, 0
	s_wait_dscnt 0x2
	v_sub_f32_e32 v220, v223, v220
	ds_bpermute_b32 v223, v1, v201 offset:12
	s_wait_dscnt 0x2
	v_sub_f32_e32 v222, v224, v222
	ds_bpermute_b32 v224, v1, v201 offset:16
	;; [unrolled: 3-line block ×16, first 2 shown]
	s_wait_dscnt 0x1
	v_sub_f32_e32 v234, v236, v234
	scratch_load_b32 v236, off, off offset:292 th:TH_LOAD_LU ; 4-byte Folded Reload
	s_wait_dscnt 0x0
	v_sub_f32_e32 v208, v208, v237
	ds_bpermute_b32 v237, v1, v201 offset:80
	s_wait_dscnt 0x0
	v_sub_f32_e32 v207, v207, v237
	ds_bpermute_b32 v237, v1, v201 offset:84
	;; [unrolled: 3-line block ×11, first 2 shown]
	s_wait_dscnt 0x0
	v_sub_f32_e32 v217, v217, v237
	s_wait_loadcnt 0x0
	v_sub_f32_e32 v235, v236, v235
	ds_bpermute_b32 v236, v1, v201 offset:64
	ds_bpermute_b32 v201, v1, v201 offset:124
	s_wait_dscnt 0x1
	v_sub_f32_e32 v236, v239, v236
	s_wait_dscnt 0x0
	v_sub_f32_e32 v201, v219, v201
	v_add_f32_e32 v219, v238, v2
	s_delay_alu instid0(VALU_DEP_1) | instskip(SKIP_1) | instid1(VALU_DEP_2)
	v_dual_mul_f32 v2, v2, v220 :: v_dual_add_f32 v219, v3, v219
	v_mul_f32_e32 v3, v3, v221
	v_add_f32_e32 v219, v4, v219
	s_delay_alu instid0(VALU_DEP_1) | instskip(SKIP_1) | instid1(VALU_DEP_2)
	v_dual_mul_f32 v4, v4, v222 :: v_dual_add_f32 v219, v5, v219
	v_mul_f32_e32 v5, v5, v223
	;; [unrolled: 4-line block ×8, first 2 shown]
	v_add_f32_e32 v219, v18, v219
	s_delay_alu instid0(VALU_DEP_1) | instskip(SKIP_1) | instid1(VALU_DEP_2)
	v_dual_mul_f32 v18, v18, v236 :: v_dual_add_f32 v219, v19, v219
	v_dual_mul_f32 v19, v19, v206 :: v_dual_mul_f32 v206, v33, v201
	v_add_f32_e32 v219, v20, v219
	v_mul_f32_e32 v20, v20, v203
	s_delay_alu instid0(VALU_DEP_2) | instskip(SKIP_1) | instid1(VALU_DEP_2)
	v_add_f32_e32 v219, v21, v219
	v_mul_f32_e32 v21, v21, v208
	v_add_f32_e32 v219, v22, v219
	v_mul_f32_e32 v22, v22, v207
	s_delay_alu instid0(VALU_DEP_2) | instskip(SKIP_1) | instid1(VALU_DEP_2)
	v_add_f32_e32 v219, v23, v219
	v_mul_f32_e32 v23, v23, v210
	v_add_f32_e32 v219, v24, v219
	s_delay_alu instid0(VALU_DEP_1) | instskip(SKIP_1) | instid1(VALU_DEP_2)
	v_dual_mul_f32 v24, v24, v209 :: v_dual_add_f32 v219, v25, v219
	v_mul_f32_e32 v25, v25, v212
	v_add_f32_e32 v219, v26, v219
	v_mul_f32_e32 v26, v26, v211
	s_delay_alu instid0(VALU_DEP_2) | instskip(SKIP_1) | instid1(VALU_DEP_2)
	v_add_f32_e32 v219, v27, v219
	v_mul_f32_e32 v27, v27, v214
	v_add_f32_e32 v219, v28, v219
	s_delay_alu instid0(VALU_DEP_1) | instskip(SKIP_1) | instid1(VALU_DEP_2)
	v_dual_mul_f32 v28, v28, v213 :: v_dual_add_f32 v219, v29, v219
	v_mul_f32_e32 v29, v29, v216
	v_add_f32_e32 v203, v30, v219
	v_mul_f32_e32 v30, v30, v215
	s_delay_alu instid0(VALU_DEP_2) | instskip(SKIP_1) | instid1(VALU_DEP_2)
	v_add_f32_e32 v203, v31, v203
	v_mul_f32_e32 v31, v31, v218
	v_add_f32_e32 v203, v32, v203
	s_delay_alu instid0(VALU_DEP_1)
	v_dual_mul_f32 v32, v32, v217 :: v_dual_add_f32 v201, v33, v203
	ds_bpermute_b32 v33, v1, v204
	s_wait_dscnt 0x0
	v_fma_f32 v203, v2, v33, v205
	ds_bpermute_b32 v2, v1, v204 offset:4
	s_wait_dscnt 0x0
	v_fmac_f32_e32 v203, v3, v2
	ds_bpermute_b32 v2, v1, v204 offset:8
	ds_bpermute_b32 v3, v1, v204 offset:112
	s_wait_dscnt 0x1
	v_fmac_f32_e32 v203, v4, v2
	ds_bpermute_b32 v2, v1, v204 offset:12
	;; [unrolled: 4-line block ×4, first 2 shown]
	s_wait_dscnt 0x0
	v_fmac_f32_e32 v203, v7, v2
	ds_bpermute_b32 v2, v1, v204 offset:24
	s_wait_dscnt 0x0
	v_fmac_f32_e32 v203, v8, v2
	ds_bpermute_b32 v2, v1, v204 offset:28
	;; [unrolled: 3-line block ×23, first 2 shown]
	v_fmac_f32_e32 v203, v30, v3
	s_wait_dscnt 0x0
	s_delay_alu instid0(VALU_DEP_1) | instskip(NEXT) | instid1(VALU_DEP_1)
	v_fmac_f32_e32 v203, v31, v2
	v_fmac_f32_e32 v203, v32, v4
	s_delay_alu instid0(VALU_DEP_1)
	v_fmac_f32_e32 v203, v206, v5
.LBB74_213:                             ;   in Loop: Header=BB74_145 Depth=1
	s_wait_alu 0xfffe
	s_and_b32 vcc_lo, exec_lo, s2
	s_wait_alu 0xfffe
	s_cbranch_vccz .LBB74_217
; %bb.214:                              ;   in Loop: Header=BB74_145 Depth=1
	s_load_b32 s2, s[10:11], 0x0
	v_dual_mov_b32 v4, 0 :: v_dual_mov_b32 v5, 0
	s_wait_kmcnt 0x0
	s_cmp_lt_u32 ttmp9, s2
	s_cselect_b32 s2, 12, 18
	s_wait_alu 0xfffe
	s_add_nc_u64 s[24:25], s[10:11], s[2:3]
	s_load_u16 s2, s[24:25], 0x0
	s_clause 0x1
	scratch_load_b32 v2, off, off offset:296
	scratch_load_b32 v3, off, off offset:300
	s_wait_loadcnt 0x0
	s_wait_kmcnt 0x0
	v_mad_u32_u24 v2, v2, s2, v3
	s_mov_b32 s2, exec_lo
	s_delay_alu instid0(VALU_DEP_1) | instskip(NEXT) | instid1(VALU_DEP_1)
	v_and_b32_e32 v2, 31, v2
	v_add_co_u32 v2, vcc_lo, v160, v2
	s_wait_alu 0xfffd
	v_add_co_ci_u32_e64 v3, null, 0, v161, vcc_lo
	s_delay_alu instid0(VALU_DEP_1)
	v_cmpx_gt_i64_e64 s[4:5], v[2:3]
	s_cbranch_execz .LBB74_216
; %bb.215:                              ;   in Loop: Header=BB74_145 Depth=1
	v_lshlrev_b64_e32 v[2:3], 2, v[2:3]
	s_delay_alu instid0(VALU_DEP_1) | instskip(SKIP_1) | instid1(VALU_DEP_2)
	v_add_co_u32 v4, vcc_lo, s12, v2
	s_wait_alu 0xfffd
	v_add_co_ci_u32_e64 v5, null, s13, v3, vcc_lo
	v_add_co_u32 v2, vcc_lo, s14, v2
	s_wait_alu 0xfffd
	v_add_co_ci_u32_e64 v3, null, s15, v3, vcc_lo
	global_load_b32 v5, v[4:5], off
	global_load_b32 v4, v[2:3], off
.LBB74_216:                             ;   in Loop: Header=BB74_145 Depth=1
	s_wait_alu 0xfffe
	s_or_b32 exec_lo, exec_lo, s2
	v_add_co_u32 v2, vcc_lo, v166, v158
	s_wait_alu 0xfffd
	v_add_co_ci_u32_e64 v3, null, v167, v159, vcc_lo
	global_load_u16 v6, v[2:3], off
	v_add_co_u32 v2, vcc_lo, v164, v158
	s_wait_alu 0xfffd
	v_add_co_ci_u32_e64 v3, null, v165, v159, vcc_lo
	global_load_u16 v2, v[2:3], off
	s_wait_loadcnt 0x1
	v_cvt_f32_f16_e32 v3, v6
	ds_bpermute_b32 v6, v1, v5
	s_wait_loadcnt 0x0
	v_cvt_f32_f16_e32 v2, v2
	s_wait_dscnt 0x0
	v_sub_f32_e32 v3, v3, v6
	ds_bpermute_b32 v6, v1, v4
	v_mul_f32_e32 v3, v3, v2
	v_add_f32_e32 v2, v238, v2
	s_wait_dscnt 0x0
	s_delay_alu instid0(VALU_DEP_2)
	v_fmac_f32_e32 v205, v3, v6
	v_add_co_u32 v6, vcc_lo, v42, v158
	s_wait_alu 0xfffd
	v_add_co_ci_u32_e64 v7, null, v43, v159, vcc_lo
	global_load_u16 v3, v[6:7], off
	v_add_co_u32 v6, vcc_lo, v34, v158
	s_wait_alu 0xfffd
	v_add_co_ci_u32_e64 v7, null, v35, v159, vcc_lo
	global_load_u16 v6, v[6:7], off
	ds_bpermute_b32 v7, v1, v5 offset:4
	s_wait_loadcnt 0x1
	v_cvt_f32_f16_e32 v3, v3
	s_wait_dscnt 0x0
	s_delay_alu instid0(VALU_DEP_1) | instskip(SKIP_2) | instid1(VALU_DEP_1)
	v_sub_f32_e32 v7, v3, v7
	s_wait_loadcnt 0x0
	v_cvt_f32_f16_e32 v3, v6
	v_mul_f32_e32 v6, v7, v3
	ds_bpermute_b32 v7, v1, v4 offset:4
	v_add_f32_e32 v2, v2, v3
	s_wait_dscnt 0x0
	v_fmac_f32_e32 v205, v6, v7
	v_add_co_u32 v6, vcc_lo, v46, v158
	s_wait_alu 0xfffd
	v_add_co_ci_u32_e64 v7, null, v47, v159, vcc_lo
	global_load_u16 v8, v[6:7], off
	v_add_co_u32 v6, vcc_lo, v36, v158
	s_wait_alu 0xfffd
	v_add_co_ci_u32_e64 v7, null, v37, v159, vcc_lo
	global_load_u16 v6, v[6:7], off
	s_wait_loadcnt 0x1
	v_cvt_f32_f16_e32 v7, v8
	ds_bpermute_b32 v8, v1, v5 offset:8
	s_wait_loadcnt 0x0
	v_cvt_f32_f16_e32 v6, v6
	s_wait_dscnt 0x0
	s_delay_alu instid0(VALU_DEP_1) | instskip(SKIP_3) | instid1(VALU_DEP_1)
	v_dual_add_f32 v2, v2, v6 :: v_dual_sub_f32 v7, v7, v8
	ds_bpermute_b32 v8, v1, v4 offset:8
	v_mul_f32_e32 v7, v7, v6
	s_wait_dscnt 0x0
	v_fmac_f32_e32 v205, v7, v8
	v_add_co_u32 v7, vcc_lo, v48, v158
	s_wait_alu 0xfffd
	v_add_co_ci_u32_e64 v8, null, v49, v159, vcc_lo
	global_load_u16 v9, v[7:8], off
	v_add_co_u32 v7, vcc_lo, v38, v158
	s_wait_alu 0xfffd
	v_add_co_ci_u32_e64 v8, null, v39, v159, vcc_lo
	global_load_u16 v7, v[7:8], off
	s_wait_loadcnt 0x1
	v_cvt_f32_f16_e32 v8, v9
	ds_bpermute_b32 v9, v1, v5 offset:12
	s_wait_loadcnt 0x0
	v_cvt_f32_f16_e32 v7, v7
	s_delay_alu instid0(VALU_DEP_1)
	v_add_f32_e32 v2, v2, v7
	s_wait_dscnt 0x0
	v_sub_f32_e32 v8, v8, v9
	ds_bpermute_b32 v9, v1, v4 offset:12
	v_mul_f32_e32 v8, v8, v7
	s_wait_dscnt 0x0
	s_delay_alu instid0(VALU_DEP_1)
	v_fmac_f32_e32 v205, v8, v9
	v_add_co_u32 v8, vcc_lo, v50, v158
	s_wait_alu 0xfffd
	v_add_co_ci_u32_e64 v9, null, v51, v159, vcc_lo
	global_load_u16 v10, v[8:9], off
	v_add_co_u32 v8, vcc_lo, v40, v158
	s_wait_alu 0xfffd
	v_add_co_ci_u32_e64 v9, null, v41, v159, vcc_lo
	global_load_u16 v8, v[8:9], off
	s_wait_loadcnt 0x1
	v_cvt_f32_f16_e32 v9, v10
	ds_bpermute_b32 v10, v1, v5 offset:16
	s_wait_loadcnt 0x0
	v_cvt_f32_f16_e32 v8, v8
	s_wait_dscnt 0x0
	s_delay_alu instid0(VALU_DEP_1) | instskip(SKIP_3) | instid1(VALU_DEP_1)
	v_dual_add_f32 v2, v2, v8 :: v_dual_sub_f32 v9, v9, v10
	ds_bpermute_b32 v10, v1, v4 offset:16
	v_mul_f32_e32 v9, v9, v8
	s_wait_dscnt 0x0
	v_fmac_f32_e32 v205, v9, v10
	v_add_co_u32 v9, vcc_lo, v54, v158
	s_wait_alu 0xfffd
	v_add_co_ci_u32_e64 v10, null, v55, v159, vcc_lo
	global_load_u16 v11, v[9:10], off
	v_add_co_u32 v9, vcc_lo, v44, v158
	s_wait_alu 0xfffd
	v_add_co_ci_u32_e64 v10, null, v45, v159, vcc_lo
	global_load_u16 v9, v[9:10], off
	s_wait_loadcnt 0x1
	v_cvt_f32_f16_e32 v10, v11
	ds_bpermute_b32 v11, v1, v5 offset:20
	s_wait_loadcnt 0x0
	v_cvt_f32_f16_e32 v9, v9
	s_delay_alu instid0(VALU_DEP_1)
	v_add_f32_e32 v2, v2, v9
	s_wait_dscnt 0x0
	v_sub_f32_e32 v10, v10, v11
	ds_bpermute_b32 v11, v1, v4 offset:20
	v_mul_f32_e32 v10, v10, v9
	s_wait_dscnt 0x0
	s_delay_alu instid0(VALU_DEP_1)
	;; [unrolled: 42-line block ×4, first 2 shown]
	v_fmac_f32_e32 v205, v14, v15
	v_add_co_u32 v14, vcc_lo, v72, v158
	s_wait_alu 0xfffd
	v_add_co_ci_u32_e64 v15, null, v73, v159, vcc_lo
	global_load_u16 v16, v[14:15], off
	v_add_co_u32 v14, vcc_lo, v70, v158
	s_wait_alu 0xfffd
	v_add_co_ci_u32_e64 v15, null, v71, v159, vcc_lo
	global_load_u16 v14, v[14:15], off
	s_wait_loadcnt 0x1
	v_cvt_f32_f16_e32 v15, v16
	ds_bpermute_b32 v16, v1, v5 offset:40
	s_wait_dscnt 0x0
	v_sub_f32_e32 v15, v15, v16
	s_wait_loadcnt 0x0
	v_cvt_f32_f16_e32 v16, v14
	s_delay_alu instid0(VALU_DEP_1)
	v_mul_f32_e32 v14, v15, v16
	ds_bpermute_b32 v15, v1, v4 offset:40
	v_add_f32_e32 v2, v2, v16
	s_wait_dscnt 0x0
	v_fmac_f32_e32 v205, v14, v15
	v_add_co_u32 v14, vcc_lo, v76, v158
	s_wait_alu 0xfffd
	v_add_co_ci_u32_e64 v15, null, v77, v159, vcc_lo
	global_load_u16 v17, v[14:15], off
	v_add_co_u32 v14, vcc_lo, v74, v158
	s_wait_alu 0xfffd
	v_add_co_ci_u32_e64 v15, null, v75, v159, vcc_lo
	global_load_u16 v14, v[14:15], off
	s_wait_loadcnt 0x1
	v_cvt_f32_f16_e32 v15, v17
	ds_bpermute_b32 v17, v1, v5 offset:44
	s_wait_dscnt 0x0
	v_sub_f32_e32 v15, v15, v17
	s_wait_loadcnt 0x0
	v_cvt_f32_f16_e32 v17, v14
	s_delay_alu instid0(VALU_DEP_1)
	v_mul_f32_e32 v14, v15, v17
	ds_bpermute_b32 v15, v1, v4 offset:44
	v_add_f32_e32 v2, v2, v17
	s_wait_dscnt 0x0
	;; [unrolled: 21-line block ×18, first 2 shown]
	v_fmac_f32_e32 v205, v14, v15
	v_add_co_u32 v14, vcc_lo, v144, v158
	s_wait_alu 0xfffd
	v_add_co_ci_u32_e64 v15, null, v145, v159, vcc_lo
	global_load_u16 v160, v[14:15], off
	v_add_co_u32 v14, vcc_lo, v142, v158
	s_wait_alu 0xfffd
	v_add_co_ci_u32_e64 v15, null, v143, v159, vcc_lo
	global_load_u16 v14, v[14:15], off
	s_wait_loadcnt 0x1
	v_cvt_f32_f16_e64 v15, v160
	ds_bpermute_b32 v160, v1, v5 offset:112
	s_wait_dscnt 0x0
	v_sub_f32_e32 v15, v15, v160
	s_wait_loadcnt 0x0
	v_cvt_f32_f16_e64 v160, v14
	s_delay_alu instid0(VALU_DEP_1)
	v_mul_f32_e32 v14, v15, v160
	ds_bpermute_b32 v15, v1, v4 offset:112
	v_add_f32_e32 v2, v2, v160
	s_wait_dscnt 0x0
	v_fmac_f32_e32 v205, v14, v15
	v_add_co_u32 v14, vcc_lo, v148, v158
	s_wait_alu 0xfffd
	v_add_co_ci_u32_e64 v15, null, v149, v159, vcc_lo
	global_load_u16 v161, v[14:15], off
	v_add_co_u32 v14, vcc_lo, v146, v158
	s_wait_alu 0xfffd
	v_add_co_ci_u32_e64 v15, null, v147, v159, vcc_lo
	global_load_u16 v14, v[14:15], off
	s_wait_loadcnt 0x1
	v_cvt_f32_f16_e64 v15, v161
	ds_bpermute_b32 v161, v1, v5 offset:116
	s_wait_dscnt 0x0
	v_sub_f32_e32 v15, v15, v161
	s_wait_loadcnt 0x0
	v_cvt_f32_f16_e64 v161, v14
	s_delay_alu instid0(VALU_DEP_1)
	v_mul_f32_e32 v14, v15, v161
	ds_bpermute_b32 v15, v1, v4 offset:116
	v_add_f32_e32 v2, v2, v161
	s_wait_dscnt 0x0
	v_fmac_f32_e32 v205, v14, v15
	v_add_co_u32 v14, vcc_lo, v152, v158
	s_wait_alu 0xfffd
	v_add_co_ci_u32_e64 v15, null, v153, v159, vcc_lo
	global_load_u16 v201, v[14:15], off
	v_add_co_u32 v14, vcc_lo, v150, v158
	s_wait_alu 0xfffd
	v_add_co_ci_u32_e64 v15, null, v151, v159, vcc_lo
	global_load_u16 v14, v[14:15], off
	s_wait_loadcnt 0x1
	v_cvt_f32_f16_e64 v15, v201
	ds_bpermute_b32 v201, v1, v5 offset:120
	ds_bpermute_b32 v5, v1, v5 offset:124
	s_wait_dscnt 0x1
	v_sub_f32_e32 v15, v15, v201
	s_wait_loadcnt 0x0
	v_cvt_f32_f16_e64 v201, v14
	s_delay_alu instid0(VALU_DEP_1)
	v_mul_f32_e32 v14, v15, v201
	ds_bpermute_b32 v15, v1, v4 offset:120
	ds_bpermute_b32 v4, v1, v4 offset:124
	v_add_f32_e32 v2, v2, v201
	s_wait_dscnt 0x1
	v_fmac_f32_e32 v205, v14, v15
	v_add_co_u32 v14, vcc_lo, v156, v158
	s_wait_alu 0xfffd
	v_add_co_ci_u32_e64 v15, null, v157, v159, vcc_lo
	global_load_u16 v203, v[14:15], off
	v_add_co_u32 v14, vcc_lo, v154, v158
	s_wait_alu 0xfffd
	v_add_co_ci_u32_e64 v15, null, v155, v159, vcc_lo
	global_load_u16 v14, v[14:15], off
	s_wait_loadcnt 0x1
	v_cvt_f32_f16_e64 v15, v203
	s_delay_alu instid0(VALU_DEP_1) | instskip(SKIP_2) | instid1(VALU_DEP_1)
	v_sub_f32_e32 v5, v15, v5
	s_wait_loadcnt 0x0
	v_cvt_f32_f16_e32 v14, v14
	v_mul_f32_e32 v5, v5, v14
	v_add_f32_e32 v201, v2, v14
	s_wait_dscnt 0x0
	s_delay_alu instid0(VALU_DEP_2) | instskip(NEXT) | instid1(VALU_DEP_1)
	v_fmac_f32_e32 v205, v5, v4
	v_mov_b32_e32 v203, v205
.LBB74_217:                             ;   in Loop: Header=BB74_145 Depth=1
	scratch_load_b32 v2, off, off           ; 4-byte Folded Reload
	v_add_co_u32 v164, vcc_lo, v164, s18
	s_wait_alu 0xfffd
	v_add_co_ci_u32_e64 v165, null, s19, v165, vcc_lo
	v_add_co_u32 v166, vcc_lo, v166, s18
	s_wait_alu 0xfffd
	v_add_co_ci_u32_e64 v167, null, s19, v167, vcc_lo
	;; [unrolled: 3-line block ×64, first 2 shown]
	s_add_nc_u64 s[22:23], s[22:23], s[8:9]
	s_add_nc_u64 s[20:21], s[20:21], s[8:9]
	s_wait_alu 0xfffe
	v_cmp_ge_i64_e64 s2, s[22:23], s[4:5]
	s_wait_loadcnt 0x0
	v_add_co_u32 v2, vcc_lo, v2, s8
	s_wait_alu 0xfffd
	v_add_co_ci_u32_e64 v202, null, 0, v202, vcc_lo
	scratch_store_b32 off, v2, off          ; 4-byte Folded Spill
	scratch_load_b32 v2, off, off offset:4  ; 4-byte Folded Reload
	s_wait_loadcnt 0x0
	v_add_co_u32 v2, vcc_lo, v2, s18
	scratch_store_b32 off, v2, off offset:4 ; 4-byte Folded Spill
	scratch_load_b32 v2, off, off offset:8  ; 4-byte Folded Reload
	s_wait_loadcnt 0x0
	s_wait_alu 0xfffd
	v_add_co_ci_u32_e64 v2, null, s19, v2, vcc_lo
	scratch_store_b32 off, v2, off offset:8 ; 4-byte Folded Spill
	scratch_load_b32 v2, off, off offset:12 ; 4-byte Folded Reload
	s_wait_loadcnt 0x0
	v_add_co_u32 v2, vcc_lo, v2, s18
	scratch_store_b32 off, v2, off offset:12 ; 4-byte Folded Spill
	scratch_load_b32 v2, off, off offset:16 ; 4-byte Folded Reload
	s_wait_loadcnt 0x0
	s_wait_alu 0xfffd
	v_add_co_ci_u32_e64 v2, null, s19, v2, vcc_lo
	scratch_store_b32 off, v2, off offset:16 ; 4-byte Folded Spill
	scratch_load_b32 v2, off, off offset:20 ; 4-byte Folded Reload
	s_wait_loadcnt 0x0
	v_add_co_u32 v2, vcc_lo, v2, s18
	scratch_store_b32 off, v2, off offset:20 ; 4-byte Folded Spill
	scratch_load_b32 v2, off, off offset:24 ; 4-byte Folded Reload
	;; [unrolled: 9-line block ×35, first 2 shown]
	s_wait_loadcnt 0x0
	s_wait_alu 0xfffd
	v_add_co_ci_u32_e64 v2, null, s19, v2, vcc_lo
	v_add_co_u32 v240, vcc_lo, v240, s18
	s_wait_alu 0xfffd
	v_add_co_ci_u32_e64 v241, null, s19, v241, vcc_lo
	v_add_co_u32 v242, vcc_lo, v242, s18
	;; [unrolled: 3-line block ×26, first 2 shown]
	s_wait_alu 0xfffd
	v_add_co_ci_u32_e64 v200, null, s19, v200, vcc_lo
	s_and_b32 vcc_lo, exec_lo, s2
	scratch_store_b32 off, v2, off offset:288 ; 4-byte Folded Spill
	s_wait_alu 0xfffe
	s_cbranch_vccnz .LBB74_219
; %bb.218:                              ;   in Loop: Header=BB74_145 Depth=1
	v_dual_mov_b32 v238, v201 :: v_dual_mov_b32 v205, v203
	s_branch .LBB74_145
.LBB74_219:
	scratch_load_b32 v228, off, off offset:304 ; 4-byte Folded Reload
.LBB74_220:
	s_mov_b32 s2, ttmp9
	s_mov_b32 s3, 0
	s_wait_alu 0xfffe
	s_lshl_b64 s[2:3], s[2:3], 6
	s_wait_loadcnt 0x0
	s_wait_alu 0xfffe
	v_and_or_b32 v4, 0x3ff, v228, s2
	v_mov_b32_e32 v5, s3
	s_mov_b32 s2, exec_lo
	s_delay_alu instid0(VALU_DEP_1)
	v_cmpx_gt_i64_e64 s[6:7], v[4:5]
	s_cbranch_execz .LBB74_225
; %bb.221:
	s_clause 0x1
	s_load_u16 s4, s[0:1], 0x4e
	s_load_b128 s[0:3], s[0:1], 0x30
	v_bfe_u32 v0, v228, 10, 10
	v_mov_b32_e32 v1, 0
	s_wait_kmcnt 0x0
	s_delay_alu instid0(VALU_DEP_1) | instskip(SKIP_2) | instid1(VALU_DEP_2)
	v_mad_co_u64_u32 v[2:3], null, s4, ttmp7, v[0:1]
	v_lshlrev_b64_e32 v[0:1], 1, v[4:5]
	s_cmp_eq_u64 s[0:1], 0
	v_mul_lo_u32 v3, v3, s6
	s_delay_alu instid0(VALU_DEP_3)
	v_mul_lo_u32 v6, v2, s7
	s_cbranch_scc1 .LBB74_223
; %bb.222:
	v_mad_co_u64_u32 v[4:5], null, v2, s6, 0
	v_cvt_f16_f32_e64 v7, v203
	s_delay_alu instid0(VALU_DEP_2) | instskip(NEXT) | instid1(VALU_DEP_1)
	v_add3_u32 v5, v5, v6, v3
	v_lshlrev_b64_e32 v[4:5], 1, v[4:5]
	s_delay_alu instid0(VALU_DEP_1) | instskip(SKIP_1) | instid1(VALU_DEP_2)
	v_add_co_u32 v4, vcc_lo, s0, v4
	s_wait_alu 0xfffd
	v_add_co_ci_u32_e64 v5, null, s1, v5, vcc_lo
	s_delay_alu instid0(VALU_DEP_2) | instskip(SKIP_1) | instid1(VALU_DEP_2)
	v_add_co_u32 v4, vcc_lo, v4, v0
	s_wait_alu 0xfffd
	v_add_co_ci_u32_e64 v5, null, v5, v1, vcc_lo
	global_store_b16 v[4:5], v7, off
.LBB74_223:
	s_cmp_eq_u64 s[2:3], 0
	s_cbranch_scc1 .LBB74_225
; %bb.224:
	v_mad_co_u64_u32 v[4:5], null, v2, s6, 0
	s_delay_alu instid0(VALU_DEP_1) | instskip(NEXT) | instid1(VALU_DEP_1)
	v_add3_u32 v5, v5, v6, v3
	v_lshlrev_b64_e32 v[2:3], 1, v[4:5]
	v_cvt_f16_f32_e64 v4, v201
	s_delay_alu instid0(VALU_DEP_2) | instskip(SKIP_1) | instid1(VALU_DEP_3)
	v_add_co_u32 v2, vcc_lo, s2, v2
	s_wait_alu 0xfffd
	v_add_co_ci_u32_e64 v3, null, s3, v3, vcc_lo
	s_delay_alu instid0(VALU_DEP_2) | instskip(SKIP_1) | instid1(VALU_DEP_2)
	v_add_co_u32 v0, vcc_lo, v2, v0
	s_wait_alu 0xfffd
	v_add_co_ci_u32_e64 v1, null, v3, v1, vcc_lo
	global_store_b16 v[0:1], v4, off
.LBB74_225:
	s_nop 0
	s_sendmsg sendmsg(MSG_DEALLOC_VGPRS)
	s_endpgm
	.section	.rodata,"a",@progbits
	.p2align	6, 0x0
	.amdhsa_kernel _ZN2at6native12_GLOBAL__N_135GammaBetaBackwardCUDAKernelTemplateIN3c104HalfEfLj64ELj1ELj32ELb1ELb0ELb0EEEvllPKT_S7_PKT0_SA_PS5_SB_
		.amdhsa_group_segment_fixed_size 0
		.amdhsa_private_segment_fixed_size 312
		.amdhsa_kernarg_size 320
		.amdhsa_user_sgpr_count 2
		.amdhsa_user_sgpr_dispatch_ptr 0
		.amdhsa_user_sgpr_queue_ptr 0
		.amdhsa_user_sgpr_kernarg_segment_ptr 1
		.amdhsa_user_sgpr_dispatch_id 0
		.amdhsa_user_sgpr_private_segment_size 0
		.amdhsa_wavefront_size32 1
		.amdhsa_uses_dynamic_stack 0
		.amdhsa_enable_private_segment 1
		.amdhsa_system_sgpr_workgroup_id_x 1
		.amdhsa_system_sgpr_workgroup_id_y 1
		.amdhsa_system_sgpr_workgroup_id_z 0
		.amdhsa_system_sgpr_workgroup_info 0
		.amdhsa_system_vgpr_workitem_id 1
		.amdhsa_next_free_vgpr 256
		.amdhsa_next_free_sgpr 36
		.amdhsa_reserve_vcc 1
		.amdhsa_float_round_mode_32 0
		.amdhsa_float_round_mode_16_64 0
		.amdhsa_float_denorm_mode_32 3
		.amdhsa_float_denorm_mode_16_64 3
		.amdhsa_fp16_overflow 0
		.amdhsa_workgroup_processor_mode 1
		.amdhsa_memory_ordered 1
		.amdhsa_forward_progress 1
		.amdhsa_inst_pref_size 255
		.amdhsa_round_robin_scheduling 0
		.amdhsa_exception_fp_ieee_invalid_op 0
		.amdhsa_exception_fp_denorm_src 0
		.amdhsa_exception_fp_ieee_div_zero 0
		.amdhsa_exception_fp_ieee_overflow 0
		.amdhsa_exception_fp_ieee_underflow 0
		.amdhsa_exception_fp_ieee_inexact 0
		.amdhsa_exception_int_div_zero 0
	.end_amdhsa_kernel
	.section	.text._ZN2at6native12_GLOBAL__N_135GammaBetaBackwardCUDAKernelTemplateIN3c104HalfEfLj64ELj1ELj32ELb1ELb0ELb0EEEvllPKT_S7_PKT0_SA_PS5_SB_,"axG",@progbits,_ZN2at6native12_GLOBAL__N_135GammaBetaBackwardCUDAKernelTemplateIN3c104HalfEfLj64ELj1ELj32ELb1ELb0ELb0EEEvllPKT_S7_PKT0_SA_PS5_SB_,comdat
.Lfunc_end74:
	.size	_ZN2at6native12_GLOBAL__N_135GammaBetaBackwardCUDAKernelTemplateIN3c104HalfEfLj64ELj1ELj32ELb1ELb0ELb0EEEvllPKT_S7_PKT0_SA_PS5_SB_, .Lfunc_end74-_ZN2at6native12_GLOBAL__N_135GammaBetaBackwardCUDAKernelTemplateIN3c104HalfEfLj64ELj1ELj32ELb1ELb0ELb0EEEvllPKT_S7_PKT0_SA_PS5_SB_
                                        ; -- End function
	.set _ZN2at6native12_GLOBAL__N_135GammaBetaBackwardCUDAKernelTemplateIN3c104HalfEfLj64ELj1ELj32ELb1ELb0ELb0EEEvllPKT_S7_PKT0_SA_PS5_SB_.num_vgpr, 256
	.set _ZN2at6native12_GLOBAL__N_135GammaBetaBackwardCUDAKernelTemplateIN3c104HalfEfLj64ELj1ELj32ELb1ELb0ELb0EEEvllPKT_S7_PKT0_SA_PS5_SB_.num_agpr, 0
	.set _ZN2at6native12_GLOBAL__N_135GammaBetaBackwardCUDAKernelTemplateIN3c104HalfEfLj64ELj1ELj32ELb1ELb0ELb0EEEvllPKT_S7_PKT0_SA_PS5_SB_.numbered_sgpr, 36
	.set _ZN2at6native12_GLOBAL__N_135GammaBetaBackwardCUDAKernelTemplateIN3c104HalfEfLj64ELj1ELj32ELb1ELb0ELb0EEEvllPKT_S7_PKT0_SA_PS5_SB_.num_named_barrier, 0
	.set _ZN2at6native12_GLOBAL__N_135GammaBetaBackwardCUDAKernelTemplateIN3c104HalfEfLj64ELj1ELj32ELb1ELb0ELb0EEEvllPKT_S7_PKT0_SA_PS5_SB_.private_seg_size, 312
	.set _ZN2at6native12_GLOBAL__N_135GammaBetaBackwardCUDAKernelTemplateIN3c104HalfEfLj64ELj1ELj32ELb1ELb0ELb0EEEvllPKT_S7_PKT0_SA_PS5_SB_.uses_vcc, 1
	.set _ZN2at6native12_GLOBAL__N_135GammaBetaBackwardCUDAKernelTemplateIN3c104HalfEfLj64ELj1ELj32ELb1ELb0ELb0EEEvllPKT_S7_PKT0_SA_PS5_SB_.uses_flat_scratch, 1
	.set _ZN2at6native12_GLOBAL__N_135GammaBetaBackwardCUDAKernelTemplateIN3c104HalfEfLj64ELj1ELj32ELb1ELb0ELb0EEEvllPKT_S7_PKT0_SA_PS5_SB_.has_dyn_sized_stack, 0
	.set _ZN2at6native12_GLOBAL__N_135GammaBetaBackwardCUDAKernelTemplateIN3c104HalfEfLj64ELj1ELj32ELb1ELb0ELb0EEEvllPKT_S7_PKT0_SA_PS5_SB_.has_recursion, 0
	.set _ZN2at6native12_GLOBAL__N_135GammaBetaBackwardCUDAKernelTemplateIN3c104HalfEfLj64ELj1ELj32ELb1ELb0ELb0EEEvllPKT_S7_PKT0_SA_PS5_SB_.has_indirect_call, 0
	.section	.AMDGPU.csdata,"",@progbits
; Kernel info:
; codeLenInByte = 39588
; TotalNumSgprs: 38
; NumVgprs: 256
; ScratchSize: 312
; MemoryBound: 0
; FloatMode: 240
; IeeeMode: 1
; LDSByteSize: 0 bytes/workgroup (compile time only)
; SGPRBlocks: 0
; VGPRBlocks: 31
; NumSGPRsForWavesPerEU: 38
; NumVGPRsForWavesPerEU: 256
; Occupancy: 5
; WaveLimiterHint : 0
; COMPUTE_PGM_RSRC2:SCRATCH_EN: 1
; COMPUTE_PGM_RSRC2:USER_SGPR: 2
; COMPUTE_PGM_RSRC2:TRAP_HANDLER: 0
; COMPUTE_PGM_RSRC2:TGID_X_EN: 1
; COMPUTE_PGM_RSRC2:TGID_Y_EN: 1
; COMPUTE_PGM_RSRC2:TGID_Z_EN: 0
; COMPUTE_PGM_RSRC2:TIDIG_COMP_CNT: 1
	.section	.text._ZN2at6native12_GLOBAL__N_135GammaBetaBackwardCUDAKernelTemplateIN3c104HalfEfLj64ELj1ELj8ELb1ELb1ELb0EEEvllPKT_S7_PKT0_SA_PS5_SB_,"axG",@progbits,_ZN2at6native12_GLOBAL__N_135GammaBetaBackwardCUDAKernelTemplateIN3c104HalfEfLj64ELj1ELj8ELb1ELb1ELb0EEEvllPKT_S7_PKT0_SA_PS5_SB_,comdat
	.globl	_ZN2at6native12_GLOBAL__N_135GammaBetaBackwardCUDAKernelTemplateIN3c104HalfEfLj64ELj1ELj8ELb1ELb1ELb0EEEvllPKT_S7_PKT0_SA_PS5_SB_ ; -- Begin function _ZN2at6native12_GLOBAL__N_135GammaBetaBackwardCUDAKernelTemplateIN3c104HalfEfLj64ELj1ELj8ELb1ELb1ELb0EEEvllPKT_S7_PKT0_SA_PS5_SB_
	.p2align	8
	.type	_ZN2at6native12_GLOBAL__N_135GammaBetaBackwardCUDAKernelTemplateIN3c104HalfEfLj64ELj1ELj8ELb1ELb1ELb0EEEvllPKT_S7_PKT0_SA_PS5_SB_,@function
_ZN2at6native12_GLOBAL__N_135GammaBetaBackwardCUDAKernelTemplateIN3c104HalfEfLj64ELj1ELj8ELb1ELb1ELb0EEEvllPKT_S7_PKT0_SA_PS5_SB_: ; @_ZN2at6native12_GLOBAL__N_135GammaBetaBackwardCUDAKernelTemplateIN3c104HalfEfLj64ELj1ELj8ELb1ELb1ELb0EEEvllPKT_S7_PKT0_SA_PS5_SB_
; %bb.0:
	s_load_b128 s[12:15], s[0:1], 0x0
	s_lshl_b32 s2, ttmp7, 3
	s_mov_b32 s3, 0
	v_bfe_u32 v6, v0, 10, 10
	s_add_nc_u64 s[20:21], s[0:1], 64
	s_wait_kmcnt 0x0
	v_cmp_gt_i64_e64 s4, s[12:13], s[2:3]
	s_and_b32 vcc_lo, exec_lo, s4
	s_cbranch_vccnz .LBB75_2
; %bb.1:
	v_bfe_u32 v1, v0, 10, 10
	s_add_nc_u64 s[4:5], s[0:1], 64
	s_mov_b32 s6, s3
	s_branch .LBB75_3
.LBB75_2:
	s_mov_b32 s6, -1
                                        ; implicit-def: $sgpr4_sgpr5
                                        ; implicit-def: $vgpr1
.LBB75_3:
	s_load_b128 s[16:19], s[0:1], 0x30
	v_dual_mov_b32 v4, 0 :: v_dual_and_b32 v7, 0x3ff, v0
	v_mov_b32_e32 v5, 0
	s_and_not1_b32 vcc_lo, exec_lo, s6
	s_cbranch_vccnz .LBB75_11
; %bb.4:
	s_load_b32 s22, s[0:1], 0x4c
	v_dual_mov_b32 v1, 0 :: v_dual_lshlrev_b32 v0, 3, v6
	s_clause 0x1
	s_load_b32 s24, s[0:1], 0x44
	s_load_b256 s[4:11], s[0:1], 0x10
	s_mov_b32 s23, 0
	v_dual_mov_b32 v8, 8 :: v_dual_mov_b32 v9, 4
	v_add_co_u32 v2, s0, v0, s2
	s_delay_alu instid0(VALU_DEP_1) | instskip(SKIP_1) | instid1(VALU_DEP_3)
	v_add_co_ci_u32_e64 v3, null, 0, 0, s0
	v_lshl_add_u32 v0, ttmp9, 6, v7
	v_mul_lo_u32 v16, s15, v2
	v_mad_co_u64_u32 v[4:5], null, s14, v2, 0
	s_delay_alu instid0(VALU_DEP_4) | instskip(NEXT) | instid1(VALU_DEP_4)
	v_mul_lo_u32 v17, s14, v3
	v_lshlrev_b64_e32 v[14:15], 1, v[0:1]
	v_dual_mov_b32 v10, 12 :: v_dual_mov_b32 v11, 16
	v_mov_b32_e32 v12, 20
	s_wait_kmcnt 0x0
	s_and_b32 s0, s22, 0xffff
	v_mov_b32_e32 v0, 28
	s_wait_alu 0xfffe
	v_mad_u32_u24 v13, v6, s0, v7
	v_add3_u32 v5, v5, v17, v16
	s_lshl_b32 s22, s24, 3
	s_lshl_b64 s[28:29], s[14:15], 1
	s_mul_u64 s[26:27], s[14:15], s[22:23]
	v_and_b32_e32 v18, 31, v13
	v_lshlrev_b64_e32 v[16:17], 1, v[4:5]
	v_mov_b32_e32 v13, 24
	s_lshl_b64 s[24:25], s[22:23], 2
	s_lshl_b64 s[26:27], s[26:27], 1
	v_add_co_u32 v2, vcc_lo, v2, v18
	s_delay_alu instid0(VALU_DEP_1) | instskip(SKIP_3) | instid1(VALU_DEP_3)
	v_add_co_ci_u32_e64 v3, null, 0, v3, vcc_lo
	v_add_co_u32 v14, vcc_lo, v16, v14
	s_wait_alu 0xfffd
	v_add_co_ci_u32_e64 v15, null, v17, v15, vcc_lo
	v_lshlrev_b64_e32 v[4:5], 2, v[2:3]
	v_mov_b32_e32 v17, 0
	v_cmp_gt_u32_e64 s0, 8, v18
	v_mov_b32_e32 v16, 0
	s_branch .LBB75_7
.LBB75_5:                               ;   in Loop: Header=BB75_7 Depth=1
	s_or_b32 exec_lo, exec_lo, s30
.LBB75_6:                               ;   in Loop: Header=BB75_7 Depth=1
	s_wait_alu 0xfffe
	s_or_b32 exec_lo, exec_lo, s1
	v_add_co_u32 v20, vcc_lo, s4, v14
	s_wait_alu 0xfffd
	v_add_co_ci_u32_e64 v21, null, s5, v15, vcc_lo
	v_add_co_u32 v22, vcc_lo, s6, v14
	s_wait_alu 0xfffd
	v_add_co_ci_u32_e64 v23, null, s7, v15, vcc_lo
	;; [unrolled: 3-line block ×5, first 2 shown]
	global_load_u16 v30, v[20:21], off
	global_load_u16 v31, v[22:23], off
	;; [unrolled: 1-line block ×5, first 2 shown]
	v_add_co_u32 v20, vcc_lo, v26, s28
	s_wait_alu 0xfffd
	v_add_co_ci_u32_e64 v21, null, s29, v27, vcc_lo
	v_add_co_u32 v22, vcc_lo, v28, s28
	s_wait_alu 0xfffd
	v_add_co_ci_u32_e64 v23, null, s29, v29, vcc_lo
	;; [unrolled: 3-line block ×5, first 2 shown]
	global_load_u16 v35, v[20:21], off
	global_load_u16 v36, v[22:23], off
	;; [unrolled: 1-line block ×5, first 2 shown]
	v_add_co_u32 v20, vcc_lo, v26, s28
	s_wait_alu 0xfffd
	v_add_co_ci_u32_e64 v21, null, s29, v27, vcc_lo
	v_add_co_u32 v22, vcc_lo, v28, s28
	s_wait_alu 0xfffd
	v_add_co_ci_u32_e64 v23, null, s29, v29, vcc_lo
	;; [unrolled: 3-line block ×4, first 2 shown]
	global_load_u16 v28, v[20:21], off
	global_load_u16 v29, v[22:23], off
	;; [unrolled: 1-line block ×4, first 2 shown]
	v_add_co_u32 v20, vcc_lo, v26, s28
	s_wait_alu 0xfffd
	v_add_co_ci_u32_e64 v21, null, s29, v27, vcc_lo
	v_add_co_u32 v22, vcc_lo, v24, s28
	s_wait_alu 0xfffd
	v_add_co_ci_u32_e64 v23, null, s29, v25, vcc_lo
	global_load_u16 v20, v[20:21], off
	global_load_u16 v21, v[22:23], off
	s_wait_loadcnt 0x11
	ds_bpermute_b32 v22, v1, v18
	ds_bpermute_b32 v25, v9, v18
	s_wait_loadcnt 0x10
	ds_bpermute_b32 v23, v1, v19
	ds_bpermute_b32 v27, v8, v18
	;; [unrolled: 1-line block ×14, first 2 shown]
	v_add_co_u32 v4, vcc_lo, v4, s24
	s_add_nc_u64 s[2:3], s[2:3], s[22:23]
	s_wait_alu 0xfffd
	v_add_co_ci_u32_e64 v5, null, s25, v5, vcc_lo
	v_add_co_u32 v2, vcc_lo, v2, s22
	s_wait_alu 0xfffe
	v_cmp_lt_i64_e64 s1, s[2:3], s[12:13]
	s_wait_alu 0xfffd
	v_add_co_ci_u32_e64 v3, null, 0, v3, vcc_lo
	v_add_co_u32 v14, vcc_lo, v14, s26
	s_wait_alu 0xfffd
	v_add_co_ci_u32_e64 v15, null, s27, v15, vcc_lo
	s_and_b32 vcc_lo, exec_lo, s1
	s_wait_loadcnt 0xf
	v_cvt_f32_f16_e32 v30, v30
	s_wait_loadcnt 0xe
	v_cvt_f32_f16_e32 v31, v31
	;; [unrolled: 2-line block ×3, first 2 shown]
	s_wait_dscnt 0xf
	s_delay_alu instid0(VALU_DEP_2)
	v_sub_f32_e32 v22, v31, v22
	v_cvt_f32_f16_e32 v31, v32
	s_wait_dscnt 0xe
	v_sub_f32_e32 v25, v33, v25
	s_wait_loadcnt 0xa
	v_cvt_f32_f16_e32 v32, v35
	v_mul_f32_e32 v22, v22, v30
	v_add_f32_e32 v17, v17, v30
	v_cvt_f32_f16_e32 v30, v34
	s_wait_dscnt 0xd
	s_delay_alu instid0(VALU_DEP_3)
	v_fmac_f32_e32 v16, v22, v23
	v_mul_f32_e32 v22, v25, v31
	s_wait_dscnt 0xc
	v_sub_f32_e32 v23, v32, v27
	s_wait_loadcnt 0x8
	v_cvt_f32_f16_e32 v25, v37
	v_add_f32_e32 v17, v17, v31
	v_cvt_f32_f16_e32 v27, v36
	s_wait_dscnt 0xb
	v_fmac_f32_e32 v16, v22, v24
	s_wait_dscnt 0xa
	v_dual_mul_f32 v22, v23, v30 :: v_dual_sub_f32 v23, v25, v43
	s_wait_loadcnt 0x6
	v_cvt_f32_f16_e32 v24, v39
	v_add_f32_e32 v17, v17, v30
	v_cvt_f32_f16_e32 v25, v38
	s_wait_dscnt 0x9
	v_fmac_f32_e32 v16, v22, v26
	s_wait_dscnt 0x8
	v_dual_mul_f32 v22, v23, v27 :: v_dual_sub_f32 v23, v24, v45
	s_wait_loadcnt 0x4
	v_cvt_f32_f16_e32 v24, v29
	v_add_f32_e32 v17, v17, v27
	v_cvt_f32_f16_e32 v26, v28
	s_wait_dscnt 0x7
	s_delay_alu instid0(VALU_DEP_2)
	v_dual_fmac_f32 v16, v22, v42 :: v_dual_add_f32 v17, v17, v25
	s_wait_dscnt 0x6
	v_dual_mul_f32 v22, v23, v25 :: v_dual_sub_f32 v23, v24, v47
	s_wait_loadcnt 0x2
	v_cvt_f32_f16_e32 v24, v41
	v_cvt_f32_f16_e32 v25, v40
	s_wait_loadcnt 0x1
	v_cvt_f32_f16_e32 v20, v20
	s_wait_dscnt 0x5
	v_dual_add_f32 v17, v17, v26 :: v_dual_fmac_f32 v16, v22, v44
	s_wait_dscnt 0x4
	v_dual_mul_f32 v22, v23, v26 :: v_dual_sub_f32 v23, v24, v49
	s_wait_loadcnt 0x0
	v_cvt_f32_f16_e32 v21, v21
	s_wait_dscnt 0x2
	v_dual_add_f32 v17, v17, v25 :: v_dual_sub_f32 v18, v20, v18
	v_fmac_f32_e32 v16, v22, v46
	v_mul_f32_e32 v22, v23, v25
	s_delay_alu instid0(VALU_DEP_3) | instskip(NEXT) | instid1(VALU_DEP_4)
	v_add_f32_e32 v17, v17, v21
	v_mul_f32_e32 v18, v18, v21
	s_wait_dscnt 0x1
	s_delay_alu instid0(VALU_DEP_3) | instskip(SKIP_1) | instid1(VALU_DEP_1)
	v_fmac_f32_e32 v16, v22, v48
	s_wait_dscnt 0x0
	v_fmac_f32_e32 v16, v18, v19
	s_wait_alu 0xfffe
	s_cbranch_vccz .LBB75_10
.LBB75_7:                               ; =>This Inner Loop Header: Depth=1
	v_dual_mov_b32 v19, 0 :: v_dual_mov_b32 v18, 0
	s_delay_alu instid0(VALU_DEP_3)
	s_and_saveexec_b32 s1, s0
	s_cbranch_execz .LBB75_6
; %bb.8:                                ;   in Loop: Header=BB75_7 Depth=1
	v_dual_mov_b32 v18, 0 :: v_dual_mov_b32 v19, 0
	s_mov_b32 s30, exec_lo
	v_cmpx_gt_i64_e64 s[12:13], v[2:3]
	s_cbranch_execz .LBB75_5
; %bb.9:                                ;   in Loop: Header=BB75_7 Depth=1
	v_add_co_u32 v18, vcc_lo, s8, v4
	s_wait_alu 0xfffd
	v_add_co_ci_u32_e64 v19, null, s9, v5, vcc_lo
	v_add_co_u32 v20, vcc_lo, s10, v4
	s_wait_alu 0xfffd
	v_add_co_ci_u32_e64 v21, null, s11, v5, vcc_lo
	global_load_b32 v18, v[18:19], off
	global_load_b32 v19, v[20:21], off
	s_branch .LBB75_5
.LBB75_10:
	s_delay_alu instid0(VALU_DEP_1)
	v_cvt_f16_f32_e32 v5, v16
	v_cvt_f16_f32_e32 v4, v17
	v_mov_b32_e32 v1, v6
	s_mov_b64 s[4:5], s[20:21]
.LBB75_11:
	s_load_u16 s2, s[4:5], 0xe
	v_mov_b32_e32 v2, 0
	s_mov_b32 s0, ttmp9
	s_mov_b32 s1, 0
	s_wait_alu 0xfffe
	s_lshl_b64 s[0:1], s[0:1], 6
	s_wait_kmcnt 0x0
	s_cmp_eq_u64 s[16:17], 0
	s_wait_alu 0xfffe
	v_add_co_u32 v0, s0, s0, v7
	s_wait_alu 0xf1ff
	v_mad_co_u64_u32 v[2:3], null, s2, ttmp7, v[1:2]
	v_add_co_ci_u32_e64 v1, null, s1, 0, s0
	s_delay_alu instid0(VALU_DEP_1) | instskip(NEXT) | instid1(VALU_DEP_3)
	v_lshlrev_b64_e32 v[0:1], 1, v[0:1]
	v_mul_lo_u32 v3, v3, s14
	s_delay_alu instid0(VALU_DEP_4)
	v_mul_lo_u32 v6, v2, s15
	s_cbranch_scc1 .LBB75_13
; %bb.12:
	v_mad_co_u64_u32 v[7:8], null, v2, s14, 0
	s_delay_alu instid0(VALU_DEP_1) | instskip(NEXT) | instid1(VALU_DEP_1)
	v_add3_u32 v8, v8, v6, v3
	v_lshlrev_b64_e32 v[7:8], 1, v[7:8]
	s_delay_alu instid0(VALU_DEP_1) | instskip(SKIP_1) | instid1(VALU_DEP_2)
	v_add_co_u32 v7, vcc_lo, s16, v7
	s_wait_alu 0xfffd
	v_add_co_ci_u32_e64 v8, null, s17, v8, vcc_lo
	s_delay_alu instid0(VALU_DEP_2) | instskip(SKIP_1) | instid1(VALU_DEP_2)
	v_add_co_u32 v7, vcc_lo, v7, v0
	s_wait_alu 0xfffd
	v_add_co_ci_u32_e64 v8, null, v8, v1, vcc_lo
	global_store_b16 v[7:8], v5, off
.LBB75_13:
	s_cmp_eq_u64 s[18:19], 0
	s_cbranch_scc1 .LBB75_15
; %bb.14:
	v_mad_co_u64_u32 v[7:8], null, v2, s14, 0
	s_delay_alu instid0(VALU_DEP_1) | instskip(NEXT) | instid1(VALU_DEP_1)
	v_add3_u32 v8, v8, v6, v3
	v_lshlrev_b64_e32 v[2:3], 1, v[7:8]
	s_delay_alu instid0(VALU_DEP_1) | instskip(SKIP_1) | instid1(VALU_DEP_2)
	v_add_co_u32 v2, vcc_lo, s18, v2
	s_wait_alu 0xfffd
	v_add_co_ci_u32_e64 v3, null, s19, v3, vcc_lo
	s_delay_alu instid0(VALU_DEP_2) | instskip(SKIP_1) | instid1(VALU_DEP_2)
	v_add_co_u32 v0, vcc_lo, v2, v0
	s_wait_alu 0xfffd
	v_add_co_ci_u32_e64 v1, null, v3, v1, vcc_lo
	global_store_b16 v[0:1], v4, off
.LBB75_15:
	s_endpgm
	.section	.rodata,"a",@progbits
	.p2align	6, 0x0
	.amdhsa_kernel _ZN2at6native12_GLOBAL__N_135GammaBetaBackwardCUDAKernelTemplateIN3c104HalfEfLj64ELj1ELj8ELb1ELb1ELb0EEEvllPKT_S7_PKT0_SA_PS5_SB_
		.amdhsa_group_segment_fixed_size 0
		.amdhsa_private_segment_fixed_size 0
		.amdhsa_kernarg_size 320
		.amdhsa_user_sgpr_count 2
		.amdhsa_user_sgpr_dispatch_ptr 0
		.amdhsa_user_sgpr_queue_ptr 0
		.amdhsa_user_sgpr_kernarg_segment_ptr 1
		.amdhsa_user_sgpr_dispatch_id 0
		.amdhsa_user_sgpr_private_segment_size 0
		.amdhsa_wavefront_size32 1
		.amdhsa_uses_dynamic_stack 0
		.amdhsa_enable_private_segment 0
		.amdhsa_system_sgpr_workgroup_id_x 1
		.amdhsa_system_sgpr_workgroup_id_y 1
		.amdhsa_system_sgpr_workgroup_id_z 0
		.amdhsa_system_sgpr_workgroup_info 0
		.amdhsa_system_vgpr_workitem_id 1
		.amdhsa_next_free_vgpr 50
		.amdhsa_next_free_sgpr 31
		.amdhsa_reserve_vcc 1
		.amdhsa_float_round_mode_32 0
		.amdhsa_float_round_mode_16_64 0
		.amdhsa_float_denorm_mode_32 3
		.amdhsa_float_denorm_mode_16_64 3
		.amdhsa_fp16_overflow 0
		.amdhsa_workgroup_processor_mode 1
		.amdhsa_memory_ordered 1
		.amdhsa_forward_progress 1
		.amdhsa_inst_pref_size 15
		.amdhsa_round_robin_scheduling 0
		.amdhsa_exception_fp_ieee_invalid_op 0
		.amdhsa_exception_fp_denorm_src 0
		.amdhsa_exception_fp_ieee_div_zero 0
		.amdhsa_exception_fp_ieee_overflow 0
		.amdhsa_exception_fp_ieee_underflow 0
		.amdhsa_exception_fp_ieee_inexact 0
		.amdhsa_exception_int_div_zero 0
	.end_amdhsa_kernel
	.section	.text._ZN2at6native12_GLOBAL__N_135GammaBetaBackwardCUDAKernelTemplateIN3c104HalfEfLj64ELj1ELj8ELb1ELb1ELb0EEEvllPKT_S7_PKT0_SA_PS5_SB_,"axG",@progbits,_ZN2at6native12_GLOBAL__N_135GammaBetaBackwardCUDAKernelTemplateIN3c104HalfEfLj64ELj1ELj8ELb1ELb1ELb0EEEvllPKT_S7_PKT0_SA_PS5_SB_,comdat
.Lfunc_end75:
	.size	_ZN2at6native12_GLOBAL__N_135GammaBetaBackwardCUDAKernelTemplateIN3c104HalfEfLj64ELj1ELj8ELb1ELb1ELb0EEEvllPKT_S7_PKT0_SA_PS5_SB_, .Lfunc_end75-_ZN2at6native12_GLOBAL__N_135GammaBetaBackwardCUDAKernelTemplateIN3c104HalfEfLj64ELj1ELj8ELb1ELb1ELb0EEEvllPKT_S7_PKT0_SA_PS5_SB_
                                        ; -- End function
	.set _ZN2at6native12_GLOBAL__N_135GammaBetaBackwardCUDAKernelTemplateIN3c104HalfEfLj64ELj1ELj8ELb1ELb1ELb0EEEvllPKT_S7_PKT0_SA_PS5_SB_.num_vgpr, 50
	.set _ZN2at6native12_GLOBAL__N_135GammaBetaBackwardCUDAKernelTemplateIN3c104HalfEfLj64ELj1ELj8ELb1ELb1ELb0EEEvllPKT_S7_PKT0_SA_PS5_SB_.num_agpr, 0
	.set _ZN2at6native12_GLOBAL__N_135GammaBetaBackwardCUDAKernelTemplateIN3c104HalfEfLj64ELj1ELj8ELb1ELb1ELb0EEEvllPKT_S7_PKT0_SA_PS5_SB_.numbered_sgpr, 31
	.set _ZN2at6native12_GLOBAL__N_135GammaBetaBackwardCUDAKernelTemplateIN3c104HalfEfLj64ELj1ELj8ELb1ELb1ELb0EEEvllPKT_S7_PKT0_SA_PS5_SB_.num_named_barrier, 0
	.set _ZN2at6native12_GLOBAL__N_135GammaBetaBackwardCUDAKernelTemplateIN3c104HalfEfLj64ELj1ELj8ELb1ELb1ELb0EEEvllPKT_S7_PKT0_SA_PS5_SB_.private_seg_size, 0
	.set _ZN2at6native12_GLOBAL__N_135GammaBetaBackwardCUDAKernelTemplateIN3c104HalfEfLj64ELj1ELj8ELb1ELb1ELb0EEEvllPKT_S7_PKT0_SA_PS5_SB_.uses_vcc, 1
	.set _ZN2at6native12_GLOBAL__N_135GammaBetaBackwardCUDAKernelTemplateIN3c104HalfEfLj64ELj1ELj8ELb1ELb1ELb0EEEvllPKT_S7_PKT0_SA_PS5_SB_.uses_flat_scratch, 0
	.set _ZN2at6native12_GLOBAL__N_135GammaBetaBackwardCUDAKernelTemplateIN3c104HalfEfLj64ELj1ELj8ELb1ELb1ELb0EEEvllPKT_S7_PKT0_SA_PS5_SB_.has_dyn_sized_stack, 0
	.set _ZN2at6native12_GLOBAL__N_135GammaBetaBackwardCUDAKernelTemplateIN3c104HalfEfLj64ELj1ELj8ELb1ELb1ELb0EEEvllPKT_S7_PKT0_SA_PS5_SB_.has_recursion, 0
	.set _ZN2at6native12_GLOBAL__N_135GammaBetaBackwardCUDAKernelTemplateIN3c104HalfEfLj64ELj1ELj8ELb1ELb1ELb0EEEvllPKT_S7_PKT0_SA_PS5_SB_.has_indirect_call, 0
	.section	.AMDGPU.csdata,"",@progbits
; Kernel info:
; codeLenInByte = 1828
; TotalNumSgprs: 33
; NumVgprs: 50
; ScratchSize: 0
; MemoryBound: 0
; FloatMode: 240
; IeeeMode: 1
; LDSByteSize: 0 bytes/workgroup (compile time only)
; SGPRBlocks: 0
; VGPRBlocks: 6
; NumSGPRsForWavesPerEU: 33
; NumVGPRsForWavesPerEU: 50
; Occupancy: 16
; WaveLimiterHint : 0
; COMPUTE_PGM_RSRC2:SCRATCH_EN: 0
; COMPUTE_PGM_RSRC2:USER_SGPR: 2
; COMPUTE_PGM_RSRC2:TRAP_HANDLER: 0
; COMPUTE_PGM_RSRC2:TGID_X_EN: 1
; COMPUTE_PGM_RSRC2:TGID_Y_EN: 1
; COMPUTE_PGM_RSRC2:TGID_Z_EN: 0
; COMPUTE_PGM_RSRC2:TIDIG_COMP_CNT: 1
	.section	.text._ZN2at6native12_GLOBAL__N_135GammaBetaBackwardCUDAKernelTemplateIN3c104HalfEfLj64ELj1ELj8ELb1ELb0ELb0EEEvllPKT_S7_PKT0_SA_PS5_SB_,"axG",@progbits,_ZN2at6native12_GLOBAL__N_135GammaBetaBackwardCUDAKernelTemplateIN3c104HalfEfLj64ELj1ELj8ELb1ELb0ELb0EEEvllPKT_S7_PKT0_SA_PS5_SB_,comdat
	.globl	_ZN2at6native12_GLOBAL__N_135GammaBetaBackwardCUDAKernelTemplateIN3c104HalfEfLj64ELj1ELj8ELb1ELb0ELb0EEEvllPKT_S7_PKT0_SA_PS5_SB_ ; -- Begin function _ZN2at6native12_GLOBAL__N_135GammaBetaBackwardCUDAKernelTemplateIN3c104HalfEfLj64ELj1ELj8ELb1ELb0ELb0EEEvllPKT_S7_PKT0_SA_PS5_SB_
	.p2align	8
	.type	_ZN2at6native12_GLOBAL__N_135GammaBetaBackwardCUDAKernelTemplateIN3c104HalfEfLj64ELj1ELj8ELb1ELb0ELb0EEEvllPKT_S7_PKT0_SA_PS5_SB_,@function
_ZN2at6native12_GLOBAL__N_135GammaBetaBackwardCUDAKernelTemplateIN3c104HalfEfLj64ELj1ELj8ELb1ELb0ELb0EEEvllPKT_S7_PKT0_SA_PS5_SB_: ; @_ZN2at6native12_GLOBAL__N_135GammaBetaBackwardCUDAKernelTemplateIN3c104HalfEfLj64ELj1ELj8ELb1ELb0ELb0EEEvllPKT_S7_PKT0_SA_PS5_SB_
; %bb.0:
	s_clause 0x1
	s_load_b256 s[4:11], s[0:1], 0x0
	s_load_b128 s[12:15], s[0:1], 0x20
	s_lshl_b32 s30, ttmp9, 6
	s_mov_b32 s17, 0
	s_or_b32 s16, s30, 63
	s_wait_kmcnt 0x0
	v_cmp_le_i64_e64 s2, s[6:7], s[16:17]
	s_lshl_b32 s16, ttmp7, 3
	s_wait_alu 0xfffe
	v_cmp_gt_i64_e64 s31, s[4:5], s[16:17]
	s_and_b32 vcc_lo, exec_lo, s2
	v_cndmask_b32_e64 v1, 0, 1, s31
	s_delay_alu instid0(VALU_DEP_1)
	v_cmp_ne_u32_e64 s2, 1, v1
	s_cbranch_vccz .LBB76_49
; %bb.1:
	v_mov_b32_e32 v10, 0
	v_mov_b32_e32 v58, 0
	s_and_b32 vcc_lo, exec_lo, s2
	s_cbranch_vccnz .LBB76_50
; %bb.2:
	v_bfe_u32 v22, v0, 10, 10
	v_dual_mov_b32 v1, 0 :: v_dual_and_b32 v24, 0x3ff, v0
	s_load_b32 s3, s[0:1], 0x44
	s_mov_b32 s19, 0
	s_delay_alu instid0(VALU_DEP_2) | instskip(NEXT) | instid1(VALU_DEP_2)
	v_dual_mov_b32 v58, 0 :: v_dual_lshlrev_b32 v23, 3, v22
	v_dual_mov_b32 v5, v1 :: v_dual_add_nc_u32 v4, s30, v24
	s_mov_b32 s23, s19
	s_delay_alu instid0(VALU_DEP_2) | instskip(NEXT) | instid1(VALU_DEP_1)
	v_add_co_u32 v10, s2, v23, s16
	v_add_co_ci_u32_e64 v11, null, 0, 0, s2
	s_delay_alu instid0(VALU_DEP_3) | instskip(NEXT) | instid1(VALU_DEP_3)
	v_cmp_gt_i64_e64 s2, s[6:7], v[4:5]
	v_mul_lo_u32 v6, s7, v10
	v_mad_co_u64_u32 v[2:3], null, s6, v10, 0
	s_delay_alu instid0(VALU_DEP_4)
	v_mul_lo_u32 v7, s6, v11
	v_lshlrev_b64_e32 v[18:19], 1, v[4:5]
	v_mov_b32_e32 v25, v1
	v_mov_b32_e32 v59, 0
	s_add_nc_u64 s[20:21], s[0:1], 64
	s_wait_kmcnt 0x0
	s_lshl_b32 s22, s3, 3
	s_mov_b64 s[26:27], 7
	s_mul_u64 s[24:25], s[6:7], s[22:23]
	v_add3_u32 v3, v3, v7, v6
	v_add_co_u32 v6, vcc_lo, v10, 7
	s_delay_alu instid0(VALU_DEP_1)
	v_add_co_ci_u32_e64 v7, null, 0, v11, vcc_lo
	v_add_co_u32 v8, vcc_lo, v10, 6
	s_wait_alu 0xfffd
	v_add_co_ci_u32_e64 v9, null, 0, v11, vcc_lo
	v_lshlrev_b64_e32 v[4:5], 1, v[2:3]
	v_mul_lo_u32 v12, s7, v6
	v_mul_lo_u32 v13, s6, v7
	v_mad_co_u64_u32 v[6:7], null, s6, v6, 0
	v_mul_lo_u32 v14, s7, v8
	v_mul_lo_u32 v15, s6, v9
	v_mad_co_u64_u32 v[8:9], null, s6, v8, 0
	v_add_co_u32 v26, vcc_lo, s8, v4
	s_wait_alu 0xfffd
	v_add_co_ci_u32_e64 v27, null, s9, v5, vcc_lo
	v_add_co_u32 v28, vcc_lo, s10, v4
	v_add3_u32 v7, v7, v13, v12
	s_wait_alu 0xfffd
	v_add_co_ci_u32_e64 v29, null, s11, v5, vcc_lo
	v_add_co_u32 v12, vcc_lo, v10, 5
	v_add3_u32 v9, v9, v15, v14
	s_wait_alu 0xfffd
	v_add_co_ci_u32_e64 v13, null, 0, v11, vcc_lo
	v_lshlrev_b64_e32 v[4:5], 1, v[6:7]
	v_mul_lo_u32 v14, s7, v12
	v_lshlrev_b64_e32 v[6:7], 1, v[8:9]
	s_delay_alu instid0(VALU_DEP_4)
	v_mul_lo_u32 v13, s6, v13
	v_mad_co_u64_u32 v[8:9], null, s6, v12, 0
	v_add_co_u32 v30, vcc_lo, s8, v4
	s_wait_alu 0xfffd
	v_add_co_ci_u32_e64 v31, null, s9, v5, vcc_lo
	v_add_co_u32 v32, vcc_lo, s10, v4
	s_wait_alu 0xfffd
	v_add_co_ci_u32_e64 v33, null, s11, v5, vcc_lo
	v_add_co_u32 v34, vcc_lo, s8, v6
	v_add3_u32 v9, v9, v13, v14
	s_wait_alu 0xfffd
	v_add_co_ci_u32_e64 v35, null, s9, v7, vcc_lo
	v_add_co_u32 v12, vcc_lo, v10, 4
	v_add_co_u32 v36, s3, s10, v6
	s_wait_alu 0xfffd
	v_add_co_ci_u32_e64 v6, null, 0, v11, vcc_lo
	v_lshlrev_b64_e32 v[4:5], 1, v[8:9]
	v_add_co_u32 v8, vcc_lo, v10, 3
	s_wait_alu 0xfffd
	v_add_co_ci_u32_e64 v9, null, 0, v11, vcc_lo
	s_wait_alu 0xf1ff
	v_add_co_ci_u32_e64 v37, null, s11, v7, s3
	v_mul_lo_u32 v13, s7, v12
	v_mul_lo_u32 v14, s6, v6
	v_mad_co_u64_u32 v[6:7], null, s6, v12, 0
	v_mul_lo_u32 v12, s7, v8
	v_mul_lo_u32 v15, s6, v9
	v_mad_co_u64_u32 v[8:9], null, s6, v8, 0
	v_add_co_u32 v38, vcc_lo, s8, v4
	s_wait_alu 0xfffd
	v_add_co_ci_u32_e64 v39, null, s9, v5, vcc_lo
	v_add3_u32 v7, v7, v14, v13
	v_add_co_u32 v40, vcc_lo, s10, v4
	s_wait_alu 0xfffd
	v_add_co_ci_u32_e64 v41, null, s11, v5, vcc_lo
	v_add_co_u32 v10, vcc_lo, v10, 2
	v_add3_u32 v9, v9, v15, v12
	s_wait_alu 0xfffd
	v_add_co_ci_u32_e64 v11, null, 0, v11, vcc_lo
	v_lshlrev_b64_e32 v[4:5], 1, v[6:7]
	v_mul_lo_u32 v12, s7, v10
	v_lshlrev_b64_e32 v[6:7], 1, v[8:9]
	s_delay_alu instid0(VALU_DEP_4)
	v_mul_lo_u32 v11, s6, v11
	v_mad_co_u64_u32 v[8:9], null, s6, v10, 0
	v_add_co_u32 v42, vcc_lo, s8, v4
	s_wait_alu 0xfffd
	v_add_co_ci_u32_e64 v43, null, s9, v5, vcc_lo
	v_add_co_u32 v44, vcc_lo, s10, v4
	s_wait_alu 0xfffd
	v_add_co_ci_u32_e64 v45, null, s11, v5, vcc_lo
	;; [unrolled: 3-line block ×3, first 2 shown]
	v_add3_u32 v9, v9, v11, v12
	v_add_co_u32 v48, vcc_lo, s10, v6
	s_wait_alu 0xfffd
	v_add_co_ci_u32_e64 v49, null, s11, v7, vcc_lo
	v_add_co_u32 v2, vcc_lo, v2, s6
	s_wait_alu 0xfffd
	v_add_co_ci_u32_e64 v3, null, s7, v3, vcc_lo
	v_lshlrev_b64_e32 v[4:5], 1, v[8:9]
	s_lshl_b64 s[24:25], s[24:25], 1
	s_mov_b64 s[28:29], s[16:17]
	s_delay_alu instid0(VALU_DEP_2) | instskip(NEXT) | instid1(VALU_DEP_2)
	v_lshlrev_b64_e32 v[2:3], 1, v[2:3]
	v_add_co_u32 v50, vcc_lo, s8, v4
	s_wait_alu 0xfffd
	v_add_co_ci_u32_e64 v51, null, s9, v5, vcc_lo
	v_add_co_u32 v52, vcc_lo, s10, v4
	s_wait_alu 0xfffd
	v_add_co_ci_u32_e64 v53, null, s11, v5, vcc_lo
	;; [unrolled: 3-line block ×4, first 2 shown]
.LBB76_3:                               ; =>This Inner Loop Header: Depth=1
	s_add_nc_u64 s[34:35], s[16:17], s[26:27]
	v_add_co_u32 v20, vcc_lo, s16, v23
	s_wait_alu 0xfffe
	v_cmp_ge_i64_e64 s3, s[34:35], s[4:5]
	s_wait_alu 0xfffd
	v_add_co_ci_u32_e64 v21, null, 0, v25, vcc_lo
                                        ; implicit-def: $vgpr10_vgpr11_vgpr12_vgpr13_vgpr14_vgpr15_vgpr16_vgpr17
                                        ; implicit-def: $vgpr2_vgpr3_vgpr4_vgpr5_vgpr6_vgpr7_vgpr8_vgpr9
                                        ; implicit-def: $vgpr61
                                        ; implicit-def: $vgpr2
                                        ; implicit-def: $vgpr10
                                        ; implicit-def: $vgpr3
	s_and_b32 vcc_lo, exec_lo, s3
	s_mov_b32 s3, -1
	s_wait_alu 0xfffe
	s_cbranch_vccz .LBB76_25
; %bb.4:                                ;   in Loop: Header=BB76_3 Depth=1
	s_load_b32 s3, s[20:21], 0xc
	v_dual_mov_b32 v60, 0 :: v_dual_mov_b32 v61, 0
	s_wait_kmcnt 0x0
	s_and_b32 s3, s3, 0xffff
	s_wait_alu 0xfffe
	v_mad_u32_u24 v2, v22, s3, v24
	s_mov_b32 s3, exec_lo
	s_delay_alu instid0(VALU_DEP_1) | instskip(NEXT) | instid1(VALU_DEP_1)
	v_and_b32_e32 v2, 31, v2
	v_cmpx_gt_u32_e32 8, v2
	s_cbranch_execz .LBB76_8
; %bb.5:                                ;   in Loop: Header=BB76_3 Depth=1
	v_add_co_u32 v2, vcc_lo, v20, v2
	s_wait_alu 0xfffd
	v_add_co_ci_u32_e64 v3, null, 0, v21, vcc_lo
	v_dual_mov_b32 v60, 0 :: v_dual_mov_b32 v61, 0
	s_mov_b32 s18, exec_lo
	s_delay_alu instid0(VALU_DEP_2)
	v_cmpx_gt_i64_e64 s[4:5], v[2:3]
	s_cbranch_execz .LBB76_7
; %bb.6:                                ;   in Loop: Header=BB76_3 Depth=1
	v_lshlrev_b64_e32 v[2:3], 2, v[2:3]
	s_delay_alu instid0(VALU_DEP_1) | instskip(SKIP_1) | instid1(VALU_DEP_2)
	v_add_co_u32 v4, vcc_lo, s12, v2
	s_wait_alu 0xfffd
	v_add_co_ci_u32_e64 v5, null, s13, v3, vcc_lo
	v_add_co_u32 v2, vcc_lo, s14, v2
	s_wait_alu 0xfffd
	v_add_co_ci_u32_e64 v3, null, s15, v3, vcc_lo
	global_load_b32 v60, v[4:5], off
	global_load_b32 v61, v[2:3], off
.LBB76_7:                               ;   in Loop: Header=BB76_3 Depth=1
	s_or_b32 exec_lo, exec_lo, s18
.LBB76_8:                               ;   in Loop: Header=BB76_3 Depth=1
	s_wait_alu 0xfffe
	s_or_b32 exec_lo, exec_lo, s3
	v_mov_b32_e32 v8, v1
	v_dual_mov_b32 v2, v1 :: v_dual_mov_b32 v3, v1
	v_dual_mov_b32 v4, v1 :: v_dual_mov_b32 v5, v1
	;; [unrolled: 1-line block ×3, first 2 shown]
	v_cmp_gt_i64_e32 vcc_lo, s[4:5], v[20:21]
	s_delay_alu instid0(VALU_DEP_3) | instskip(NEXT) | instid1(VALU_DEP_3)
	v_dual_mov_b32 v17, v8 :: v_dual_mov_b32 v14, v5
	v_dual_mov_b32 v15, v6 :: v_dual_mov_b32 v16, v7
	;; [unrolled: 1-line block ×4, first 2 shown]
	v_mov_b32_e32 v9, v8
	v_mov_b32_e32 v8, v7
	;; [unrolled: 1-line block ×8, first 2 shown]
	s_and_b32 s18, s2, vcc_lo
	s_delay_alu instid0(SALU_CYCLE_1)
	s_and_saveexec_b32 s3, s18
	s_cbranch_execz .LBB76_10
; %bb.9:                                ;   in Loop: Header=BB76_3 Depth=1
	v_add_co_u32 v2, vcc_lo, v26, v18
	s_wait_alu 0xfffd
	v_add_co_ci_u32_e64 v3, null, v27, v19, vcc_lo
	v_add_co_u32 v4, vcc_lo, v28, v18
	s_wait_alu 0xfffd
	v_add_co_ci_u32_e64 v5, null, v29, v19, vcc_lo
	global_load_u16 v2, v[2:3], off
	global_load_u16 v10, v[4:5], off
	v_dual_mov_b32 v3, v1 :: v_dual_mov_b32 v4, v1
	v_dual_mov_b32 v5, v1 :: v_dual_mov_b32 v6, v1
	;; [unrolled: 1-line block ×6, first 2 shown]
	v_mov_b32_e32 v15, v1
	v_mov_b32_e32 v17, v1
	s_wait_loadcnt 0x1
	v_cvt_f32_f16_e32 v2, v2
	s_wait_loadcnt 0x0
	v_cvt_f32_f16_e32 v10, v10
.LBB76_10:                              ;   in Loop: Header=BB76_3 Depth=1
	s_wait_alu 0xfffe
	s_or_b32 exec_lo, exec_lo, s3
	v_add_co_u32 v62, vcc_lo, v20, 1
	s_wait_alu 0xfffd
	v_add_co_ci_u32_e64 v63, null, 0, v21, vcc_lo
	s_delay_alu instid0(VALU_DEP_1) | instskip(SKIP_1) | instid1(SALU_CYCLE_1)
	v_cmp_gt_i64_e32 vcc_lo, s[4:5], v[62:63]
	s_and_b32 s18, s2, vcc_lo
	s_and_saveexec_b32 s3, s18
	s_cbranch_execz .LBB76_12
; %bb.11:                               ;   in Loop: Header=BB76_3 Depth=1
	v_add_co_u32 v62, vcc_lo, v54, v18
	s_wait_alu 0xfffd
	v_add_co_ci_u32_e64 v63, null, v55, v19, vcc_lo
	v_add_co_u32 v64, vcc_lo, v56, v18
	s_wait_alu 0xfffd
	v_add_co_ci_u32_e64 v65, null, v57, v19, vcc_lo
	global_load_u16 v3, v[62:63], off
	global_load_u16 v11, v[64:65], off
	s_wait_loadcnt 0x1
	v_cvt_f32_f16_e32 v3, v3
	s_wait_loadcnt 0x0
	v_cvt_f32_f16_e32 v11, v11
.LBB76_12:                              ;   in Loop: Header=BB76_3 Depth=1
	s_wait_alu 0xfffe
	s_or_b32 exec_lo, exec_lo, s3
	v_add_co_u32 v62, vcc_lo, v20, 2
	s_wait_alu 0xfffd
	v_add_co_ci_u32_e64 v63, null, 0, v21, vcc_lo
	s_delay_alu instid0(VALU_DEP_1) | instskip(SKIP_1) | instid1(SALU_CYCLE_1)
	v_cmp_gt_i64_e32 vcc_lo, s[4:5], v[62:63]
	s_and_b32 s18, s2, vcc_lo
	s_and_saveexec_b32 s3, s18
	s_cbranch_execz .LBB76_14
; %bb.13:                               ;   in Loop: Header=BB76_3 Depth=1
	v_add_co_u32 v62, vcc_lo, v50, v18
	s_wait_alu 0xfffd
	v_add_co_ci_u32_e64 v63, null, v51, v19, vcc_lo
	v_add_co_u32 v64, vcc_lo, v52, v18
	s_wait_alu 0xfffd
	v_add_co_ci_u32_e64 v65, null, v53, v19, vcc_lo
	global_load_u16 v4, v[62:63], off
	global_load_u16 v12, v[64:65], off
	s_wait_loadcnt 0x1
	v_cvt_f32_f16_e32 v4, v4
	s_wait_loadcnt 0x0
	v_cvt_f32_f16_e32 v12, v12
.LBB76_14:                              ;   in Loop: Header=BB76_3 Depth=1
	;; [unrolled: 24-line block ×7, first 2 shown]
	s_wait_alu 0xfffe
	s_or_b32 exec_lo, exec_lo, s3
	s_wait_loadcnt 0x1
	ds_bpermute_b32 v62, v1, v60
	ds_bpermute_b32 v63, v1, v60 offset:4
	ds_bpermute_b32 v64, v1, v60 offset:8
	s_wait_loadcnt 0x0
	ds_bpermute_b32 v65, v1, v61
	ds_bpermute_b32 v66, v1, v60 offset:12
	ds_bpermute_b32 v67, v1, v61 offset:4
	;; [unrolled: 1-line block ×7, first 2 shown]
	s_mov_b32 s3, 0
	s_wait_dscnt 0x9
	v_dual_sub_f32 v10, v10, v62 :: v_dual_sub_f32 v11, v11, v63
	v_add_f32_e32 v62, v58, v2
	s_wait_dscnt 0x8
	v_sub_f32_e32 v12, v12, v64
	ds_bpermute_b32 v63, v1, v61 offset:16
	ds_bpermute_b32 v64, v1, v61 offset:20
	v_mul_f32_e32 v11, v3, v11
	v_add_f32_e32 v3, v3, v62
	s_delay_alu instid0(VALU_DEP_1) | instskip(SKIP_1) | instid1(VALU_DEP_1)
	v_dual_mul_f32 v2, v2, v10 :: v_dual_add_f32 v3, v4, v3
	s_wait_dscnt 0x9
	v_fma_f32 v10, v2, v65, v59
	s_wait_dscnt 0x8
	v_sub_f32_e32 v2, v13, v66
	ds_bpermute_b32 v65, v1, v61 offset:24
	ds_bpermute_b32 v61, v1, v61 offset:28
	v_add_f32_e32 v3, v5, v3
	s_wait_dscnt 0x8
	v_dual_fmac_f32 v10, v11, v67 :: v_dual_sub_f32 v11, v14, v68
	v_dual_mul_f32 v12, v4, v12 :: v_dual_mul_f32 v13, v5, v2
	s_wait_dscnt 0x5
	v_dual_sub_f32 v5, v16, v72 :: v_dual_sub_f32 v4, v15, v71
	ds_bpermute_b32 v2, v1, v60 offset:28
	v_dual_fmac_f32 v10, v12, v69 :: v_dual_mul_f32 v11, v6, v11
	v_dual_mul_f32 v5, v8, v5 :: v_dual_mul_f32 v4, v7, v4
	s_wait_dscnt 0x5
	s_delay_alu instid0(VALU_DEP_2) | instskip(NEXT) | instid1(VALU_DEP_1)
	v_dual_add_f32 v3, v6, v3 :: v_dual_fmac_f32 v10, v13, v70
	v_add_f32_e32 v3, v7, v3
	s_wait_dscnt 0x4
	s_delay_alu instid0(VALU_DEP_2) | instskip(NEXT) | instid1(VALU_DEP_2)
	v_fmac_f32_e32 v10, v11, v63
	v_add_f32_e32 v3, v8, v3
	s_wait_dscnt 0x3
	s_delay_alu instid0(VALU_DEP_2) | instskip(SKIP_1) | instid1(VALU_DEP_1)
	v_fmac_f32_e32 v10, v4, v64
	s_wait_dscnt 0x2
	v_fmac_f32_e32 v10, v5, v65
.LBB76_25:                              ;   in Loop: Header=BB76_3 Depth=1
	s_wait_alu 0xfffe
	s_and_b32 vcc_lo, exec_lo, s3
	s_wait_alu 0xfffe
	s_cbranch_vccz .LBB76_40
; %bb.26:                               ;   in Loop: Header=BB76_3 Depth=1
	s_load_b32 s3, s[20:21], 0x0
	s_wait_dscnt 0x1
	v_dual_mov_b32 v60, 0 :: v_dual_mov_b32 v61, 0
	s_wait_kmcnt 0x0
	s_cmp_lt_u32 ttmp9, s3
	s_cselect_b32 s18, 12, 18
	s_delay_alu instid0(SALU_CYCLE_1)
	s_add_nc_u64 s[34:35], s[20:21], s[18:19]
	s_load_u16 s3, s[34:35], 0x0
	s_wait_dscnt 0x0
	s_wait_kmcnt 0x0
	v_mad_u32_u24 v2, v22, s3, v24
	s_mov_b32 s3, exec_lo
	s_delay_alu instid0(VALU_DEP_1) | instskip(NEXT) | instid1(VALU_DEP_1)
	v_and_b32_e32 v2, 31, v2
	v_cmpx_gt_u32_e32 8, v2
	s_cbranch_execz .LBB76_30
; %bb.27:                               ;   in Loop: Header=BB76_3 Depth=1
	v_add_co_u32 v2, vcc_lo, v20, v2
	s_wait_alu 0xfffd
	v_add_co_ci_u32_e64 v3, null, 0, v21, vcc_lo
	v_dual_mov_b32 v60, 0 :: v_dual_mov_b32 v61, 0
	s_mov_b32 s18, exec_lo
	s_delay_alu instid0(VALU_DEP_2)
	v_cmpx_gt_i64_e64 s[4:5], v[2:3]
	s_cbranch_execz .LBB76_29
; %bb.28:                               ;   in Loop: Header=BB76_3 Depth=1
	v_lshlrev_b64_e32 v[2:3], 2, v[2:3]
	s_delay_alu instid0(VALU_DEP_1) | instskip(SKIP_1) | instid1(VALU_DEP_2)
	v_add_co_u32 v4, vcc_lo, s12, v2
	s_wait_alu 0xfffd
	v_add_co_ci_u32_e64 v5, null, s13, v3, vcc_lo
	v_add_co_u32 v2, vcc_lo, s14, v2
	s_wait_alu 0xfffd
	v_add_co_ci_u32_e64 v3, null, s15, v3, vcc_lo
	global_load_b32 v60, v[4:5], off
	global_load_b32 v61, v[2:3], off
.LBB76_29:                              ;   in Loop: Header=BB76_3 Depth=1
	s_or_b32 exec_lo, exec_lo, s18
.LBB76_30:                              ;   in Loop: Header=BB76_3 Depth=1
	s_wait_alu 0xfffe
	s_or_b32 exec_lo, exec_lo, s3
	v_mov_b32_e32 v8, v1
	v_dual_mov_b32 v2, v1 :: v_dual_mov_b32 v3, v1
	v_dual_mov_b32 v4, v1 :: v_dual_mov_b32 v5, v1
	;; [unrolled: 1-line block ×3, first 2 shown]
	s_delay_alu instid0(VALU_DEP_4) | instskip(NEXT) | instid1(VALU_DEP_3)
	v_mov_b32_e32 v17, v8
	v_dual_mov_b32 v13, v4 :: v_dual_mov_b32 v12, v3
	s_delay_alu instid0(VALU_DEP_3) | instskip(NEXT) | instid1(VALU_DEP_4)
	v_dual_mov_b32 v15, v6 :: v_dual_mov_b32 v14, v5
	v_dual_mov_b32 v16, v7 :: v_dual_mov_b32 v11, v2
	;; [unrolled: 1-line block ×3, first 2 shown]
	v_mov_b32_e32 v8, v7
	v_mov_b32_e32 v7, v6
	;; [unrolled: 1-line block ×7, first 2 shown]
	s_and_saveexec_b32 s3, s2
	s_cbranch_execnz .LBB76_42
; %bb.31:                               ;   in Loop: Header=BB76_3 Depth=1
	s_wait_alu 0xfffe
	s_or_b32 exec_lo, exec_lo, s3
	s_and_saveexec_b32 s3, s2
	s_cbranch_execnz .LBB76_43
.LBB76_32:                              ;   in Loop: Header=BB76_3 Depth=1
	s_wait_alu 0xfffe
	s_or_b32 exec_lo, exec_lo, s3
	s_and_saveexec_b32 s3, s2
	s_cbranch_execnz .LBB76_44
.LBB76_33:                              ;   in Loop: Header=BB76_3 Depth=1
	s_wait_alu 0xfffe
	s_or_b32 exec_lo, exec_lo, s3
	s_and_saveexec_b32 s3, s2
	s_cbranch_execnz .LBB76_45
.LBB76_34:                              ;   in Loop: Header=BB76_3 Depth=1
	s_wait_alu 0xfffe
	s_or_b32 exec_lo, exec_lo, s3
	s_and_saveexec_b32 s3, s2
	s_cbranch_execnz .LBB76_46
.LBB76_35:                              ;   in Loop: Header=BB76_3 Depth=1
	s_wait_alu 0xfffe
	s_or_b32 exec_lo, exec_lo, s3
	s_and_saveexec_b32 s3, s2
	s_cbranch_execnz .LBB76_47
.LBB76_36:                              ;   in Loop: Header=BB76_3 Depth=1
	s_wait_alu 0xfffe
	s_or_b32 exec_lo, exec_lo, s3
	s_and_saveexec_b32 s3, s2
	s_cbranch_execnz .LBB76_48
.LBB76_37:                              ;   in Loop: Header=BB76_3 Depth=1
	s_wait_alu 0xfffe
	s_or_b32 exec_lo, exec_lo, s3
	s_and_saveexec_b32 s3, s2
	s_cbranch_execz .LBB76_39
.LBB76_38:                              ;   in Loop: Header=BB76_3 Depth=1
	v_add_co_u32 v20, vcc_lo, v30, v18
	s_wait_alu 0xfffd
	v_add_co_ci_u32_e64 v21, null, v31, v19, vcc_lo
	v_add_co_u32 v62, vcc_lo, v32, v18
	s_wait_alu 0xfffd
	v_add_co_ci_u32_e64 v63, null, v33, v19, vcc_lo
	global_load_u16 v9, v[20:21], off
	global_load_u16 v17, v[62:63], off
	s_wait_loadcnt 0x1
	v_cvt_f32_f16_e32 v9, v9
	s_wait_loadcnt 0x0
	v_cvt_f32_f16_e32 v17, v17
.LBB76_39:                              ;   in Loop: Header=BB76_3 Depth=1
	s_wait_alu 0xfffe
	s_or_b32 exec_lo, exec_lo, s3
	s_wait_loadcnt 0x1
	ds_bpermute_b32 v20, v1, v60
	ds_bpermute_b32 v21, v1, v60 offset:4
	ds_bpermute_b32 v62, v1, v60 offset:8
	s_wait_loadcnt 0x0
	ds_bpermute_b32 v63, v1, v61
	ds_bpermute_b32 v64, v1, v60 offset:12
	ds_bpermute_b32 v65, v1, v61 offset:4
	;; [unrolled: 1-line block ×5, first 2 shown]
	s_wait_dscnt 0x7
	v_dual_sub_f32 v10, v10, v20 :: v_dual_sub_f32 v11, v11, v21
	ds_bpermute_b32 v20, v1, v61 offset:12
	ds_bpermute_b32 v21, v1, v61 offset:16
	s_wait_dscnt 0x6
	v_dual_sub_f32 v13, v13, v64 :: v_dual_mul_f32 v10, v2, v10
	v_dual_mul_f32 v11, v3, v11 :: v_dual_add_f32 v2, v58, v2
	v_sub_f32_e32 v12, v12, v62
	ds_bpermute_b32 v58, v1, v61 offset:20
	v_fmac_f32_e32 v59, v10, v63
	ds_bpermute_b32 v10, v1, v60 offset:24
	v_add_f32_e32 v2, v3, v2
	s_wait_dscnt 0x7
	v_dual_mul_f32 v12, v4, v12 :: v_dual_fmac_f32 v59, v11, v65
	s_delay_alu instid0(VALU_DEP_2)
	v_dual_mul_f32 v11, v5, v13 :: v_dual_add_f32 v4, v4, v2
	s_wait_dscnt 0x4
	v_sub_f32_e32 v13, v15, v68
	v_sub_f32_e32 v3, v14, v66
	ds_bpermute_b32 v2, v1, v60 offset:28
	v_dual_add_f32 v4, v5, v4 :: v_dual_fmac_f32 v59, v12, v67
	ds_bpermute_b32 v12, v1, v61 offset:24
	ds_bpermute_b32 v61, v1, v61 offset:28
	v_dual_mul_f32 v5, v7, v13 :: v_dual_add_f32 v4, v6, v4
	v_mul_f32_e32 v3, v6, v3
	s_wait_dscnt 0x6
	v_fmac_f32_e32 v59, v11, v20
	s_delay_alu instid0(VALU_DEP_3) | instskip(SKIP_1) | instid1(VALU_DEP_2)
	v_add_f32_e32 v4, v7, v4
	s_wait_dscnt 0x5
	v_fmac_f32_e32 v59, v3, v21
	s_wait_dscnt 0x3
	v_sub_f32_e32 v3, v16, v10
	s_delay_alu instid0(VALU_DEP_2) | instskip(NEXT) | instid1(VALU_DEP_2)
	v_fmac_f32_e32 v59, v5, v58
	v_mul_f32_e32 v3, v8, v3
	s_wait_dscnt 0x1
	s_delay_alu instid0(VALU_DEP_1) | instskip(NEXT) | instid1(VALU_DEP_1)
	v_fmac_f32_e32 v59, v3, v12
	v_dual_add_f32 v3, v8, v4 :: v_dual_mov_b32 v10, v59
.LBB76_40:                              ;   in Loop: Header=BB76_3 Depth=1
	v_add_co_u32 v26, vcc_lo, v26, s24
	s_wait_alu 0xfffd
	v_add_co_ci_u32_e64 v27, null, s25, v27, vcc_lo
	v_add_co_u32 v28, vcc_lo, v28, s24
	s_wait_alu 0xfffd
	v_add_co_ci_u32_e64 v29, null, s25, v29, vcc_lo
	;; [unrolled: 3-line block ×11, first 2 shown]
	v_add_co_u32 v48, vcc_lo, v48, s24
	s_wait_dscnt 0x0
	v_sub_f32_e32 v2, v17, v2
	s_wait_alu 0xfffd
	v_add_co_ci_u32_e64 v49, null, s25, v49, vcc_lo
	v_add_co_u32 v50, vcc_lo, v50, s24
	s_wait_alu 0xfffd
	v_add_co_ci_u32_e64 v51, null, s25, v51, vcc_lo
	v_add_co_u32 v52, vcc_lo, v52, s24
	s_wait_alu 0xfffd
	v_add_co_ci_u32_e64 v53, null, s25, v53, vcc_lo
	v_add_co_u32 v54, vcc_lo, v54, s24
	s_add_nc_u64 s[28:29], s[28:29], s[22:23]
	v_mul_f32_e32 v2, v9, v2
	s_wait_alu 0xfffd
	v_add_co_ci_u32_e64 v55, null, s25, v55, vcc_lo
	v_add_co_u32 v56, vcc_lo, v56, s24
	s_wait_alu 0xfffe
	v_cmp_lt_i64_e64 s3, s[28:29], s[4:5]
	s_wait_alu 0xfffd
	v_add_co_ci_u32_e64 v57, null, s25, v57, vcc_lo
	v_add_co_u32 v23, vcc_lo, v23, s22
	v_add_f32_e32 v58, v3, v9
	v_fmac_f32_e32 v10, v2, v61
	s_wait_alu 0xfffd
	v_add_co_ci_u32_e64 v25, null, 0, v25, vcc_lo
	s_and_b32 vcc_lo, exec_lo, s3
	s_add_nc_u64 s[26:27], s[26:27], s[22:23]
	s_wait_alu 0xfffe
	s_cbranch_vccz .LBB76_50
; %bb.41:                               ;   in Loop: Header=BB76_3 Depth=1
	v_mov_b32_e32 v59, v10
	s_branch .LBB76_3
.LBB76_42:                              ;   in Loop: Header=BB76_3 Depth=1
	v_add_co_u32 v2, vcc_lo, v26, v18
	s_wait_alu 0xfffd
	v_add_co_ci_u32_e64 v3, null, v27, v19, vcc_lo
	v_add_co_u32 v4, vcc_lo, v28, v18
	s_wait_alu 0xfffd
	v_add_co_ci_u32_e64 v5, null, v29, v19, vcc_lo
	global_load_u16 v2, v[2:3], off
	global_load_u16 v10, v[4:5], off
	v_dual_mov_b32 v3, v1 :: v_dual_mov_b32 v4, v1
	v_dual_mov_b32 v5, v1 :: v_dual_mov_b32 v6, v1
	;; [unrolled: 1-line block ×6, first 2 shown]
	v_mov_b32_e32 v15, v1
	v_mov_b32_e32 v17, v1
	s_wait_loadcnt 0x1
	v_cvt_f32_f16_e32 v2, v2
	s_wait_loadcnt 0x0
	v_cvt_f32_f16_e32 v10, v10
	s_wait_alu 0xfffe
	s_or_b32 exec_lo, exec_lo, s3
	s_and_saveexec_b32 s3, s2
	s_cbranch_execz .LBB76_32
.LBB76_43:                              ;   in Loop: Header=BB76_3 Depth=1
	v_add_co_u32 v20, vcc_lo, v54, v18
	s_wait_alu 0xfffd
	v_add_co_ci_u32_e64 v21, null, v55, v19, vcc_lo
	v_add_co_u32 v62, vcc_lo, v56, v18
	s_wait_alu 0xfffd
	v_add_co_ci_u32_e64 v63, null, v57, v19, vcc_lo
	global_load_u16 v3, v[20:21], off
	global_load_u16 v11, v[62:63], off
	s_wait_loadcnt 0x1
	v_cvt_f32_f16_e32 v3, v3
	s_wait_loadcnt 0x0
	v_cvt_f32_f16_e32 v11, v11
	s_wait_alu 0xfffe
	s_or_b32 exec_lo, exec_lo, s3
	s_and_saveexec_b32 s3, s2
	s_cbranch_execz .LBB76_33
.LBB76_44:                              ;   in Loop: Header=BB76_3 Depth=1
	v_add_co_u32 v20, vcc_lo, v50, v18
	s_wait_alu 0xfffd
	v_add_co_ci_u32_e64 v21, null, v51, v19, vcc_lo
	v_add_co_u32 v62, vcc_lo, v52, v18
	s_wait_alu 0xfffd
	v_add_co_ci_u32_e64 v63, null, v53, v19, vcc_lo
	global_load_u16 v4, v[20:21], off
	global_load_u16 v12, v[62:63], off
	s_wait_loadcnt 0x1
	v_cvt_f32_f16_e32 v4, v4
	s_wait_loadcnt 0x0
	v_cvt_f32_f16_e32 v12, v12
	s_wait_alu 0xfffe
	s_or_b32 exec_lo, exec_lo, s3
	s_and_saveexec_b32 s3, s2
	s_cbranch_execz .LBB76_34
.LBB76_45:                              ;   in Loop: Header=BB76_3 Depth=1
	v_add_co_u32 v20, vcc_lo, v46, v18
	s_wait_alu 0xfffd
	v_add_co_ci_u32_e64 v21, null, v47, v19, vcc_lo
	v_add_co_u32 v62, vcc_lo, v48, v18
	s_wait_alu 0xfffd
	v_add_co_ci_u32_e64 v63, null, v49, v19, vcc_lo
	global_load_u16 v5, v[20:21], off
	global_load_u16 v13, v[62:63], off
	s_wait_loadcnt 0x1
	v_cvt_f32_f16_e32 v5, v5
	s_wait_loadcnt 0x0
	v_cvt_f32_f16_e32 v13, v13
	s_wait_alu 0xfffe
	s_or_b32 exec_lo, exec_lo, s3
	s_and_saveexec_b32 s3, s2
	s_cbranch_execz .LBB76_35
.LBB76_46:                              ;   in Loop: Header=BB76_3 Depth=1
	v_add_co_u32 v20, vcc_lo, v42, v18
	s_wait_alu 0xfffd
	v_add_co_ci_u32_e64 v21, null, v43, v19, vcc_lo
	v_add_co_u32 v62, vcc_lo, v44, v18
	s_wait_alu 0xfffd
	v_add_co_ci_u32_e64 v63, null, v45, v19, vcc_lo
	global_load_u16 v6, v[20:21], off
	global_load_u16 v14, v[62:63], off
	s_wait_loadcnt 0x1
	v_cvt_f32_f16_e32 v6, v6
	s_wait_loadcnt 0x0
	v_cvt_f32_f16_e32 v14, v14
	s_wait_alu 0xfffe
	s_or_b32 exec_lo, exec_lo, s3
	s_and_saveexec_b32 s3, s2
	s_cbranch_execz .LBB76_36
.LBB76_47:                              ;   in Loop: Header=BB76_3 Depth=1
	v_add_co_u32 v20, vcc_lo, v38, v18
	s_wait_alu 0xfffd
	v_add_co_ci_u32_e64 v21, null, v39, v19, vcc_lo
	v_add_co_u32 v62, vcc_lo, v40, v18
	s_wait_alu 0xfffd
	v_add_co_ci_u32_e64 v63, null, v41, v19, vcc_lo
	global_load_u16 v7, v[20:21], off
	global_load_u16 v15, v[62:63], off
	s_wait_loadcnt 0x1
	v_cvt_f32_f16_e32 v7, v7
	s_wait_loadcnt 0x0
	v_cvt_f32_f16_e32 v15, v15
	s_wait_alu 0xfffe
	s_or_b32 exec_lo, exec_lo, s3
	s_and_saveexec_b32 s3, s2
	s_cbranch_execz .LBB76_37
.LBB76_48:                              ;   in Loop: Header=BB76_3 Depth=1
	v_add_co_u32 v20, vcc_lo, v34, v18
	s_wait_alu 0xfffd
	v_add_co_ci_u32_e64 v21, null, v35, v19, vcc_lo
	v_add_co_u32 v62, vcc_lo, v36, v18
	s_wait_alu 0xfffd
	v_add_co_ci_u32_e64 v63, null, v37, v19, vcc_lo
	global_load_u16 v8, v[20:21], off
	global_load_u16 v16, v[62:63], off
	s_wait_loadcnt 0x1
	v_cvt_f32_f16_e32 v8, v8
	s_wait_loadcnt 0x0
	v_cvt_f32_f16_e32 v16, v16
	s_wait_alu 0xfffe
	s_or_b32 exec_lo, exec_lo, s3
	s_and_saveexec_b32 s3, s2
	s_cbranch_execnz .LBB76_38
	s_branch .LBB76_39
.LBB76_49:
                                        ; implicit-def: $vgpr10
                                        ; implicit-def: $vgpr58
	s_branch .LBB76_51
.LBB76_50:
	s_cbranch_execnz .LBB76_83
.LBB76_51:
	v_mov_b32_e32 v10, 0
	v_mov_b32_e32 v58, 0
	s_and_not1_b32 vcc_lo, exec_lo, s31
	s_wait_alu 0xfffe
	s_cbranch_vccnz .LBB76_83
; %bb.52:
	v_bfe_u32 v50, v0, 10, 10
	v_dual_mov_b32 v1, 0 :: v_dual_and_b32 v52, 0x3ff, v0
	s_lshl_b64 s[22:23], s[16:17], 1
	s_mov_b32 s3, 0
	s_delay_alu instid0(VALU_DEP_2) | instskip(NEXT) | instid1(VALU_DEP_2)
	v_dual_mov_b32 v88, 0 :: v_dual_lshlrev_b32 v51, 3, v50
	v_dual_mov_b32 v53, v1 :: v_dual_lshlrev_b32 v8, 4, v50
	v_dual_mov_b32 v5, v1 :: v_dual_add_nc_u32 v4, s30, v52
	s_delay_alu instid0(VALU_DEP_3) | instskip(SKIP_2) | instid1(VALU_DEP_3)
	v_add_co_u32 v10, s2, v51, s16
	s_wait_alu 0xf1ff
	v_add_co_ci_u32_e64 v11, null, 0, 0, s2
	v_lshlrev_b64_e32 v[18:19], 1, v[4:5]
	s_delay_alu instid0(VALU_DEP_3) | instskip(SKIP_1) | instid1(VALU_DEP_4)
	v_mul_lo_u32 v6, s7, v10
	v_mad_co_u64_u32 v[2:3], null, s6, v10, 0
	v_mul_lo_u32 v7, s6, v11
	s_load_b32 s2, s[0:1], 0x44
	s_mov_b32 s21, s3
	v_mov_b32_e32 v87, 0
	s_add_nc_u64 s[18:19], s[0:1], 64
	s_delay_alu instid0(VALU_DEP_2) | instskip(SKIP_1) | instid1(VALU_DEP_1)
	v_add3_u32 v3, v3, v7, v6
	v_add_co_u32 v6, s20, v8, s22
	v_add_co_ci_u32_e64 v7, null, 0, s23, s20
	s_delay_alu instid0(VALU_DEP_3) | instskip(NEXT) | instid1(VALU_DEP_3)
	v_lshlrev_b64_e32 v[4:5], 1, v[2:3]
	v_add_co_u32 v8, vcc_lo, v6, 2
	s_wait_alu 0xfffd
	s_delay_alu instid0(VALU_DEP_3) | instskip(NEXT) | instid1(VALU_DEP_3)
	v_add_co_ci_u32_e64 v9, null, 0, v7, vcc_lo
	v_add_co_u32 v54, vcc_lo, s8, v4
	s_wait_alu 0xfffd
	v_add_co_ci_u32_e64 v55, null, s9, v5, vcc_lo
	v_add_co_u32 v56, vcc_lo, s10, v4
	s_wait_alu 0xfffd
	v_add_co_ci_u32_e64 v57, null, s11, v5, vcc_lo
	v_add_co_u32 v4, vcc_lo, v6, 4
	s_wait_alu 0xfffd
	v_add_co_ci_u32_e64 v5, null, 0, v7, vcc_lo
	v_add_co_u32 v13, vcc_lo, v6, 6
	s_wait_alu 0xfffd
	v_add_co_ci_u32_e64 v14, null, 0, v7, vcc_lo
	v_add_co_u32 v16, vcc_lo, v6, 8
	s_wait_alu 0xfffd
	v_add_co_ci_u32_e64 v28, null, 0, v7, vcc_lo
	v_add_co_u32 v42, vcc_lo, v6, 10
	v_mad_co_u64_u32 v[22:23], null, s6, v4, s[8:9]
	v_mul_lo_u32 v5, s6, v5
	v_mul_lo_u32 v15, s7, v4
	v_mad_co_u64_u32 v[36:37], null, s6, v4, s[10:11]
	s_wait_alu 0xfffd
	v_add_co_ci_u32_e64 v30, null, 0, v7, vcc_lo
	v_add_co_u32 v44, vcc_lo, v6, 12
	s_wait_alu 0xfffd
	v_add_co_ci_u32_e64 v32, null, 0, v7, vcc_lo
	v_add_co_u32 v6, vcc_lo, v6, 14
	v_mad_co_u64_u32 v[20:21], null, s6, v8, s[8:9]
	v_mul_lo_u32 v9, s6, v9
	v_mul_lo_u32 v12, s7, v8
	v_mad_co_u64_u32 v[34:35], null, s6, v8, s[10:11]
	s_wait_alu 0xfffd
	v_add_co_ci_u32_e64 v7, null, 0, v7, vcc_lo
	v_add_co_u32 v4, vcc_lo, v10, 7
	v_add3_u32 v23, v15, v23, v5
	v_add3_u32 v37, v15, v37, v5
	s_wait_alu 0xfffd
	v_add_co_ci_u32_e64 v5, null, 0, v11, vcc_lo
	v_mul_lo_u32 v62, s6, v7
	v_add_co_u32 v7, vcc_lo, v10, 6
	v_add3_u32 v21, v12, v21, v9
	v_add3_u32 v35, v12, v35, v9
	s_wait_alu 0xfffd
	v_add_co_ci_u32_e64 v12, null, 0, v11, vcc_lo
	v_mul_lo_u32 v8, s7, v4
	v_mul_lo_u32 v9, s6, v5
	v_mad_co_u64_u32 v[4:5], null, s6, v4, 0
	v_mad_co_u64_u32 v[24:25], null, s6, v13, s[8:9]
	v_mul_lo_u32 v17, s7, v13
	v_mul_lo_u32 v60, s6, v32
	v_mad_co_u64_u32 v[32:33], null, s6, v6, s[8:9]
	v_mul_lo_u32 v63, s7, v6
	v_mad_co_u64_u32 v[38:39], null, s6, v13, s[10:11]
	v_mad_co_u64_u32 v[46:47], null, s6, v6, s[10:11]
	v_mul_lo_u32 v13, s7, v7
	v_mul_lo_u32 v12, s6, v12
	v_mad_co_u64_u32 v[6:7], null, s6, v7, 0
	v_add3_u32 v5, v5, v9, v8
	v_add_co_u32 v8, vcc_lo, v10, 5
	v_mul_lo_u32 v48, s6, v28
	v_mad_co_u64_u32 v[28:29], null, s6, v42, s[8:9]
	v_mul_lo_u32 v58, s6, v30
	v_mul_lo_u32 v59, s7, v42
	v_mad_co_u64_u32 v[42:43], null, s6, v42, s[10:11]
	s_wait_alu 0xfffd
	v_add_co_ci_u32_e64 v9, null, 0, v11, vcc_lo
	v_add3_u32 v7, v7, v12, v13
	v_mad_co_u64_u32 v[30:31], null, s6, v44, s[8:9]
	v_mul_lo_u32 v61, s7, v44
	v_mad_co_u64_u32 v[44:45], null, s6, v44, s[10:11]
	v_lshlrev_b64_e32 v[4:5], 1, v[4:5]
	v_mul_lo_u32 v12, s7, v8
	v_mul_lo_u32 v13, s6, v9
	v_mad_co_u64_u32 v[8:9], null, s6, v8, 0
	v_lshlrev_b64_e32 v[6:7], 1, v[6:7]
	v_add3_u32 v29, v59, v29, v58
	v_add3_u32 v43, v59, v43, v58
	v_add_co_u32 v59, vcc_lo, s8, v4
	v_add3_u32 v31, v61, v31, v60
	v_add3_u32 v45, v61, v45, v60
	s_wait_alu 0xfffd
	v_add_co_ci_u32_e64 v60, null, s9, v5, vcc_lo
	v_add_co_u32 v61, vcc_lo, s10, v4
	v_add3_u32 v33, v63, v33, v62
	v_add3_u32 v47, v63, v47, v62
	s_wait_alu 0xfffd
	v_add_co_ci_u32_e64 v62, null, s11, v5, vcc_lo
	v_add_co_u32 v63, vcc_lo, s8, v6
	v_mul_lo_u32 v14, s6, v14
	v_add3_u32 v9, v9, v13, v12
	s_wait_alu 0xfffd
	v_add_co_ci_u32_e64 v64, null, s9, v7, vcc_lo
	v_add_co_u32 v12, vcc_lo, v10, 4
	s_wait_kmcnt 0x0
	s_lshl_b32 s20, s2, 3
	v_add_co_u32 v65, s2, s10, v6
	s_wait_alu 0xfffd
	v_add_co_ci_u32_e64 v6, null, 0, v11, vcc_lo
	v_lshlrev_b64_e32 v[4:5], 1, v[8:9]
	v_add_co_u32 v8, vcc_lo, v10, 3
	s_wait_alu 0xfffd
	v_add_co_ci_u32_e64 v9, null, 0, v11, vcc_lo
	v_add3_u32 v25, v17, v25, v14
	v_add3_u32 v39, v17, v39, v14
	s_wait_alu 0xf1ff
	v_add_co_ci_u32_e64 v66, null, s11, v7, s2
	v_mul_lo_u32 v13, s7, v12
	v_mul_lo_u32 v14, s6, v6
	v_mad_co_u64_u32 v[6:7], null, s6, v12, 0
	v_mul_lo_u32 v12, s7, v8
	v_mul_lo_u32 v15, s6, v9
	v_mad_co_u64_u32 v[8:9], null, s6, v8, 0
	v_add_co_u32 v67, vcc_lo, s8, v4
	s_wait_alu 0xfffd
	v_add_co_ci_u32_e64 v68, null, s9, v5, vcc_lo
	v_add3_u32 v7, v7, v14, v13
	v_add_co_u32 v69, vcc_lo, s10, v4
	s_wait_alu 0xfffd
	v_add_co_ci_u32_e64 v70, null, s11, v5, vcc_lo
	v_add_co_u32 v10, vcc_lo, v10, 2
	v_add3_u32 v9, v9, v15, v12
	s_wait_alu 0xfffd
	v_add_co_ci_u32_e64 v11, null, 0, v11, vcc_lo
	v_lshlrev_b64_e32 v[4:5], 1, v[6:7]
	v_mul_lo_u32 v12, s7, v10
	v_lshlrev_b64_e32 v[6:7], 1, v[8:9]
	s_delay_alu instid0(VALU_DEP_4)
	v_mul_lo_u32 v11, s6, v11
	v_mad_co_u64_u32 v[8:9], null, s6, v10, 0
	v_add_co_u32 v71, vcc_lo, s8, v4
	s_wait_alu 0xfffd
	v_add_co_ci_u32_e64 v72, null, s9, v5, vcc_lo
	v_add_co_u32 v73, vcc_lo, s10, v4
	s_wait_alu 0xfffd
	v_add_co_ci_u32_e64 v74, null, s11, v5, vcc_lo
	;; [unrolled: 3-line block ×3, first 2 shown]
	v_add3_u32 v9, v9, v11, v12
	v_add_co_u32 v77, vcc_lo, s10, v6
	s_wait_alu 0xfffd
	v_add_co_ci_u32_e64 v78, null, s11, v7, vcc_lo
	v_add_co_u32 v2, vcc_lo, v2, s6
	s_wait_alu 0xfffd
	v_add_co_ci_u32_e64 v3, null, s7, v3, vcc_lo
	v_lshlrev_b64_e32 v[4:5], 1, v[8:9]
	v_mad_co_u64_u32 v[26:27], null, s6, v16, s[8:9]
	s_delay_alu instid0(VALU_DEP_3)
	v_lshlrev_b64_e32 v[2:3], 1, v[2:3]
	v_mul_lo_u32 v49, s7, v16
	v_mad_co_u64_u32 v[40:41], null, s6, v16, s[10:11]
	v_add_co_u32 v79, vcc_lo, s8, v4
	s_wait_alu 0xfffd
	v_add_co_ci_u32_e64 v80, null, s9, v5, vcc_lo
	v_add_co_u32 v81, vcc_lo, s10, v4
	s_wait_alu 0xfffd
	v_add_co_ci_u32_e64 v82, null, s11, v5, vcc_lo
	v_add_co_u32 v83, vcc_lo, s8, v2
	s_wait_alu 0xfffd
	v_add_co_ci_u32_e64 v84, null, s9, v3, vcc_lo
	v_add_co_u32 v85, vcc_lo, s10, v2
	v_add3_u32 v27, v49, v27, v48
	v_add3_u32 v41, v49, v41, v48
	s_wait_alu 0xfffd
	v_add_co_ci_u32_e64 v86, null, s11, v3, vcc_lo
	s_wait_alu 0xfffe
	s_mul_u64 s[22:23], s[6:7], s[20:21]
	s_mov_b64 s[10:11], 7
	s_wait_alu 0xfffe
	s_lshl_b64 s[8:9], s[22:23], 1
	s_mov_b64 s[22:23], s[16:17]
.LBB76_53:                              ; =>This Inner Loop Header: Depth=1
	s_add_nc_u64 s[24:25], s[16:17], s[10:11]
	v_add_co_u32 v48, vcc_lo, s16, v51
	s_wait_alu 0xfffe
	v_cmp_ge_i64_e64 s2, s[24:25], s[4:5]
	s_wait_alu 0xfffd
	v_add_co_ci_u32_e64 v49, null, 0, v53, vcc_lo
                                        ; implicit-def: $vgpr58
                                        ; implicit-def: $vgpr10
	s_and_b32 vcc_lo, exec_lo, s2
	s_mov_b32 s2, -1
	s_wait_alu 0xfffe
	s_cbranch_vccz .LBB76_75
; %bb.54:                               ;   in Loop: Header=BB76_53 Depth=1
	s_load_b32 s2, s[18:19], 0xc
	v_dual_mov_b32 v58, 0 :: v_dual_mov_b32 v89, 0
	s_wait_kmcnt 0x0
	s_and_b32 s2, s2, 0xffff
	s_wait_alu 0xfffe
	v_mad_u32_u24 v2, v50, s2, v52
	s_mov_b32 s2, exec_lo
	s_delay_alu instid0(VALU_DEP_1) | instskip(NEXT) | instid1(VALU_DEP_1)
	v_and_b32_e32 v2, 31, v2
	v_cmpx_gt_u32_e32 8, v2
	s_cbranch_execz .LBB76_58
; %bb.55:                               ;   in Loop: Header=BB76_53 Depth=1
	v_add_co_u32 v2, vcc_lo, v48, v2
	s_wait_alu 0xfffd
	v_add_co_ci_u32_e64 v3, null, 0, v49, vcc_lo
	v_dual_mov_b32 v89, 0 :: v_dual_mov_b32 v58, 0
	s_mov_b32 s24, exec_lo
	s_delay_alu instid0(VALU_DEP_2)
	v_cmpx_gt_i64_e64 s[4:5], v[2:3]
	s_cbranch_execz .LBB76_57
; %bb.56:                               ;   in Loop: Header=BB76_53 Depth=1
	v_lshlrev_b64_e32 v[2:3], 2, v[2:3]
	s_delay_alu instid0(VALU_DEP_1) | instskip(SKIP_1) | instid1(VALU_DEP_2)
	v_add_co_u32 v4, vcc_lo, s12, v2
	s_wait_alu 0xfffd
	v_add_co_ci_u32_e64 v5, null, s13, v3, vcc_lo
	v_add_co_u32 v2, vcc_lo, s14, v2
	s_wait_alu 0xfffd
	v_add_co_ci_u32_e64 v3, null, s15, v3, vcc_lo
	global_load_b32 v89, v[4:5], off
	global_load_b32 v58, v[2:3], off
.LBB76_57:                              ;   in Loop: Header=BB76_53 Depth=1
	s_wait_alu 0xfffe
	s_or_b32 exec_lo, exec_lo, s24
.LBB76_58:                              ;   in Loop: Header=BB76_53 Depth=1
	s_wait_alu 0xfffe
	s_or_b32 exec_lo, exec_lo, s2
	v_mov_b32_e32 v8, v1
	v_dual_mov_b32 v2, v1 :: v_dual_mov_b32 v3, v1
	v_dual_mov_b32 v4, v1 :: v_dual_mov_b32 v5, v1
	;; [unrolled: 1-line block ×3, first 2 shown]
	s_delay_alu instid0(VALU_DEP_4) | instskip(NEXT) | instid1(VALU_DEP_3)
	v_mov_b32_e32 v17, v8
	v_dual_mov_b32 v13, v4 :: v_dual_mov_b32 v12, v3
	s_delay_alu instid0(VALU_DEP_3) | instskip(NEXT) | instid1(VALU_DEP_4)
	v_dual_mov_b32 v15, v6 :: v_dual_mov_b32 v14, v5
	v_dual_mov_b32 v16, v7 :: v_dual_mov_b32 v11, v2
	;; [unrolled: 1-line block ×3, first 2 shown]
	v_mov_b32_e32 v8, v7
	v_mov_b32_e32 v7, v6
	;; [unrolled: 1-line block ×7, first 2 shown]
	s_mov_b32 s2, exec_lo
	v_cmpx_gt_i64_e64 s[4:5], v[48:49]
	s_cbranch_execz .LBB76_60
; %bb.59:                               ;   in Loop: Header=BB76_53 Depth=1
	v_add_co_u32 v2, vcc_lo, v54, v18
	s_wait_alu 0xfffd
	v_add_co_ci_u32_e64 v3, null, v55, v19, vcc_lo
	v_add_co_u32 v4, vcc_lo, v56, v18
	s_wait_alu 0xfffd
	v_add_co_ci_u32_e64 v5, null, v57, v19, vcc_lo
	global_load_u16 v2, v[2:3], off
	global_load_u16 v10, v[4:5], off
	v_dual_mov_b32 v3, v1 :: v_dual_mov_b32 v4, v1
	v_dual_mov_b32 v5, v1 :: v_dual_mov_b32 v6, v1
	;; [unrolled: 1-line block ×6, first 2 shown]
	v_mov_b32_e32 v15, v1
	v_mov_b32_e32 v17, v1
	s_wait_loadcnt 0x1
	v_cvt_f32_f16_e32 v2, v2
	s_wait_loadcnt 0x0
	v_cvt_f32_f16_e32 v10, v10
.LBB76_60:                              ;   in Loop: Header=BB76_53 Depth=1
	s_wait_alu 0xfffe
	s_or_b32 exec_lo, exec_lo, s2
	v_add_co_u32 v90, vcc_lo, v48, 1
	s_wait_alu 0xfffd
	v_add_co_ci_u32_e64 v91, null, 0, v49, vcc_lo
	s_mov_b32 s2, exec_lo
	v_cmpx_gt_i64_e64 s[4:5], v[90:91]
	s_cbranch_execz .LBB76_62
; %bb.61:                               ;   in Loop: Header=BB76_53 Depth=1
	v_add_co_u32 v90, vcc_lo, v83, v18
	s_wait_alu 0xfffd
	v_add_co_ci_u32_e64 v91, null, v84, v19, vcc_lo
	v_add_co_u32 v92, vcc_lo, v85, v18
	s_wait_alu 0xfffd
	v_add_co_ci_u32_e64 v93, null, v86, v19, vcc_lo
	global_load_u16 v3, v[90:91], off
	global_load_u16 v11, v[92:93], off
	s_wait_loadcnt 0x1
	v_cvt_f32_f16_e32 v3, v3
	s_wait_loadcnt 0x0
	v_cvt_f32_f16_e32 v11, v11
.LBB76_62:                              ;   in Loop: Header=BB76_53 Depth=1
	s_wait_alu 0xfffe
	s_or_b32 exec_lo, exec_lo, s2
	v_add_co_u32 v90, vcc_lo, v48, 2
	s_wait_alu 0xfffd
	v_add_co_ci_u32_e64 v91, null, 0, v49, vcc_lo
	s_mov_b32 s2, exec_lo
	v_cmpx_gt_i64_e64 s[4:5], v[90:91]
	s_cbranch_execz .LBB76_64
; %bb.63:                               ;   in Loop: Header=BB76_53 Depth=1
	v_add_co_u32 v90, vcc_lo, v79, v18
	s_wait_alu 0xfffd
	v_add_co_ci_u32_e64 v91, null, v80, v19, vcc_lo
	v_add_co_u32 v92, vcc_lo, v81, v18
	s_wait_alu 0xfffd
	v_add_co_ci_u32_e64 v93, null, v82, v19, vcc_lo
	global_load_u16 v4, v[90:91], off
	global_load_u16 v12, v[92:93], off
	s_wait_loadcnt 0x1
	v_cvt_f32_f16_e32 v4, v4
	s_wait_loadcnt 0x0
	v_cvt_f32_f16_e32 v12, v12
.LBB76_64:                              ;   in Loop: Header=BB76_53 Depth=1
	s_wait_alu 0xfffe
	s_or_b32 exec_lo, exec_lo, s2
	v_add_co_u32 v90, vcc_lo, v48, 3
	s_wait_alu 0xfffd
	v_add_co_ci_u32_e64 v91, null, 0, v49, vcc_lo
	s_mov_b32 s2, exec_lo
	v_cmpx_gt_i64_e64 s[4:5], v[90:91]
	s_cbranch_execz .LBB76_66
; %bb.65:                               ;   in Loop: Header=BB76_53 Depth=1
	v_add_co_u32 v90, vcc_lo, v75, v18
	s_wait_alu 0xfffd
	v_add_co_ci_u32_e64 v91, null, v76, v19, vcc_lo
	v_add_co_u32 v92, vcc_lo, v77, v18
	s_wait_alu 0xfffd
	v_add_co_ci_u32_e64 v93, null, v78, v19, vcc_lo
	global_load_u16 v5, v[90:91], off
	global_load_u16 v13, v[92:93], off
	s_wait_loadcnt 0x1
	v_cvt_f32_f16_e32 v5, v5
	s_wait_loadcnt 0x0
	v_cvt_f32_f16_e32 v13, v13
.LBB76_66:                              ;   in Loop: Header=BB76_53 Depth=1
	s_wait_alu 0xfffe
	s_or_b32 exec_lo, exec_lo, s2
	v_add_co_u32 v90, vcc_lo, v48, 4
	s_wait_alu 0xfffd
	v_add_co_ci_u32_e64 v91, null, 0, v49, vcc_lo
	s_mov_b32 s2, exec_lo
	v_cmpx_gt_i64_e64 s[4:5], v[90:91]
	s_cbranch_execz .LBB76_68
; %bb.67:                               ;   in Loop: Header=BB76_53 Depth=1
	v_add_co_u32 v90, vcc_lo, v71, v18
	s_wait_alu 0xfffd
	v_add_co_ci_u32_e64 v91, null, v72, v19, vcc_lo
	v_add_co_u32 v92, vcc_lo, v73, v18
	s_wait_alu 0xfffd
	v_add_co_ci_u32_e64 v93, null, v74, v19, vcc_lo
	global_load_u16 v6, v[90:91], off
	global_load_u16 v14, v[92:93], off
	s_wait_loadcnt 0x1
	v_cvt_f32_f16_e32 v6, v6
	s_wait_loadcnt 0x0
	v_cvt_f32_f16_e32 v14, v14
.LBB76_68:                              ;   in Loop: Header=BB76_53 Depth=1
	s_wait_alu 0xfffe
	s_or_b32 exec_lo, exec_lo, s2
	v_add_co_u32 v90, vcc_lo, v48, 5
	s_wait_alu 0xfffd
	v_add_co_ci_u32_e64 v91, null, 0, v49, vcc_lo
	s_mov_b32 s2, exec_lo
	v_cmpx_gt_i64_e64 s[4:5], v[90:91]
	s_cbranch_execz .LBB76_70
; %bb.69:                               ;   in Loop: Header=BB76_53 Depth=1
	v_add_co_u32 v90, vcc_lo, v67, v18
	s_wait_alu 0xfffd
	v_add_co_ci_u32_e64 v91, null, v68, v19, vcc_lo
	v_add_co_u32 v92, vcc_lo, v69, v18
	s_wait_alu 0xfffd
	v_add_co_ci_u32_e64 v93, null, v70, v19, vcc_lo
	global_load_u16 v7, v[90:91], off
	global_load_u16 v15, v[92:93], off
	s_wait_loadcnt 0x1
	v_cvt_f32_f16_e32 v7, v7
	s_wait_loadcnt 0x0
	v_cvt_f32_f16_e32 v15, v15
.LBB76_70:                              ;   in Loop: Header=BB76_53 Depth=1
	s_wait_alu 0xfffe
	s_or_b32 exec_lo, exec_lo, s2
	v_add_co_u32 v90, vcc_lo, v48, 6
	s_wait_alu 0xfffd
	v_add_co_ci_u32_e64 v91, null, 0, v49, vcc_lo
	s_mov_b32 s2, exec_lo
	v_cmpx_gt_i64_e64 s[4:5], v[90:91]
	s_cbranch_execz .LBB76_72
; %bb.71:                               ;   in Loop: Header=BB76_53 Depth=1
	v_add_co_u32 v90, vcc_lo, v63, v18
	s_wait_alu 0xfffd
	v_add_co_ci_u32_e64 v91, null, v64, v19, vcc_lo
	v_add_co_u32 v92, vcc_lo, v65, v18
	s_wait_alu 0xfffd
	v_add_co_ci_u32_e64 v93, null, v66, v19, vcc_lo
	global_load_u16 v8, v[90:91], off
	global_load_u16 v16, v[92:93], off
	s_wait_loadcnt 0x1
	v_cvt_f32_f16_e32 v8, v8
	s_wait_loadcnt 0x0
	v_cvt_f32_f16_e32 v16, v16
.LBB76_72:                              ;   in Loop: Header=BB76_53 Depth=1
	s_wait_alu 0xfffe
	s_or_b32 exec_lo, exec_lo, s2
	v_add_co_u32 v90, vcc_lo, v48, 7
	s_wait_alu 0xfffd
	v_add_co_ci_u32_e64 v91, null, 0, v49, vcc_lo
	s_mov_b32 s2, exec_lo
	v_cmpx_gt_i64_e64 s[4:5], v[90:91]
	s_cbranch_execz .LBB76_74
; %bb.73:                               ;   in Loop: Header=BB76_53 Depth=1
	v_add_co_u32 v90, vcc_lo, v59, v18
	s_wait_alu 0xfffd
	v_add_co_ci_u32_e64 v91, null, v60, v19, vcc_lo
	v_add_co_u32 v92, vcc_lo, v61, v18
	s_wait_alu 0xfffd
	v_add_co_ci_u32_e64 v93, null, v62, v19, vcc_lo
	global_load_u16 v9, v[90:91], off
	global_load_u16 v17, v[92:93], off
	s_wait_loadcnt 0x1
	v_cvt_f32_f16_e32 v9, v9
	s_wait_loadcnt 0x0
	v_cvt_f32_f16_e32 v17, v17
.LBB76_74:                              ;   in Loop: Header=BB76_53 Depth=1
	s_wait_alu 0xfffe
	s_or_b32 exec_lo, exec_lo, s2
	s_wait_loadcnt 0x1
	ds_bpermute_b32 v90, v1, v89
	ds_bpermute_b32 v91, v1, v89 offset:4
	ds_bpermute_b32 v92, v1, v89 offset:8
	;; [unrolled: 1-line block ×3, first 2 shown]
	s_wait_loadcnt 0x0
	ds_bpermute_b32 v93, v1, v58
	ds_bpermute_b32 v95, v1, v58 offset:4
	ds_bpermute_b32 v96, v1, v89 offset:16
	;; [unrolled: 1-line block ×7, first 2 shown]
	s_mov_b32 s2, 0
	s_wait_dscnt 0xa
	v_dual_sub_f32 v10, v10, v90 :: v_dual_sub_f32 v11, v11, v91
	v_add_f32_e32 v90, v88, v2
	s_wait_dscnt 0x8
	v_dual_sub_f32 v12, v12, v92 :: v_dual_sub_f32 v13, v13, v94
	s_delay_alu instid0(VALU_DEP_3)
	v_mul_f32_e32 v2, v2, v10
	ds_bpermute_b32 v91, v1, v58 offset:16
	v_dual_mul_f32 v11, v3, v11 :: v_dual_mul_f32 v12, v4, v12
	v_add_f32_e32 v3, v3, v90
	v_mul_f32_e32 v13, v5, v13
	s_wait_dscnt 0x8
	v_fma_f32 v10, v2, v93, v87
	ds_bpermute_b32 v2, v1, v58 offset:20
	s_wait_dscnt 0x7
	v_dual_sub_f32 v14, v14, v96 :: v_dual_add_f32 v3, v4, v3
	ds_bpermute_b32 v4, v1, v58 offset:28
	v_fmac_f32_e32 v10, v11, v95
	ds_bpermute_b32 v11, v1, v58 offset:24
	v_dual_mul_f32 v14, v6, v14 :: v_dual_add_f32 v3, v5, v3
	s_wait_dscnt 0x7
	v_sub_f32_e32 v5, v16, v100
	v_fmac_f32_e32 v10, v12, v97
	s_wait_dscnt 0x5
	v_sub_f32_e32 v12, v15, v99
	s_wait_dscnt 0x4
	v_dual_add_f32 v3, v6, v3 :: v_dual_sub_f32 v6, v17, v89
	v_dual_fmac_f32 v10, v13, v98 :: v_dual_mul_f32 v5, v8, v5
	s_delay_alu instid0(VALU_DEP_3) | instskip(SKIP_1) | instid1(VALU_DEP_2)
	v_mul_f32_e32 v12, v7, v12
	s_wait_dscnt 0x3
	v_fmac_f32_e32 v10, v14, v91
	s_wait_dscnt 0x2
	s_delay_alu instid0(VALU_DEP_1) | instskip(SKIP_2) | instid1(VALU_DEP_2)
	v_fmac_f32_e32 v10, v12, v2
	v_dual_add_f32 v2, v7, v3 :: v_dual_mul_f32 v3, v9, v6
	s_wait_dscnt 0x0
	v_fmac_f32_e32 v10, v5, v11
	s_delay_alu instid0(VALU_DEP_2) | instskip(NEXT) | instid1(VALU_DEP_2)
	v_add_f32_e32 v2, v8, v2
	v_fmac_f32_e32 v10, v3, v4
	s_delay_alu instid0(VALU_DEP_2)
	v_add_f32_e32 v58, v9, v2
.LBB76_75:                              ;   in Loop: Header=BB76_53 Depth=1
	s_wait_alu 0xfffe
	s_and_b32 vcc_lo, exec_lo, s2
	s_wait_alu 0xfffe
	s_cbranch_vccz .LBB76_81
; %bb.76:                               ;   in Loop: Header=BB76_53 Depth=1
	s_load_b32 s2, s[18:19], 0x0
	v_dual_mov_b32 v4, 0 :: v_dual_mov_b32 v5, 0
	s_wait_kmcnt 0x0
	s_cmp_lt_u32 ttmp9, s2
	s_cselect_b32 s2, 12, 18
	s_wait_alu 0xfffe
	s_add_nc_u64 s[24:25], s[18:19], s[2:3]
	s_load_u16 s2, s[24:25], 0x0
	s_wait_kmcnt 0x0
	v_mad_u32_u24 v2, v50, s2, v52
	s_mov_b32 s2, exec_lo
	s_delay_alu instid0(VALU_DEP_1) | instskip(NEXT) | instid1(VALU_DEP_1)
	v_and_b32_e32 v2, 31, v2
	v_cmpx_gt_u32_e32 8, v2
	s_cbranch_execz .LBB76_80
; %bb.77:                               ;   in Loop: Header=BB76_53 Depth=1
	v_add_co_u32 v2, vcc_lo, v48, v2
	s_wait_alu 0xfffd
	v_add_co_ci_u32_e64 v3, null, 0, v49, vcc_lo
	v_dual_mov_b32 v4, 0 :: v_dual_mov_b32 v5, 0
	s_mov_b32 s24, exec_lo
	s_delay_alu instid0(VALU_DEP_2)
	v_cmpx_gt_i64_e64 s[4:5], v[2:3]
	s_cbranch_execz .LBB76_79
; %bb.78:                               ;   in Loop: Header=BB76_53 Depth=1
	v_lshlrev_b64_e32 v[2:3], 2, v[2:3]
	s_delay_alu instid0(VALU_DEP_1) | instskip(SKIP_1) | instid1(VALU_DEP_2)
	v_add_co_u32 v4, vcc_lo, s12, v2
	s_wait_alu 0xfffd
	v_add_co_ci_u32_e64 v5, null, s13, v3, vcc_lo
	v_add_co_u32 v2, vcc_lo, s14, v2
	s_wait_alu 0xfffd
	v_add_co_ci_u32_e64 v3, null, s15, v3, vcc_lo
	global_load_b32 v4, v[4:5], off
	global_load_b32 v5, v[2:3], off
.LBB76_79:                              ;   in Loop: Header=BB76_53 Depth=1
	s_wait_alu 0xfffe
	s_or_b32 exec_lo, exec_lo, s24
.LBB76_80:                              ;   in Loop: Header=BB76_53 Depth=1
	s_wait_alu 0xfffe
	s_or_b32 exec_lo, exec_lo, s2
	v_add_co_u32 v2, vcc_lo, v54, v18
	s_wait_alu 0xfffd
	v_add_co_ci_u32_e64 v3, null, v55, v19, vcc_lo
	s_wait_loadcnt 0x1
	ds_bpermute_b32 v89, v1, v4
	global_load_u16 v2, v[2:3], off
	s_wait_loadcnt 0x0
	v_cvt_f32_f16_e32 v6, v2
	v_add_co_u32 v2, vcc_lo, v56, v18
	s_wait_alu 0xfffd
	v_add_co_ci_u32_e64 v3, null, v57, v19, vcc_lo
	global_load_u16 v2, v[2:3], off
	s_wait_loadcnt 0x0
	v_cvt_f32_f16_e32 v7, v2
	v_add_co_u32 v2, vcc_lo, v20, v18
	s_wait_alu 0xfffd
	v_add_co_ci_u32_e64 v3, null, v21, v19, vcc_lo
	;; [unrolled: 6-line block ×15, first 2 shown]
	global_load_u16 v2, v[2:3], off
	ds_bpermute_b32 v3, v1, v5
	s_wait_loadcnt 0x0
	v_cvt_f32_f16_e32 v2, v2
	s_wait_dscnt 0x1
	v_sub_f32_e32 v7, v7, v89
	s_delay_alu instid0(VALU_DEP_1) | instskip(SKIP_1) | instid1(VALU_DEP_1)
	v_mul_f32_e32 v7, v7, v6
	s_wait_dscnt 0x0
	v_fmac_f32_e32 v87, v7, v3
	v_add_f32_e32 v3, v88, v6
	ds_bpermute_b32 v7, v1, v4 offset:4
	ds_bpermute_b32 v6, v1, v5 offset:4
	v_add_f32_e32 v3, v3, v8
	s_delay_alu instid0(VALU_DEP_1) | instskip(NEXT) | instid1(VALU_DEP_1)
	v_add_f32_e32 v3, v3, v10
	v_add_f32_e32 v3, v3, v12
	s_delay_alu instid0(VALU_DEP_1) | instskip(NEXT) | instid1(VALU_DEP_1)
	v_add_f32_e32 v3, v3, v14
	v_add_f32_e32 v3, v3, v16
	s_delay_alu instid0(VALU_DEP_1) | instskip(SKIP_2) | instid1(VALU_DEP_1)
	v_add_f32_e32 v3, v3, v48
	s_wait_dscnt 0x1
	v_sub_f32_e32 v7, v9, v7
	v_mul_f32_e32 v7, v7, v8
	s_wait_dscnt 0x0
	s_delay_alu instid0(VALU_DEP_1) | instskip(SKIP_4) | instid1(VALU_DEP_1)
	v_fmac_f32_e32 v87, v7, v6
	ds_bpermute_b32 v7, v1, v4 offset:8
	ds_bpermute_b32 v6, v1, v5 offset:8
	s_wait_dscnt 0x1
	v_sub_f32_e32 v7, v11, v7
	v_mul_f32_e32 v7, v7, v10
	s_wait_dscnt 0x0
	s_delay_alu instid0(VALU_DEP_1) | instskip(SKIP_4) | instid1(VALU_DEP_1)
	v_fmac_f32_e32 v87, v7, v6
	ds_bpermute_b32 v7, v1, v4 offset:12
	ds_bpermute_b32 v6, v1, v5 offset:12
	;; [unrolled: 8-line block ×4, first 2 shown]
	s_wait_dscnt 0x1
	v_sub_f32_e32 v7, v17, v7
	v_mul_f32_e32 v7, v7, v16
	s_wait_dscnt 0x0
	s_delay_alu instid0(VALU_DEP_1)
	v_fmac_f32_e32 v87, v7, v6
	ds_bpermute_b32 v7, v1, v4 offset:24
	ds_bpermute_b32 v4, v1, v4 offset:28
	;; [unrolled: 1-line block ×4, first 2 shown]
	s_wait_dscnt 0x2
	v_dual_sub_f32 v7, v49, v7 :: v_dual_sub_f32 v2, v2, v4
	s_delay_alu instid0(VALU_DEP_1) | instskip(SKIP_2) | instid1(VALU_DEP_2)
	v_dual_mul_f32 v7, v7, v48 :: v_dual_mul_f32 v2, v2, v58
	v_add_f32_e32 v58, v3, v58
	s_wait_dscnt 0x1
	v_fmac_f32_e32 v87, v7, v6
	s_wait_dscnt 0x0
	s_delay_alu instid0(VALU_DEP_1) | instskip(NEXT) | instid1(VALU_DEP_1)
	v_fmac_f32_e32 v87, v2, v5
	v_mov_b32_e32 v10, v87
.LBB76_81:                              ;   in Loop: Header=BB76_53 Depth=1
	v_add_co_u32 v54, vcc_lo, v54, s8
	s_wait_alu 0xfffd
	v_add_co_ci_u32_e64 v55, null, s9, v55, vcc_lo
	v_add_co_u32 v56, vcc_lo, v56, s8
	s_wait_alu 0xfffd
	v_add_co_ci_u32_e64 v57, null, s9, v57, vcc_lo
	;; [unrolled: 3-line block ×28, first 2 shown]
	v_add_co_u32 v81, vcc_lo, v81, s8
	s_add_nc_u64 s[22:23], s[22:23], s[20:21]
	s_wait_alu 0xfffd
	v_add_co_ci_u32_e64 v82, null, s9, v82, vcc_lo
	v_add_co_u32 v83, vcc_lo, v83, s8
	s_wait_alu 0xfffe
	v_cmp_ge_i64_e64 s2, s[22:23], s[4:5]
	s_wait_alu 0xfffd
	v_add_co_ci_u32_e64 v84, null, s9, v84, vcc_lo
	v_add_co_u32 v85, vcc_lo, v85, s8
	s_wait_alu 0xfffd
	v_add_co_ci_u32_e64 v86, null, s9, v86, vcc_lo
	s_and_b32 vcc_lo, exec_lo, s2
	s_add_nc_u64 s[10:11], s[10:11], s[20:21]
	s_wait_alu 0xfffe
	s_cbranch_vccnz .LBB76_83
; %bb.82:                               ;   in Loop: Header=BB76_53 Depth=1
	v_dual_mov_b32 v88, v58 :: v_dual_mov_b32 v87, v10
	s_branch .LBB76_53
.LBB76_83:
	s_mov_b32 s2, ttmp9
	s_mov_b32 s3, 0
	s_wait_alu 0xfffe
	s_lshl_b64 s[2:3], s[2:3], 6
	s_wait_alu 0xfffe
	v_and_or_b32 v4, 0x3ff, v0, s2
	v_mov_b32_e32 v5, s3
	s_mov_b32 s2, exec_lo
	s_delay_alu instid0(VALU_DEP_1)
	v_cmpx_gt_i64_e64 s[6:7], v[4:5]
	s_cbranch_execz .LBB76_88
; %bb.84:
	s_clause 0x1
	s_load_u16 s4, s[0:1], 0x4e
	s_load_b128 s[0:3], s[0:1], 0x30
	v_bfe_u32 v0, v0, 10, 10
	v_mov_b32_e32 v1, 0
	s_wait_kmcnt 0x0
	s_delay_alu instid0(VALU_DEP_1) | instskip(SKIP_2) | instid1(VALU_DEP_2)
	v_mad_co_u64_u32 v[2:3], null, s4, ttmp7, v[0:1]
	v_lshlrev_b64_e32 v[0:1], 1, v[4:5]
	s_cmp_eq_u64 s[0:1], 0
	v_mul_lo_u32 v3, v3, s6
	s_delay_alu instid0(VALU_DEP_3)
	v_mul_lo_u32 v6, v2, s7
	s_cbranch_scc1 .LBB76_86
; %bb.85:
	v_mad_co_u64_u32 v[4:5], null, v2, s6, 0
	v_cvt_f16_f32_e32 v7, v10
	s_delay_alu instid0(VALU_DEP_2) | instskip(NEXT) | instid1(VALU_DEP_1)
	v_add3_u32 v5, v5, v6, v3
	v_lshlrev_b64_e32 v[4:5], 1, v[4:5]
	s_delay_alu instid0(VALU_DEP_1) | instskip(SKIP_1) | instid1(VALU_DEP_2)
	v_add_co_u32 v4, vcc_lo, s0, v4
	s_wait_alu 0xfffd
	v_add_co_ci_u32_e64 v5, null, s1, v5, vcc_lo
	s_delay_alu instid0(VALU_DEP_2) | instskip(SKIP_1) | instid1(VALU_DEP_2)
	v_add_co_u32 v4, vcc_lo, v4, v0
	s_wait_alu 0xfffd
	v_add_co_ci_u32_e64 v5, null, v5, v1, vcc_lo
	global_store_b16 v[4:5], v7, off
.LBB76_86:
	s_cmp_eq_u64 s[2:3], 0
	s_cbranch_scc1 .LBB76_88
; %bb.87:
	v_mad_co_u64_u32 v[4:5], null, v2, s6, 0
	s_delay_alu instid0(VALU_DEP_1) | instskip(NEXT) | instid1(VALU_DEP_1)
	v_add3_u32 v5, v5, v6, v3
	v_lshlrev_b64_e32 v[2:3], 1, v[4:5]
	v_cvt_f16_f32_e32 v4, v58
	s_delay_alu instid0(VALU_DEP_2) | instskip(SKIP_1) | instid1(VALU_DEP_3)
	v_add_co_u32 v2, vcc_lo, s2, v2
	s_wait_alu 0xfffd
	v_add_co_ci_u32_e64 v3, null, s3, v3, vcc_lo
	s_delay_alu instid0(VALU_DEP_2) | instskip(SKIP_1) | instid1(VALU_DEP_2)
	v_add_co_u32 v0, vcc_lo, v2, v0
	s_wait_alu 0xfffd
	v_add_co_ci_u32_e64 v1, null, v3, v1, vcc_lo
	global_store_b16 v[0:1], v4, off
.LBB76_88:
	s_nop 0
	s_sendmsg sendmsg(MSG_DEALLOC_VGPRS)
	s_endpgm
	.section	.rodata,"a",@progbits
	.p2align	6, 0x0
	.amdhsa_kernel _ZN2at6native12_GLOBAL__N_135GammaBetaBackwardCUDAKernelTemplateIN3c104HalfEfLj64ELj1ELj8ELb1ELb0ELb0EEEvllPKT_S7_PKT0_SA_PS5_SB_
		.amdhsa_group_segment_fixed_size 0
		.amdhsa_private_segment_fixed_size 0
		.amdhsa_kernarg_size 320
		.amdhsa_user_sgpr_count 2
		.amdhsa_user_sgpr_dispatch_ptr 0
		.amdhsa_user_sgpr_queue_ptr 0
		.amdhsa_user_sgpr_kernarg_segment_ptr 1
		.amdhsa_user_sgpr_dispatch_id 0
		.amdhsa_user_sgpr_private_segment_size 0
		.amdhsa_wavefront_size32 1
		.amdhsa_uses_dynamic_stack 0
		.amdhsa_enable_private_segment 0
		.amdhsa_system_sgpr_workgroup_id_x 1
		.amdhsa_system_sgpr_workgroup_id_y 1
		.amdhsa_system_sgpr_workgroup_id_z 0
		.amdhsa_system_sgpr_workgroup_info 0
		.amdhsa_system_vgpr_workitem_id 1
		.amdhsa_next_free_vgpr 101
		.amdhsa_next_free_sgpr 36
		.amdhsa_reserve_vcc 1
		.amdhsa_float_round_mode_32 0
		.amdhsa_float_round_mode_16_64 0
		.amdhsa_float_denorm_mode_32 3
		.amdhsa_float_denorm_mode_16_64 3
		.amdhsa_fp16_overflow 0
		.amdhsa_workgroup_processor_mode 1
		.amdhsa_memory_ordered 1
		.amdhsa_forward_progress 1
		.amdhsa_inst_pref_size 78
		.amdhsa_round_robin_scheduling 0
		.amdhsa_exception_fp_ieee_invalid_op 0
		.amdhsa_exception_fp_denorm_src 0
		.amdhsa_exception_fp_ieee_div_zero 0
		.amdhsa_exception_fp_ieee_overflow 0
		.amdhsa_exception_fp_ieee_underflow 0
		.amdhsa_exception_fp_ieee_inexact 0
		.amdhsa_exception_int_div_zero 0
	.end_amdhsa_kernel
	.section	.text._ZN2at6native12_GLOBAL__N_135GammaBetaBackwardCUDAKernelTemplateIN3c104HalfEfLj64ELj1ELj8ELb1ELb0ELb0EEEvllPKT_S7_PKT0_SA_PS5_SB_,"axG",@progbits,_ZN2at6native12_GLOBAL__N_135GammaBetaBackwardCUDAKernelTemplateIN3c104HalfEfLj64ELj1ELj8ELb1ELb0ELb0EEEvllPKT_S7_PKT0_SA_PS5_SB_,comdat
.Lfunc_end76:
	.size	_ZN2at6native12_GLOBAL__N_135GammaBetaBackwardCUDAKernelTemplateIN3c104HalfEfLj64ELj1ELj8ELb1ELb0ELb0EEEvllPKT_S7_PKT0_SA_PS5_SB_, .Lfunc_end76-_ZN2at6native12_GLOBAL__N_135GammaBetaBackwardCUDAKernelTemplateIN3c104HalfEfLj64ELj1ELj8ELb1ELb0ELb0EEEvllPKT_S7_PKT0_SA_PS5_SB_
                                        ; -- End function
	.set _ZN2at6native12_GLOBAL__N_135GammaBetaBackwardCUDAKernelTemplateIN3c104HalfEfLj64ELj1ELj8ELb1ELb0ELb0EEEvllPKT_S7_PKT0_SA_PS5_SB_.num_vgpr, 101
	.set _ZN2at6native12_GLOBAL__N_135GammaBetaBackwardCUDAKernelTemplateIN3c104HalfEfLj64ELj1ELj8ELb1ELb0ELb0EEEvllPKT_S7_PKT0_SA_PS5_SB_.num_agpr, 0
	.set _ZN2at6native12_GLOBAL__N_135GammaBetaBackwardCUDAKernelTemplateIN3c104HalfEfLj64ELj1ELj8ELb1ELb0ELb0EEEvllPKT_S7_PKT0_SA_PS5_SB_.numbered_sgpr, 36
	.set _ZN2at6native12_GLOBAL__N_135GammaBetaBackwardCUDAKernelTemplateIN3c104HalfEfLj64ELj1ELj8ELb1ELb0ELb0EEEvllPKT_S7_PKT0_SA_PS5_SB_.num_named_barrier, 0
	.set _ZN2at6native12_GLOBAL__N_135GammaBetaBackwardCUDAKernelTemplateIN3c104HalfEfLj64ELj1ELj8ELb1ELb0ELb0EEEvllPKT_S7_PKT0_SA_PS5_SB_.private_seg_size, 0
	.set _ZN2at6native12_GLOBAL__N_135GammaBetaBackwardCUDAKernelTemplateIN3c104HalfEfLj64ELj1ELj8ELb1ELb0ELb0EEEvllPKT_S7_PKT0_SA_PS5_SB_.uses_vcc, 1
	.set _ZN2at6native12_GLOBAL__N_135GammaBetaBackwardCUDAKernelTemplateIN3c104HalfEfLj64ELj1ELj8ELb1ELb0ELb0EEEvllPKT_S7_PKT0_SA_PS5_SB_.uses_flat_scratch, 0
	.set _ZN2at6native12_GLOBAL__N_135GammaBetaBackwardCUDAKernelTemplateIN3c104HalfEfLj64ELj1ELj8ELb1ELb0ELb0EEEvllPKT_S7_PKT0_SA_PS5_SB_.has_dyn_sized_stack, 0
	.set _ZN2at6native12_GLOBAL__N_135GammaBetaBackwardCUDAKernelTemplateIN3c104HalfEfLj64ELj1ELj8ELb1ELb0ELb0EEEvllPKT_S7_PKT0_SA_PS5_SB_.has_recursion, 0
	.set _ZN2at6native12_GLOBAL__N_135GammaBetaBackwardCUDAKernelTemplateIN3c104HalfEfLj64ELj1ELj8ELb1ELb0ELb0EEEvllPKT_S7_PKT0_SA_PS5_SB_.has_indirect_call, 0
	.section	.AMDGPU.csdata,"",@progbits
; Kernel info:
; codeLenInByte = 9984
; TotalNumSgprs: 38
; NumVgprs: 101
; ScratchSize: 0
; MemoryBound: 0
; FloatMode: 240
; IeeeMode: 1
; LDSByteSize: 0 bytes/workgroup (compile time only)
; SGPRBlocks: 0
; VGPRBlocks: 12
; NumSGPRsForWavesPerEU: 38
; NumVGPRsForWavesPerEU: 101
; Occupancy: 12
; WaveLimiterHint : 0
; COMPUTE_PGM_RSRC2:SCRATCH_EN: 0
; COMPUTE_PGM_RSRC2:USER_SGPR: 2
; COMPUTE_PGM_RSRC2:TRAP_HANDLER: 0
; COMPUTE_PGM_RSRC2:TGID_X_EN: 1
; COMPUTE_PGM_RSRC2:TGID_Y_EN: 1
; COMPUTE_PGM_RSRC2:TGID_Z_EN: 0
; COMPUTE_PGM_RSRC2:TIDIG_COMP_CNT: 1
	.section	.text._ZN2at6native12_GLOBAL__N_135GammaBetaBackwardCUDAKernelTemplateIN3c104HalfEfLj64ELj8ELj64ELb0ELb1ELb0EEEvllPKT_S7_PKT0_SA_PS5_SB_,"axG",@progbits,_ZN2at6native12_GLOBAL__N_135GammaBetaBackwardCUDAKernelTemplateIN3c104HalfEfLj64ELj8ELj64ELb0ELb1ELb0EEEvllPKT_S7_PKT0_SA_PS5_SB_,comdat
	.globl	_ZN2at6native12_GLOBAL__N_135GammaBetaBackwardCUDAKernelTemplateIN3c104HalfEfLj64ELj8ELj64ELb0ELb1ELb0EEEvllPKT_S7_PKT0_SA_PS5_SB_ ; -- Begin function _ZN2at6native12_GLOBAL__N_135GammaBetaBackwardCUDAKernelTemplateIN3c104HalfEfLj64ELj8ELj64ELb0ELb1ELb0EEEvllPKT_S7_PKT0_SA_PS5_SB_
	.p2align	8
	.type	_ZN2at6native12_GLOBAL__N_135GammaBetaBackwardCUDAKernelTemplateIN3c104HalfEfLj64ELj8ELj64ELb0ELb1ELb0EEEvllPKT_S7_PKT0_SA_PS5_SB_,@function
_ZN2at6native12_GLOBAL__N_135GammaBetaBackwardCUDAKernelTemplateIN3c104HalfEfLj64ELj8ELj64ELb0ELb1ELb0EEEvllPKT_S7_PKT0_SA_PS5_SB_: ; @_ZN2at6native12_GLOBAL__N_135GammaBetaBackwardCUDAKernelTemplateIN3c104HalfEfLj64ELj8ELj64ELb0ELb1ELb0EEEvllPKT_S7_PKT0_SA_PS5_SB_
; %bb.0:
	s_load_b128 s[16:19], s[0:1], 0x0
	s_lshl_b32 s2, ttmp7, 6
	s_mov_b32 s3, 0
	v_bfe_u32 v7, v0, 10, 10
	s_wait_kmcnt 0x0
	v_cmp_gt_i64_e64 s4, s[16:17], s[2:3]
	s_and_b32 vcc_lo, exec_lo, s4
	s_cbranch_vccnz .LBB77_2
; %bb.1:
	v_bfe_u32 v1, v0, 10, 10
	s_mov_b32 s4, s3
	s_branch .LBB77_3
.LBB77_2:
	s_mov_b32 s4, -1
                                        ; implicit-def: $vgpr1
.LBB77_3:
	s_load_b128 s[12:15], s[0:1], 0x30
	v_dual_mov_b32 v17, 0 :: v_dual_and_b32 v6, 0x3ff, v0
	v_mov_b32_e32 v0, 0
	s_and_not1_b32 vcc_lo, exec_lo, s4
	s_cbranch_vccnz .LBB77_11
; %bb.4:
	s_load_b32 s20, s[0:1], 0x4c
	v_dual_mov_b32 v1, 0 :: v_dual_lshlrev_b32 v0, 3, v7
	s_clause 0x1
	s_load_b32 s22, s[0:1], 0x44
	s_load_b256 s[4:11], s[0:1], 0x10
	s_mov_b32 s21, 0
	v_dual_mov_b32 v8, 8 :: v_dual_mov_b32 v9, 4
	v_add_co_u32 v2, s0, v0, s2
	s_delay_alu instid0(VALU_DEP_1) | instskip(SKIP_1) | instid1(VALU_DEP_3)
	v_add_co_ci_u32_e64 v3, null, 0, 0, s0
	v_lshl_add_u32 v0, ttmp9, 6, v6
	v_mul_lo_u32 v14, s19, v2
	v_mad_co_u64_u32 v[4:5], null, s18, v2, 0
	s_delay_alu instid0(VALU_DEP_4) | instskip(NEXT) | instid1(VALU_DEP_4)
	v_mul_lo_u32 v17, s18, v3
	v_lshlrev_b64_e32 v[15:16], 1, v[0:1]
	v_dual_mov_b32 v10, 12 :: v_dual_mov_b32 v11, 16
	v_mov_b32_e32 v0, 0
	s_wait_kmcnt 0x0
	s_and_b32 s0, s20, 0xffff
	s_wait_alu 0xfffe
	v_mad_u32_u24 v13, v7, s0, v6
	v_mov_b32_e32 v12, 20
	v_add3_u32 v5, v5, v17, v14
	s_lshl_b32 s20, s22, 6
	s_delay_alu instid0(VALU_DEP_3) | instskip(SKIP_1) | instid1(VALU_DEP_3)
	v_dual_mov_b32 v14, 28 :: v_dual_and_b32 v19, 31, v13
	v_mov_b32_e32 v13, 24
	v_lshlrev_b64_e32 v[17:18], 1, v[4:5]
	s_mul_u64 s[24:25], s[18:19], s[20:21]
	s_lshl_b64 s[22:23], s[20:21], 2
	v_add_co_u32 v2, vcc_lo, v2, v19
	s_delay_alu instid0(VALU_DEP_1) | instskip(NEXT) | instid1(VALU_DEP_3)
	v_add_co_ci_u32_e64 v3, null, 0, v3, vcc_lo
	v_add_co_u32 v15, vcc_lo, v17, v15
	v_cmp_gt_u32_e64 s0, 8, v19
	s_delay_alu instid0(VALU_DEP_3)
	v_lshlrev_b64_e32 v[4:5], 2, v[2:3]
	s_wait_alu 0xfffd
	v_add_co_ci_u32_e64 v16, null, v18, v16, vcc_lo
	v_mov_b32_e32 v17, 0
	s_lshl_b64 s[24:25], s[24:25], 1
	s_lshl_b64 s[18:19], s[18:19], 1
	s_branch .LBB77_7
.LBB77_5:                               ;   in Loop: Header=BB77_7 Depth=1
	s_or_b32 exec_lo, exec_lo, s26
.LBB77_6:                               ;   in Loop: Header=BB77_7 Depth=1
	s_wait_alu 0xfffe
	s_or_b32 exec_lo, exec_lo, s1
	v_add_co_u32 v20, vcc_lo, s4, v15
	s_wait_alu 0xfffd
	v_add_co_ci_u32_e64 v21, null, s5, v16, vcc_lo
	v_add_co_u32 v22, vcc_lo, s6, v15
	s_wait_alu 0xfffd
	v_add_co_ci_u32_e64 v23, null, s7, v16, vcc_lo
	;; [unrolled: 3-line block ×5, first 2 shown]
	global_load_u16 v30, v[20:21], off
	global_load_u16 v31, v[22:23], off
	;; [unrolled: 1-line block ×5, first 2 shown]
	v_add_co_u32 v20, vcc_lo, v26, s18
	s_wait_alu 0xfffd
	v_add_co_ci_u32_e64 v21, null, s19, v27, vcc_lo
	v_add_co_u32 v22, vcc_lo, v28, s18
	s_wait_alu 0xfffd
	v_add_co_ci_u32_e64 v23, null, s19, v29, vcc_lo
	;; [unrolled: 3-line block ×5, first 2 shown]
	global_load_u16 v35, v[20:21], off
	global_load_u16 v36, v[22:23], off
	;; [unrolled: 1-line block ×5, first 2 shown]
	v_add_co_u32 v20, vcc_lo, v26, s18
	s_wait_alu 0xfffd
	v_add_co_ci_u32_e64 v21, null, s19, v27, vcc_lo
	v_add_co_u32 v22, vcc_lo, v28, s18
	s_wait_alu 0xfffd
	v_add_co_ci_u32_e64 v23, null, s19, v29, vcc_lo
	;; [unrolled: 3-line block ×4, first 2 shown]
	global_load_u16 v28, v[20:21], off
	global_load_u16 v29, v[22:23], off
	;; [unrolled: 1-line block ×4, first 2 shown]
	v_add_co_u32 v20, vcc_lo, v26, s18
	s_wait_alu 0xfffd
	v_add_co_ci_u32_e64 v21, null, s19, v27, vcc_lo
	v_add_co_u32 v22, vcc_lo, v24, s18
	s_wait_alu 0xfffd
	v_add_co_ci_u32_e64 v23, null, s19, v25, vcc_lo
	global_load_u16 v20, v[20:21], off
	global_load_u16 v21, v[22:23], off
	s_wait_loadcnt 0x11
	ds_bpermute_b32 v22, v1, v18
	ds_bpermute_b32 v25, v9, v18
	s_wait_loadcnt 0x10
	ds_bpermute_b32 v23, v1, v19
	ds_bpermute_b32 v27, v8, v18
	ds_bpermute_b32 v24, v9, v19
	ds_bpermute_b32 v43, v10, v18
	ds_bpermute_b32 v26, v8, v19
	ds_bpermute_b32 v45, v11, v18
	ds_bpermute_b32 v42, v10, v19
	ds_bpermute_b32 v47, v12, v18
	ds_bpermute_b32 v44, v11, v19
	ds_bpermute_b32 v49, v13, v18
	ds_bpermute_b32 v46, v12, v19
	ds_bpermute_b32 v18, v14, v18
	ds_bpermute_b32 v48, v13, v19
	ds_bpermute_b32 v19, v14, v19
	v_add_co_u32 v4, vcc_lo, v4, s22
	s_add_nc_u64 s[2:3], s[2:3], s[20:21]
	s_wait_alu 0xfffd
	v_add_co_ci_u32_e64 v5, null, s23, v5, vcc_lo
	v_add_co_u32 v2, vcc_lo, v2, s20
	s_wait_alu 0xfffe
	v_cmp_lt_i64_e64 s1, s[2:3], s[16:17]
	s_wait_alu 0xfffd
	v_add_co_ci_u32_e64 v3, null, 0, v3, vcc_lo
	v_add_co_u32 v15, vcc_lo, v15, s24
	s_wait_alu 0xfffd
	v_add_co_ci_u32_e64 v16, null, s25, v16, vcc_lo
	s_and_b32 vcc_lo, exec_lo, s1
	s_wait_loadcnt 0xf
	v_cvt_f32_f16_e32 v30, v30
	s_wait_loadcnt 0xe
	v_cvt_f32_f16_e32 v31, v31
	;; [unrolled: 2-line block ×3, first 2 shown]
	s_wait_dscnt 0xf
	s_delay_alu instid0(VALU_DEP_2)
	v_sub_f32_e32 v22, v31, v22
	v_cvt_f32_f16_e32 v31, v32
	s_wait_dscnt 0xe
	v_sub_f32_e32 v25, v33, v25
	s_wait_loadcnt 0xa
	v_cvt_f32_f16_e32 v32, v35
	v_mul_f32_e32 v22, v22, v30
	v_add_f32_e32 v17, v17, v30
	v_cvt_f32_f16_e32 v30, v34
	s_wait_dscnt 0xd
	s_delay_alu instid0(VALU_DEP_3)
	v_fmac_f32_e32 v0, v22, v23
	v_mul_f32_e32 v22, v25, v31
	s_wait_dscnt 0xc
	v_sub_f32_e32 v23, v32, v27
	s_wait_loadcnt 0x8
	v_cvt_f32_f16_e32 v25, v37
	v_add_f32_e32 v17, v17, v31
	v_cvt_f32_f16_e32 v27, v36
	s_wait_dscnt 0xb
	v_fmac_f32_e32 v0, v22, v24
	s_wait_dscnt 0xa
	v_dual_mul_f32 v22, v23, v30 :: v_dual_sub_f32 v23, v25, v43
	s_wait_loadcnt 0x6
	v_cvt_f32_f16_e32 v24, v39
	v_add_f32_e32 v17, v17, v30
	v_cvt_f32_f16_e32 v25, v38
	s_wait_dscnt 0x9
	v_fmac_f32_e32 v0, v22, v26
	s_wait_dscnt 0x8
	v_dual_mul_f32 v22, v23, v27 :: v_dual_sub_f32 v23, v24, v45
	s_wait_loadcnt 0x4
	v_cvt_f32_f16_e32 v24, v29
	v_add_f32_e32 v17, v17, v27
	v_cvt_f32_f16_e32 v26, v28
	s_wait_dscnt 0x7
	s_delay_alu instid0(VALU_DEP_2)
	v_dual_fmac_f32 v0, v22, v42 :: v_dual_add_f32 v17, v17, v25
	s_wait_dscnt 0x6
	v_dual_mul_f32 v22, v23, v25 :: v_dual_sub_f32 v23, v24, v47
	s_wait_loadcnt 0x2
	v_cvt_f32_f16_e32 v24, v41
	v_cvt_f32_f16_e32 v25, v40
	s_wait_loadcnt 0x1
	v_cvt_f32_f16_e32 v20, v20
	s_wait_dscnt 0x5
	v_dual_add_f32 v17, v17, v26 :: v_dual_fmac_f32 v0, v22, v44
	s_wait_dscnt 0x4
	v_dual_mul_f32 v22, v23, v26 :: v_dual_sub_f32 v23, v24, v49
	s_wait_loadcnt 0x0
	v_cvt_f32_f16_e32 v21, v21
	s_wait_dscnt 0x2
	v_dual_add_f32 v17, v17, v25 :: v_dual_sub_f32 v18, v20, v18
	v_fmac_f32_e32 v0, v22, v46
	v_mul_f32_e32 v22, v23, v25
	s_delay_alu instid0(VALU_DEP_3) | instskip(NEXT) | instid1(VALU_DEP_4)
	v_add_f32_e32 v17, v17, v21
	v_mul_f32_e32 v18, v18, v21
	s_wait_dscnt 0x1
	s_delay_alu instid0(VALU_DEP_3) | instskip(SKIP_1) | instid1(VALU_DEP_1)
	v_fmac_f32_e32 v0, v22, v48
	s_wait_dscnt 0x0
	v_fmac_f32_e32 v0, v18, v19
	s_wait_alu 0xfffe
	s_cbranch_vccz .LBB77_10
.LBB77_7:                               ; =>This Inner Loop Header: Depth=1
	v_dual_mov_b32 v19, 0 :: v_dual_mov_b32 v18, 0
	s_and_saveexec_b32 s1, s0
	s_cbranch_execz .LBB77_6
; %bb.8:                                ;   in Loop: Header=BB77_7 Depth=1
	v_dual_mov_b32 v18, 0 :: v_dual_mov_b32 v19, 0
	s_mov_b32 s26, exec_lo
	v_cmpx_gt_i64_e64 s[16:17], v[2:3]
	s_cbranch_execz .LBB77_5
; %bb.9:                                ;   in Loop: Header=BB77_7 Depth=1
	v_add_co_u32 v18, vcc_lo, s8, v4
	s_wait_alu 0xfffd
	v_add_co_ci_u32_e64 v19, null, s9, v5, vcc_lo
	v_add_co_u32 v20, vcc_lo, s10, v4
	s_wait_alu 0xfffd
	v_add_co_ci_u32_e64 v21, null, s11, v5, vcc_lo
	global_load_b32 v18, v[18:19], off
	global_load_b32 v19, v[20:21], off
	s_branch .LBB77_5
.LBB77_10:
	v_mov_b32_e32 v1, v7
.LBB77_11:
	s_delay_alu instid0(VALU_DEP_1) | instskip(SKIP_1) | instid1(VALU_DEP_1)
	v_mad_u32_u24 v2, 0x41, v1, v6
	s_mov_b32 s0, exec_lo
	v_lshl_add_u32 v4, v2, 2, 0
	v_sub_nc_u32_e32 v3, v2, v1
	ds_store_b32 v4, v0
	ds_store_b32 v4, v17 offset:2080
	s_wait_dscnt 0x0
	s_barrier_signal -1
	s_barrier_wait -1
	global_inv scope:SCOPE_SE
	v_cmpx_gt_u32_e32 0x800, v3
	s_cbranch_execz .LBB77_43
; %bb.12:
	v_and_b32_e32 v0, 31, v6
	v_lshrrev_b32_e32 v2, 5, v3
                                        ; implicit-def: $vgpr1
	s_delay_alu instid0(VALU_DEP_2)
	v_cmp_gt_u32_e64 s0, 8, v0
	v_mul_u32_u24_e32 v4, 0x41, v0
                                        ; implicit-def: $vgpr0
	s_wait_alu 0xfffe
	s_and_saveexec_b32 s1, s0
	s_cbranch_execz .LBB77_14
; %bb.13:
	s_delay_alu instid0(VALU_DEP_1) | instskip(NEXT) | instid1(VALU_DEP_1)
	v_add_nc_u32_e32 v0, v2, v4
	v_lshl_add_u32 v0, v0, 2, 0
	ds_load_b32 v1, v0
	ds_load_b32 v0, v0 offset:2080
.LBB77_14:
	s_wait_alu 0xfffe
	s_or_b32 exec_lo, exec_lo, s1
	v_mbcnt_lo_u32_b32 v8, -1, 0
	s_mov_b32 s2, ttmp9
	s_mov_b32 s3, 0
	v_cmp_eq_u32_e64 s1, 0, v6
	s_wait_alu 0xfffe
	s_lshl_b64 s[2:3], s[2:3], 6
	v_xor_b32_e32 v5, 4, v8
	v_xor_b32_e32 v7, 2, v8
	;; [unrolled: 1-line block ×3, first 2 shown]
	s_wait_kmcnt 0x0
	s_cmp_lg_u64 s[12:13], 0
	s_cselect_b32 s5, -1, 0
	v_cmp_gt_i32_e32 vcc_lo, 32, v5
	s_cmp_lg_u64 s[14:15], 0
	s_cselect_b32 s4, -1, 0
	s_wait_alu 0xfffd
	v_cndmask_b32_e32 v5, v8, v5, vcc_lo
	v_cmp_gt_i32_e32 vcc_lo, 32, v7
	s_wait_alu 0xfffd
	v_cndmask_b32_e32 v7, v8, v7, vcc_lo
	v_cmp_gt_i32_e32 vcc_lo, 32, v11
	s_wait_alu 0xfffd
	v_cndmask_b32_e32 v8, v8, v11, vcc_lo
	s_delay_alu instid0(VALU_DEP_1)
	v_lshlrev_b32_e32 v8, 2, v8
	v_lshlrev_b32_e32 v5, 2, v5
	s_wait_dscnt 0x0
	ds_bpermute_b32 v10, v5, v0
	s_wait_dscnt 0x0
	v_add_f32_e32 v0, v0, v10
	ds_bpermute_b32 v9, v5, v1
	v_lshlrev_b32_e32 v7, 2, v7
	ds_bpermute_b32 v10, v7, v0
	s_wait_dscnt 0x0
	v_dual_add_f32 v1, v1, v9 :: v_dual_add_f32 v0, v0, v10
	ds_bpermute_b32 v9, v7, v1
	ds_bpermute_b32 v10, v8, v0
	s_wait_dscnt 0x1
	v_add_f32_e32 v1, v1, v9
	ds_bpermute_b32 v9, v8, v1
	s_wait_dscnt 0x0
	v_dual_add_f32 v6, v1, v9 :: v_dual_add_f32 v9, v0, v10
	s_and_saveexec_b32 s6, s1
	s_cbranch_execz .LBB77_19
; %bb.15:
	s_wait_alu 0xfffe
	v_mov_b32_e32 v1, s3
	v_or_b32_e32 v0, s2, v2
	s_and_not1_b32 vcc_lo, exec_lo, s5
	s_delay_alu instid0(VALU_DEP_1)
	v_lshlrev_b64_e32 v[0:1], 1, v[0:1]
	s_wait_alu 0xfffe
	s_cbranch_vccnz .LBB77_17
; %bb.16:
	s_delay_alu instid0(VALU_DEP_1) | instskip(SKIP_1) | instid1(VALU_DEP_2)
	v_add_co_u32 v10, vcc_lo, s12, v0
	s_wait_alu 0xfffd
	v_add_co_ci_u32_e64 v11, null, s13, v1, vcc_lo
	v_cvt_f16_f32_e32 v12, v6
	global_store_b16 v[10:11], v12, off
.LBB77_17:
	s_and_not1_b32 vcc_lo, exec_lo, s4
	s_wait_alu 0xfffe
	s_cbranch_vccnz .LBB77_19
; %bb.18:
	v_add_co_u32 v0, vcc_lo, s14, v0
	s_wait_alu 0xfffd
	v_add_co_ci_u32_e64 v1, null, s15, v1, vcc_lo
	v_cvt_f16_f32_e32 v10, v9
	global_store_b16 v[0:1], v10, off
.LBB77_19:
	s_wait_alu 0xfffe
	s_or_b32 exec_lo, exec_lo, s6
	v_cmp_gt_u32_e32 vcc_lo, 0x600, v3
	s_and_b32 exec_lo, exec_lo, vcc_lo
	s_cbranch_execz .LBB77_43
; %bb.20:
	s_and_saveexec_b32 s6, s0
	s_cbranch_execz .LBB77_22
; %bb.21:
	v_add_nc_u32_e32 v0, v2, v4
	s_delay_alu instid0(VALU_DEP_1)
	v_lshl_add_u32 v0, v0, 2, 0
	ds_load_b32 v6, v0 offset:64
	ds_load_b32 v9, v0 offset:2144
.LBB77_22:
	s_wait_alu 0xfffe
	s_or_b32 exec_lo, exec_lo, s6
	s_wait_dscnt 0x1
	ds_bpermute_b32 v0, v5, v6
	s_wait_dscnt 0x1
	ds_bpermute_b32 v1, v5, v9
	s_wait_dscnt 0x0
	v_dual_add_f32 v0, v6, v0 :: v_dual_add_f32 v1, v9, v1
	ds_bpermute_b32 v6, v7, v0
	ds_bpermute_b32 v9, v7, v1
	s_wait_dscnt 0x0
	v_dual_add_f32 v0, v0, v6 :: v_dual_add_f32 v1, v1, v9
	ds_bpermute_b32 v6, v8, v0
	ds_bpermute_b32 v9, v8, v1
	s_wait_dscnt 0x0
	v_dual_add_f32 v0, v0, v6 :: v_dual_add_f32 v1, v1, v9
	s_and_saveexec_b32 s6, s1
	s_cbranch_execz .LBB77_27
; %bb.23:
	s_and_not1_b32 vcc_lo, exec_lo, s5
	s_wait_alu 0xfffe
	s_cbranch_vccnz .LBB77_25
; %bb.24:
	v_add_co_u32 v9, s7, s2, v2
	s_wait_alu 0xf1ff
	v_add_co_ci_u32_e64 v10, null, s3, 0, s7
	v_cvt_f16_f32_e32 v6, v0
	s_delay_alu instid0(VALU_DEP_2) | instskip(NEXT) | instid1(VALU_DEP_1)
	v_lshlrev_b64_e32 v[9:10], 1, v[9:10]
	v_add_co_u32 v9, vcc_lo, s12, v9
	s_wait_alu 0xfffd
	s_delay_alu instid0(VALU_DEP_2)
	v_add_co_ci_u32_e64 v10, null, s13, v10, vcc_lo
	global_store_b16 v[9:10], v6, off offset:32
.LBB77_25:
	s_and_not1_b32 vcc_lo, exec_lo, s4
	s_wait_alu 0xfffe
	s_cbranch_vccnz .LBB77_27
; %bb.26:
	v_add_co_u32 v9, s7, s2, v2
	s_wait_alu 0xf1ff
	v_add_co_ci_u32_e64 v10, null, s3, 0, s7
	v_cvt_f16_f32_e32 v6, v1
	s_delay_alu instid0(VALU_DEP_2) | instskip(NEXT) | instid1(VALU_DEP_1)
	v_lshlrev_b64_e32 v[9:10], 1, v[9:10]
	v_add_co_u32 v9, vcc_lo, s14, v9
	s_wait_alu 0xfffd
	s_delay_alu instid0(VALU_DEP_2)
	v_add_co_ci_u32_e64 v10, null, s15, v10, vcc_lo
	global_store_b16 v[9:10], v6, off offset:32
.LBB77_27:
	s_wait_alu 0xfffe
	s_or_b32 exec_lo, exec_lo, s6
	v_cmp_gt_u32_e32 vcc_lo, 0x400, v3
	s_and_b32 exec_lo, exec_lo, vcc_lo
	s_cbranch_execz .LBB77_43
; %bb.28:
	s_and_saveexec_b32 s6, s0
	s_cbranch_execz .LBB77_30
; %bb.29:
	v_add_nc_u32_e32 v0, v2, v4
	s_delay_alu instid0(VALU_DEP_1)
	v_lshl_add_u32 v1, v0, 2, 0
	ds_load_b32 v0, v1 offset:128
	ds_load_b32 v1, v1 offset:2208
.LBB77_30:
	s_wait_alu 0xfffe
	s_or_b32 exec_lo, exec_lo, s6
	s_wait_dscnt 0x1
	ds_bpermute_b32 v6, v5, v0
	s_wait_dscnt 0x1
	ds_bpermute_b32 v9, v5, v1
	s_wait_dscnt 0x0
	v_dual_add_f32 v0, v0, v6 :: v_dual_add_f32 v1, v1, v9
	ds_bpermute_b32 v6, v7, v0
	ds_bpermute_b32 v9, v7, v1
	s_wait_dscnt 0x0
	v_dual_add_f32 v0, v0, v6 :: v_dual_add_f32 v1, v1, v9
	ds_bpermute_b32 v6, v8, v0
	ds_bpermute_b32 v9, v8, v1
	s_wait_dscnt 0x0
	v_dual_add_f32 v0, v0, v6 :: v_dual_add_f32 v1, v1, v9
	s_and_saveexec_b32 s6, s1
	s_cbranch_execz .LBB77_35
; %bb.31:
	s_and_not1_b32 vcc_lo, exec_lo, s5
	s_wait_alu 0xfffe
	s_cbranch_vccnz .LBB77_33
; %bb.32:
	v_add_co_u32 v9, s7, s2, v2
	s_wait_alu 0xf1ff
	v_add_co_ci_u32_e64 v10, null, s3, 0, s7
	v_cvt_f16_f32_e32 v6, v0
	s_delay_alu instid0(VALU_DEP_2) | instskip(NEXT) | instid1(VALU_DEP_1)
	v_lshlrev_b64_e32 v[9:10], 1, v[9:10]
	v_add_co_u32 v9, vcc_lo, s12, v9
	s_wait_alu 0xfffd
	s_delay_alu instid0(VALU_DEP_2)
	v_add_co_ci_u32_e64 v10, null, s13, v10, vcc_lo
	global_store_b16 v[9:10], v6, off offset:64
.LBB77_33:
	s_and_not1_b32 vcc_lo, exec_lo, s4
	s_wait_alu 0xfffe
	s_cbranch_vccnz .LBB77_35
; %bb.34:
	v_add_co_u32 v9, s7, s2, v2
	s_wait_alu 0xf1ff
	v_add_co_ci_u32_e64 v10, null, s3, 0, s7
	v_cvt_f16_f32_e32 v6, v1
	s_delay_alu instid0(VALU_DEP_2) | instskip(NEXT) | instid1(VALU_DEP_1)
	v_lshlrev_b64_e32 v[9:10], 1, v[9:10]
	v_add_co_u32 v9, vcc_lo, s14, v9
	s_wait_alu 0xfffd
	s_delay_alu instid0(VALU_DEP_2)
	v_add_co_ci_u32_e64 v10, null, s15, v10, vcc_lo
	global_store_b16 v[9:10], v6, off offset:64
.LBB77_35:
	s_wait_alu 0xfffe
	s_or_b32 exec_lo, exec_lo, s6
	v_cmp_gt_u32_e32 vcc_lo, 0x200, v3
	s_and_b32 exec_lo, exec_lo, vcc_lo
	s_cbranch_execz .LBB77_43
; %bb.36:
	s_and_saveexec_b32 s6, s0
	s_cbranch_execz .LBB77_38
; %bb.37:
	v_add_nc_u32_e32 v0, v2, v4
	s_delay_alu instid0(VALU_DEP_1)
	v_lshl_add_u32 v1, v0, 2, 0
	ds_load_b32 v0, v1 offset:192
	ds_load_b32 v1, v1 offset:2272
.LBB77_38:
	s_wait_alu 0xfffe
	s_or_b32 exec_lo, exec_lo, s6
	s_wait_dscnt 0x1
	ds_bpermute_b32 v3, v5, v0
	s_wait_dscnt 0x1
	ds_bpermute_b32 v4, v5, v1
	s_wait_dscnt 0x0
	v_dual_add_f32 v0, v0, v3 :: v_dual_add_f32 v1, v1, v4
	ds_bpermute_b32 v3, v7, v0
	ds_bpermute_b32 v4, v7, v1
	s_wait_dscnt 0x0
	v_dual_add_f32 v3, v0, v3 :: v_dual_add_f32 v0, v1, v4
	ds_bpermute_b32 v4, v8, v3
	ds_bpermute_b32 v1, v8, v0
	s_and_b32 exec_lo, exec_lo, s1
	s_cbranch_execz .LBB77_43
; %bb.39:
	s_and_not1_b32 vcc_lo, exec_lo, s5
	s_wait_alu 0xfffe
	s_cbranch_vccnz .LBB77_41
; %bb.40:
	v_add_co_u32 v5, s0, s2, v2
	s_wait_alu 0xf1ff
	v_add_co_ci_u32_e64 v6, null, s3, 0, s0
	s_wait_dscnt 0x1
	v_add_f32_e32 v7, v3, v4
	s_delay_alu instid0(VALU_DEP_2) | instskip(NEXT) | instid1(VALU_DEP_1)
	v_lshlrev_b64_e32 v[5:6], 1, v[5:6]
	v_add_co_u32 v3, vcc_lo, s12, v5
	s_wait_alu 0xfffd
	s_delay_alu instid0(VALU_DEP_2)
	v_add_co_ci_u32_e64 v4, null, s13, v6, vcc_lo
	v_cvt_f16_f32_e32 v5, v7
	global_store_b16 v[3:4], v5, off offset:96
.LBB77_41:
	s_and_not1_b32 vcc_lo, exec_lo, s4
	s_wait_alu 0xfffe
	s_cbranch_vccnz .LBB77_43
; %bb.42:
	v_add_co_u32 v2, s0, s2, v2
	s_wait_alu 0xf1ff
	v_add_co_ci_u32_e64 v3, null, s3, 0, s0
	s_wait_dscnt 0x0
	v_add_f32_e32 v4, v0, v1
	s_delay_alu instid0(VALU_DEP_2) | instskip(NEXT) | instid1(VALU_DEP_1)
	v_lshlrev_b64_e32 v[2:3], 1, v[2:3]
	v_add_co_u32 v0, vcc_lo, s14, v2
	s_wait_alu 0xfffd
	s_delay_alu instid0(VALU_DEP_2)
	v_add_co_ci_u32_e64 v1, null, s15, v3, vcc_lo
	v_cvt_f16_f32_e32 v2, v4
	global_store_b16 v[0:1], v2, off offset:96
.LBB77_43:
	s_endpgm
	.section	.rodata,"a",@progbits
	.p2align	6, 0x0
	.amdhsa_kernel _ZN2at6native12_GLOBAL__N_135GammaBetaBackwardCUDAKernelTemplateIN3c104HalfEfLj64ELj8ELj64ELb0ELb1ELb0EEEvllPKT_S7_PKT0_SA_PS5_SB_
		.amdhsa_group_segment_fixed_size 0
		.amdhsa_private_segment_fixed_size 0
		.amdhsa_kernarg_size 320
		.amdhsa_user_sgpr_count 2
		.amdhsa_user_sgpr_dispatch_ptr 0
		.amdhsa_user_sgpr_queue_ptr 0
		.amdhsa_user_sgpr_kernarg_segment_ptr 1
		.amdhsa_user_sgpr_dispatch_id 0
		.amdhsa_user_sgpr_private_segment_size 0
		.amdhsa_wavefront_size32 1
		.amdhsa_uses_dynamic_stack 0
		.amdhsa_enable_private_segment 0
		.amdhsa_system_sgpr_workgroup_id_x 1
		.amdhsa_system_sgpr_workgroup_id_y 1
		.amdhsa_system_sgpr_workgroup_id_z 0
		.amdhsa_system_sgpr_workgroup_info 0
		.amdhsa_system_vgpr_workitem_id 1
		.amdhsa_next_free_vgpr 50
		.amdhsa_next_free_sgpr 27
		.amdhsa_reserve_vcc 1
		.amdhsa_float_round_mode_32 0
		.amdhsa_float_round_mode_16_64 0
		.amdhsa_float_denorm_mode_32 3
		.amdhsa_float_denorm_mode_16_64 3
		.amdhsa_fp16_overflow 0
		.amdhsa_workgroup_processor_mode 1
		.amdhsa_memory_ordered 1
		.amdhsa_forward_progress 1
		.amdhsa_inst_pref_size 24
		.amdhsa_round_robin_scheduling 0
		.amdhsa_exception_fp_ieee_invalid_op 0
		.amdhsa_exception_fp_denorm_src 0
		.amdhsa_exception_fp_ieee_div_zero 0
		.amdhsa_exception_fp_ieee_overflow 0
		.amdhsa_exception_fp_ieee_underflow 0
		.amdhsa_exception_fp_ieee_inexact 0
		.amdhsa_exception_int_div_zero 0
	.end_amdhsa_kernel
	.section	.text._ZN2at6native12_GLOBAL__N_135GammaBetaBackwardCUDAKernelTemplateIN3c104HalfEfLj64ELj8ELj64ELb0ELb1ELb0EEEvllPKT_S7_PKT0_SA_PS5_SB_,"axG",@progbits,_ZN2at6native12_GLOBAL__N_135GammaBetaBackwardCUDAKernelTemplateIN3c104HalfEfLj64ELj8ELj64ELb0ELb1ELb0EEEvllPKT_S7_PKT0_SA_PS5_SB_,comdat
.Lfunc_end77:
	.size	_ZN2at6native12_GLOBAL__N_135GammaBetaBackwardCUDAKernelTemplateIN3c104HalfEfLj64ELj8ELj64ELb0ELb1ELb0EEEvllPKT_S7_PKT0_SA_PS5_SB_, .Lfunc_end77-_ZN2at6native12_GLOBAL__N_135GammaBetaBackwardCUDAKernelTemplateIN3c104HalfEfLj64ELj8ELj64ELb0ELb1ELb0EEEvllPKT_S7_PKT0_SA_PS5_SB_
                                        ; -- End function
	.set _ZN2at6native12_GLOBAL__N_135GammaBetaBackwardCUDAKernelTemplateIN3c104HalfEfLj64ELj8ELj64ELb0ELb1ELb0EEEvllPKT_S7_PKT0_SA_PS5_SB_.num_vgpr, 50
	.set _ZN2at6native12_GLOBAL__N_135GammaBetaBackwardCUDAKernelTemplateIN3c104HalfEfLj64ELj8ELj64ELb0ELb1ELb0EEEvllPKT_S7_PKT0_SA_PS5_SB_.num_agpr, 0
	.set _ZN2at6native12_GLOBAL__N_135GammaBetaBackwardCUDAKernelTemplateIN3c104HalfEfLj64ELj8ELj64ELb0ELb1ELb0EEEvllPKT_S7_PKT0_SA_PS5_SB_.numbered_sgpr, 27
	.set _ZN2at6native12_GLOBAL__N_135GammaBetaBackwardCUDAKernelTemplateIN3c104HalfEfLj64ELj8ELj64ELb0ELb1ELb0EEEvllPKT_S7_PKT0_SA_PS5_SB_.num_named_barrier, 0
	.set _ZN2at6native12_GLOBAL__N_135GammaBetaBackwardCUDAKernelTemplateIN3c104HalfEfLj64ELj8ELj64ELb0ELb1ELb0EEEvllPKT_S7_PKT0_SA_PS5_SB_.private_seg_size, 0
	.set _ZN2at6native12_GLOBAL__N_135GammaBetaBackwardCUDAKernelTemplateIN3c104HalfEfLj64ELj8ELj64ELb0ELb1ELb0EEEvllPKT_S7_PKT0_SA_PS5_SB_.uses_vcc, 1
	.set _ZN2at6native12_GLOBAL__N_135GammaBetaBackwardCUDAKernelTemplateIN3c104HalfEfLj64ELj8ELj64ELb0ELb1ELb0EEEvllPKT_S7_PKT0_SA_PS5_SB_.uses_flat_scratch, 0
	.set _ZN2at6native12_GLOBAL__N_135GammaBetaBackwardCUDAKernelTemplateIN3c104HalfEfLj64ELj8ELj64ELb0ELb1ELb0EEEvllPKT_S7_PKT0_SA_PS5_SB_.has_dyn_sized_stack, 0
	.set _ZN2at6native12_GLOBAL__N_135GammaBetaBackwardCUDAKernelTemplateIN3c104HalfEfLj64ELj8ELj64ELb0ELb1ELb0EEEvllPKT_S7_PKT0_SA_PS5_SB_.has_recursion, 0
	.set _ZN2at6native12_GLOBAL__N_135GammaBetaBackwardCUDAKernelTemplateIN3c104HalfEfLj64ELj8ELj64ELb0ELb1ELb0EEEvllPKT_S7_PKT0_SA_PS5_SB_.has_indirect_call, 0
	.section	.AMDGPU.csdata,"",@progbits
; Kernel info:
; codeLenInByte = 3032
; TotalNumSgprs: 29
; NumVgprs: 50
; ScratchSize: 0
; MemoryBound: 0
; FloatMode: 240
; IeeeMode: 1
; LDSByteSize: 0 bytes/workgroup (compile time only)
; SGPRBlocks: 0
; VGPRBlocks: 6
; NumSGPRsForWavesPerEU: 29
; NumVGPRsForWavesPerEU: 50
; Occupancy: 16
; WaveLimiterHint : 0
; COMPUTE_PGM_RSRC2:SCRATCH_EN: 0
; COMPUTE_PGM_RSRC2:USER_SGPR: 2
; COMPUTE_PGM_RSRC2:TRAP_HANDLER: 0
; COMPUTE_PGM_RSRC2:TGID_X_EN: 1
; COMPUTE_PGM_RSRC2:TGID_Y_EN: 1
; COMPUTE_PGM_RSRC2:TGID_Z_EN: 0
; COMPUTE_PGM_RSRC2:TIDIG_COMP_CNT: 1
	.section	.text._ZN2at6native12_GLOBAL__N_135GammaBetaBackwardCUDAKernelTemplateIN3c104HalfEfLj64ELj8ELj64ELb0ELb0ELb0EEEvllPKT_S7_PKT0_SA_PS5_SB_,"axG",@progbits,_ZN2at6native12_GLOBAL__N_135GammaBetaBackwardCUDAKernelTemplateIN3c104HalfEfLj64ELj8ELj64ELb0ELb0ELb0EEEvllPKT_S7_PKT0_SA_PS5_SB_,comdat
	.globl	_ZN2at6native12_GLOBAL__N_135GammaBetaBackwardCUDAKernelTemplateIN3c104HalfEfLj64ELj8ELj64ELb0ELb0ELb0EEEvllPKT_S7_PKT0_SA_PS5_SB_ ; -- Begin function _ZN2at6native12_GLOBAL__N_135GammaBetaBackwardCUDAKernelTemplateIN3c104HalfEfLj64ELj8ELj64ELb0ELb0ELb0EEEvllPKT_S7_PKT0_SA_PS5_SB_
	.p2align	8
	.type	_ZN2at6native12_GLOBAL__N_135GammaBetaBackwardCUDAKernelTemplateIN3c104HalfEfLj64ELj8ELj64ELb0ELb0ELb0EEEvllPKT_S7_PKT0_SA_PS5_SB_,@function
_ZN2at6native12_GLOBAL__N_135GammaBetaBackwardCUDAKernelTemplateIN3c104HalfEfLj64ELj8ELj64ELb0ELb0ELb0EEEvllPKT_S7_PKT0_SA_PS5_SB_: ; @_ZN2at6native12_GLOBAL__N_135GammaBetaBackwardCUDAKernelTemplateIN3c104HalfEfLj64ELj8ELj64ELb0ELb0ELb0EEEvllPKT_S7_PKT0_SA_PS5_SB_
; %bb.0:
	s_clause 0x1
	s_load_b256 s[4:11], s[0:1], 0x0
	s_load_b128 s[12:15], s[0:1], 0x20
	s_lshl_b32 s30, ttmp9, 6
	s_mov_b32 s17, 0
	s_or_b32 s16, s30, 63
	s_wait_kmcnt 0x0
	v_cmp_le_i64_e64 s2, s[6:7], s[16:17]
	s_lshl_b32 s16, ttmp7, 6
	s_wait_alu 0xfffe
	v_cmp_gt_i64_e64 s31, s[4:5], s[16:17]
	s_and_b32 vcc_lo, exec_lo, s2
	v_cndmask_b32_e64 v1, 0, 1, s31
	s_delay_alu instid0(VALU_DEP_1)
	v_cmp_ne_u32_e64 s2, 1, v1
	s_cbranch_vccz .LBB78_49
; %bb.1:
	v_dual_mov_b32 v10, 0 :: v_dual_mov_b32 v55, 0
	s_and_b32 vcc_lo, exec_lo, s2
	s_cbranch_vccnz .LBB78_50
; %bb.2:
	v_bfe_u32 v20, v0, 10, 10
	v_dual_mov_b32 v1, 0 :: v_dual_and_b32 v22, 0x3ff, v0
	s_load_b32 s3, s[0:1], 0x44
	s_mov_b32 s19, 0
	s_delay_alu instid0(VALU_DEP_2) | instskip(NEXT) | instid1(VALU_DEP_2)
	v_dual_mov_b32 v56, 0 :: v_dual_lshlrev_b32 v21, 3, v20
	v_dual_mov_b32 v3, v1 :: v_dual_add_nc_u32 v2, s30, v22
	s_mov_b32 s23, s19
	s_delay_alu instid0(VALU_DEP_2) | instskip(NEXT) | instid1(VALU_DEP_1)
	v_add_co_u32 v10, s2, v21, s16
	v_add_co_ci_u32_e64 v11, null, 0, 0, s2
	s_delay_alu instid0(VALU_DEP_3) | instskip(NEXT) | instid1(VALU_DEP_3)
	v_cmp_gt_i64_e64 s2, s[6:7], v[2:3]
	v_mul_lo_u32 v6, s7, v10
	v_mad_co_u64_u32 v[4:5], null, s6, v10, 0
	s_delay_alu instid0(VALU_DEP_4) | instskip(SKIP_1) | instid1(VALU_DEP_1)
	v_mul_lo_u32 v7, s6, v11
	v_add_co_u32 v8, vcc_lo, v10, 7
	v_add_co_ci_u32_e64 v9, null, 0, v11, vcc_lo
	v_lshlrev_b64_e32 v[18:19], 1, v[2:3]
	s_delay_alu instid0(VALU_DEP_3)
	v_mul_lo_u32 v12, s7, v8
	s_wait_kmcnt 0x0
	s_lshl_b32 s22, s3, 6
	v_add3_u32 v5, v5, v7, v6
	v_mad_co_u64_u32 v[6:7], null, s6, v8, 0
	v_add_co_u32 v8, vcc_lo, v10, 6
	v_mul_lo_u32 v13, s6, v9
	s_wait_alu 0xfffd
	v_add_co_ci_u32_e64 v9, null, 0, v11, vcc_lo
	v_lshlrev_b64_e32 v[2:3], 1, v[4:5]
	v_mul_lo_u32 v14, s7, v8
	v_mov_b32_e32 v55, 0
	s_delay_alu instid0(VALU_DEP_4)
	v_mul_lo_u32 v15, s6, v9
	v_mad_co_u64_u32 v[8:9], null, s6, v8, 0
	v_add_co_u32 v23, vcc_lo, s8, v2
	s_wait_alu 0xfffd
	v_add_co_ci_u32_e64 v24, null, s9, v3, vcc_lo
	v_add_co_u32 v25, vcc_lo, s10, v2
	v_add3_u32 v7, v7, v13, v12
	s_wait_alu 0xfffd
	v_add_co_ci_u32_e64 v26, null, s11, v3, vcc_lo
	v_add_co_u32 v12, vcc_lo, v10, 5
	v_add3_u32 v9, v9, v15, v14
	s_wait_alu 0xfffd
	v_add_co_ci_u32_e64 v13, null, 0, v11, vcc_lo
	v_lshlrev_b64_e32 v[2:3], 1, v[6:7]
	v_mul_lo_u32 v14, s7, v12
	v_lshlrev_b64_e32 v[6:7], 1, v[8:9]
	s_delay_alu instid0(VALU_DEP_4)
	v_mul_lo_u32 v13, s6, v13
	v_mad_co_u64_u32 v[8:9], null, s6, v12, 0
	v_add_co_u32 v27, vcc_lo, s8, v2
	s_wait_alu 0xfffd
	v_add_co_ci_u32_e64 v28, null, s9, v3, vcc_lo
	v_add_co_u32 v29, vcc_lo, s10, v2
	s_wait_alu 0xfffd
	v_add_co_ci_u32_e64 v30, null, s11, v3, vcc_lo
	v_add_co_u32 v31, vcc_lo, s8, v6
	v_add3_u32 v9, v9, v13, v14
	s_wait_alu 0xfffd
	v_add_co_ci_u32_e64 v32, null, s9, v7, vcc_lo
	v_add_co_u32 v12, vcc_lo, v10, 4
	v_add_co_u32 v33, s3, s10, v6
	s_wait_alu 0xfffd
	v_add_co_ci_u32_e64 v6, null, 0, v11, vcc_lo
	v_lshlrev_b64_e32 v[2:3], 1, v[8:9]
	v_add_co_u32 v8, vcc_lo, v10, 3
	s_wait_alu 0xfffd
	v_add_co_ci_u32_e64 v9, null, 0, v11, vcc_lo
	s_wait_alu 0xf1ff
	v_add_co_ci_u32_e64 v34, null, s11, v7, s3
	v_mul_lo_u32 v13, s7, v12
	v_mul_lo_u32 v14, s6, v6
	v_mad_co_u64_u32 v[6:7], null, s6, v12, 0
	v_mul_lo_u32 v12, s7, v8
	v_mul_lo_u32 v15, s6, v9
	v_mad_co_u64_u32 v[8:9], null, s6, v8, 0
	v_add_co_u32 v35, vcc_lo, s8, v2
	s_wait_alu 0xfffd
	v_add_co_ci_u32_e64 v36, null, s9, v3, vcc_lo
	v_add3_u32 v7, v7, v14, v13
	v_add_co_u32 v37, vcc_lo, s10, v2
	s_wait_alu 0xfffd
	v_add_co_ci_u32_e64 v38, null, s11, v3, vcc_lo
	v_add_co_u32 v10, vcc_lo, v10, 2
	v_add3_u32 v9, v9, v15, v12
	s_wait_alu 0xfffd
	v_add_co_ci_u32_e64 v11, null, 0, v11, vcc_lo
	v_lshlrev_b64_e32 v[2:3], 1, v[6:7]
	v_mul_lo_u32 v12, s7, v10
	v_lshlrev_b64_e32 v[6:7], 1, v[8:9]
	s_delay_alu instid0(VALU_DEP_4)
	v_mul_lo_u32 v11, s6, v11
	v_mad_co_u64_u32 v[8:9], null, s6, v10, 0
	v_add_co_u32 v39, vcc_lo, s8, v2
	s_wait_alu 0xfffd
	v_add_co_ci_u32_e64 v40, null, s9, v3, vcc_lo
	v_add_co_u32 v41, vcc_lo, s10, v2
	s_wait_alu 0xfffd
	v_add_co_ci_u32_e64 v42, null, s11, v3, vcc_lo
	;; [unrolled: 3-line block ×3, first 2 shown]
	v_add3_u32 v9, v9, v11, v12
	v_add_co_u32 v45, vcc_lo, s10, v6
	s_wait_alu 0xfffd
	v_add_co_ci_u32_e64 v46, null, s11, v7, vcc_lo
	v_add_co_u32 v4, vcc_lo, v4, s6
	s_wait_alu 0xfffd
	v_add_co_ci_u32_e64 v5, null, s7, v5, vcc_lo
	v_lshlrev_b64_e32 v[2:3], 1, v[8:9]
	s_mul_u64 s[24:25], s[6:7], s[22:23]
	s_add_nc_u64 s[20:21], s[0:1], 64
	s_delay_alu instid0(VALU_DEP_2)
	v_lshlrev_b64_e32 v[4:5], 1, v[4:5]
	s_lshl_b64 s[24:25], s[24:25], 1
	s_add_nc_u64 s[26:27], s[16:17], 63
	v_add_co_u32 v47, vcc_lo, s8, v2
	s_wait_alu 0xfffd
	v_add_co_ci_u32_e64 v48, null, s9, v3, vcc_lo
	v_add_co_u32 v49, vcc_lo, s10, v2
	s_wait_alu 0xfffd
	v_add_co_ci_u32_e64 v50, null, s11, v3, vcc_lo
	;; [unrolled: 3-line block ×4, first 2 shown]
	s_mov_b64 s[28:29], s[16:17]
.LBB78_3:                               ; =>This Inner Loop Header: Depth=1
	v_cmp_ge_i64_e64 s3, s[26:27], s[4:5]
	v_add_co_u32 v57, s18, v21, s26
	s_wait_alu 0xf1ff
	v_add_co_ci_u32_e64 v58, null, 0, s27, s18
                                        ; implicit-def: $vgpr10_vgpr11_vgpr12_vgpr13_vgpr14_vgpr15_vgpr16_vgpr17
                                        ; implicit-def: $vgpr2_vgpr3_vgpr4_vgpr5_vgpr6_vgpr7_vgpr8_vgpr9
                                        ; implicit-def: $vgpr60
                                        ; implicit-def: $vgpr2
	s_and_b32 vcc_lo, exec_lo, s3
	s_mov_b32 s3, -1
                                        ; implicit-def: $vgpr10
                                        ; implicit-def: $vgpr3
	s_wait_alu 0xfffe
	s_cbranch_vccz .LBB78_25
; %bb.4:                                ;   in Loop: Header=BB78_3 Depth=1
	s_load_b32 s3, s[20:21], 0xc
	v_dual_mov_b32 v60, 0 :: v_dual_mov_b32 v59, 0
	s_wait_kmcnt 0x0
	s_and_b32 s3, s3, 0xffff
	s_wait_alu 0xfffe
	v_mad_u32_u24 v2, v20, s3, v22
	s_mov_b32 s3, exec_lo
	s_delay_alu instid0(VALU_DEP_1) | instskip(NEXT) | instid1(VALU_DEP_1)
	v_and_b32_e32 v2, 31, v2
	v_cmpx_gt_u32_e32 8, v2
	s_cbranch_execz .LBB78_8
; %bb.5:                                ;   in Loop: Header=BB78_3 Depth=1
	v_add_co_u32 v2, vcc_lo, v57, v2
	s_wait_alu 0xfffd
	v_add_co_ci_u32_e64 v3, null, 0, v58, vcc_lo
	v_dual_mov_b32 v59, 0 :: v_dual_mov_b32 v60, 0
	s_delay_alu instid0(VALU_DEP_3) | instskip(SKIP_1) | instid1(VALU_DEP_3)
	v_add_co_u32 v2, vcc_lo, 0xffffffc1, v2
	s_wait_alu 0xfffd
	v_add_co_ci_u32_e64 v3, null, -1, v3, vcc_lo
	s_mov_b32 s18, exec_lo
	v_cmpx_gt_i64_e64 s[4:5], v[2:3]
	s_cbranch_execz .LBB78_7
; %bb.6:                                ;   in Loop: Header=BB78_3 Depth=1
	v_lshlrev_b64_e32 v[2:3], 2, v[2:3]
	s_delay_alu instid0(VALU_DEP_1) | instskip(SKIP_1) | instid1(VALU_DEP_2)
	v_add_co_u32 v4, vcc_lo, s12, v2
	s_wait_alu 0xfffd
	v_add_co_ci_u32_e64 v5, null, s13, v3, vcc_lo
	v_add_co_u32 v2, vcc_lo, s14, v2
	s_wait_alu 0xfffd
	v_add_co_ci_u32_e64 v3, null, s15, v3, vcc_lo
	global_load_b32 v59, v[4:5], off
	global_load_b32 v60, v[2:3], off
.LBB78_7:                               ;   in Loop: Header=BB78_3 Depth=1
	s_wait_alu 0xfffe
	s_or_b32 exec_lo, exec_lo, s18
.LBB78_8:                               ;   in Loop: Header=BB78_3 Depth=1
	s_wait_alu 0xfffe
	s_or_b32 exec_lo, exec_lo, s3
	v_add_co_u32 v9, vcc_lo, 0xffffffc1, v57
	s_wait_alu 0xfffd
	v_add_co_ci_u32_e64 v10, null, -1, v58, vcc_lo
	v_mov_b32_e32 v8, v1
	v_dual_mov_b32 v2, v1 :: v_dual_mov_b32 v3, v1
	v_dual_mov_b32 v4, v1 :: v_dual_mov_b32 v5, v1
	v_dual_mov_b32 v6, v1 :: v_dual_mov_b32 v7, v1
	v_cmp_gt_i64_e32 vcc_lo, s[4:5], v[9:10]
	s_delay_alu instid0(VALU_DEP_3) | instskip(NEXT) | instid1(VALU_DEP_3)
	v_dual_mov_b32 v17, v8 :: v_dual_mov_b32 v14, v5
	v_dual_mov_b32 v15, v6 :: v_dual_mov_b32 v16, v7
	;; [unrolled: 1-line block ×4, first 2 shown]
	v_mov_b32_e32 v9, v8
	v_mov_b32_e32 v8, v7
	v_mov_b32_e32 v7, v6
	v_mov_b32_e32 v6, v5
	v_mov_b32_e32 v5, v4
	v_mov_b32_e32 v4, v3
	v_mov_b32_e32 v3, v2
	v_mov_b32_e32 v2, v1
	s_and_b32 s18, s2, vcc_lo
	s_wait_alu 0xfffe
	s_and_saveexec_b32 s3, s18
	s_cbranch_execz .LBB78_10
; %bb.9:                                ;   in Loop: Header=BB78_3 Depth=1
	v_add_co_u32 v2, vcc_lo, v23, v18
	s_wait_alu 0xfffd
	v_add_co_ci_u32_e64 v3, null, v24, v19, vcc_lo
	v_add_co_u32 v4, vcc_lo, v25, v18
	s_wait_alu 0xfffd
	v_add_co_ci_u32_e64 v5, null, v26, v19, vcc_lo
	global_load_u16 v2, v[2:3], off
	global_load_u16 v10, v[4:5], off
	v_dual_mov_b32 v3, v1 :: v_dual_mov_b32 v4, v1
	v_dual_mov_b32 v5, v1 :: v_dual_mov_b32 v6, v1
	;; [unrolled: 1-line block ×6, first 2 shown]
	v_mov_b32_e32 v15, v1
	v_mov_b32_e32 v17, v1
	s_wait_loadcnt 0x1
	v_cvt_f32_f16_e32 v2, v2
	s_wait_loadcnt 0x0
	v_cvt_f32_f16_e32 v10, v10
.LBB78_10:                              ;   in Loop: Header=BB78_3 Depth=1
	s_wait_alu 0xfffe
	s_or_b32 exec_lo, exec_lo, s3
	v_add_co_u32 v61, vcc_lo, 0xffffffc2, v57
	s_wait_alu 0xfffd
	v_add_co_ci_u32_e64 v62, null, -1, v58, vcc_lo
	s_delay_alu instid0(VALU_DEP_1)
	v_cmp_gt_i64_e32 vcc_lo, s[4:5], v[61:62]
	s_and_b32 s18, s2, vcc_lo
	s_wait_alu 0xfffe
	s_and_saveexec_b32 s3, s18
	s_cbranch_execz .LBB78_12
; %bb.11:                               ;   in Loop: Header=BB78_3 Depth=1
	v_add_co_u32 v61, vcc_lo, v51, v18
	s_wait_alu 0xfffd
	v_add_co_ci_u32_e64 v62, null, v52, v19, vcc_lo
	v_add_co_u32 v63, vcc_lo, v53, v18
	s_wait_alu 0xfffd
	v_add_co_ci_u32_e64 v64, null, v54, v19, vcc_lo
	global_load_u16 v3, v[61:62], off
	global_load_u16 v11, v[63:64], off
	s_wait_loadcnt 0x1
	v_cvt_f32_f16_e32 v3, v3
	s_wait_loadcnt 0x0
	v_cvt_f32_f16_e32 v11, v11
.LBB78_12:                              ;   in Loop: Header=BB78_3 Depth=1
	s_wait_alu 0xfffe
	s_or_b32 exec_lo, exec_lo, s3
	v_add_co_u32 v61, vcc_lo, 0xffffffc3, v57
	s_wait_alu 0xfffd
	v_add_co_ci_u32_e64 v62, null, -1, v58, vcc_lo
	s_delay_alu instid0(VALU_DEP_1)
	v_cmp_gt_i64_e32 vcc_lo, s[4:5], v[61:62]
	s_and_b32 s18, s2, vcc_lo
	s_wait_alu 0xfffe
	s_and_saveexec_b32 s3, s18
	s_cbranch_execz .LBB78_14
; %bb.13:                               ;   in Loop: Header=BB78_3 Depth=1
	v_add_co_u32 v61, vcc_lo, v47, v18
	s_wait_alu 0xfffd
	v_add_co_ci_u32_e64 v62, null, v48, v19, vcc_lo
	v_add_co_u32 v63, vcc_lo, v49, v18
	s_wait_alu 0xfffd
	v_add_co_ci_u32_e64 v64, null, v50, v19, vcc_lo
	global_load_u16 v4, v[61:62], off
	global_load_u16 v12, v[63:64], off
	s_wait_loadcnt 0x1
	v_cvt_f32_f16_e32 v4, v4
	s_wait_loadcnt 0x0
	v_cvt_f32_f16_e32 v12, v12
.LBB78_14:                              ;   in Loop: Header=BB78_3 Depth=1
	;; [unrolled: 25-line block ×7, first 2 shown]
	s_wait_alu 0xfffe
	s_or_b32 exec_lo, exec_lo, s3
	s_wait_loadcnt 0x1
	ds_bpermute_b32 v61, v1, v59
	ds_bpermute_b32 v62, v1, v59 offset:4
	ds_bpermute_b32 v63, v1, v59 offset:8
	s_wait_loadcnt 0x0
	ds_bpermute_b32 v64, v1, v60
	ds_bpermute_b32 v65, v1, v59 offset:12
	ds_bpermute_b32 v66, v1, v60 offset:4
	;; [unrolled: 1-line block ×7, first 2 shown]
	s_mov_b32 s3, 0
	s_wait_dscnt 0xa
	v_dual_sub_f32 v10, v10, v61 :: v_dual_add_f32 v61, v55, v2
	s_wait_dscnt 0x8
	v_dual_sub_f32 v11, v11, v62 :: v_dual_sub_f32 v12, v12, v63
	ds_bpermute_b32 v62, v1, v60 offset:16
	v_mul_f32_e32 v2, v2, v10
	ds_bpermute_b32 v63, v1, v60 offset:20
	v_dual_mul_f32 v11, v3, v11 :: v_dual_mul_f32 v12, v4, v12
	v_add_f32_e32 v3, v3, v61
	s_wait_dscnt 0x9
	v_fma_f32 v10, v2, v64, v56
	s_wait_dscnt 0x8
	v_sub_f32_e32 v2, v13, v65
	ds_bpermute_b32 v64, v1, v60 offset:24
	ds_bpermute_b32 v60, v1, v60 offset:28
	s_wait_dscnt 0x9
	v_dual_add_f32 v3, v4, v3 :: v_dual_fmac_f32 v10, v11, v66
	s_wait_dscnt 0x8
	v_sub_f32_e32 v11, v14, v67
	v_mul_f32_e32 v13, v5, v2
	ds_bpermute_b32 v2, v1, v59 offset:28
	s_wait_dscnt 0x6
	v_sub_f32_e32 v4, v15, v70
	v_dual_fmac_f32 v10, v12, v68 :: v_dual_mul_f32 v11, v6, v11
	v_add_f32_e32 v3, v5, v3
	s_wait_dscnt 0x5
	s_delay_alu instid0(VALU_DEP_3) | instskip(NEXT) | instid1(VALU_DEP_2)
	v_dual_sub_f32 v5, v16, v71 :: v_dual_mul_f32 v4, v7, v4
	v_dual_fmac_f32 v10, v13, v69 :: v_dual_add_f32 v3, v6, v3
	s_wait_dscnt 0x4
	s_delay_alu instid0(VALU_DEP_1) | instskip(SKIP_1) | instid1(VALU_DEP_1)
	v_dual_mul_f32 v5, v8, v5 :: v_dual_fmac_f32 v10, v11, v62
	s_wait_dscnt 0x3
	v_fmac_f32_e32 v10, v4, v63
	s_wait_dscnt 0x2
	s_delay_alu instid0(VALU_DEP_1) | instskip(NEXT) | instid1(VALU_DEP_1)
	v_dual_add_f32 v3, v7, v3 :: v_dual_fmac_f32 v10, v5, v64
	v_add_f32_e32 v3, v8, v3
.LBB78_25:                              ;   in Loop: Header=BB78_3 Depth=1
	s_wait_alu 0xfffe
	s_and_b32 vcc_lo, exec_lo, s3
	s_wait_alu 0xfffe
	s_cbranch_vccz .LBB78_40
; %bb.26:                               ;   in Loop: Header=BB78_3 Depth=1
	s_load_b32 s3, s[20:21], 0x0
	s_wait_dscnt 0x1
	v_dual_mov_b32 v60, 0 :: v_dual_mov_b32 v59, 0
	s_wait_kmcnt 0x0
	s_cmp_lt_u32 ttmp9, s3
	s_cselect_b32 s18, 12, 18
	s_wait_alu 0xfffe
	s_add_nc_u64 s[34:35], s[20:21], s[18:19]
	s_load_u16 s3, s[34:35], 0x0
	s_wait_dscnt 0x0
	s_wait_kmcnt 0x0
	v_mad_u32_u24 v2, v20, s3, v22
	s_mov_b32 s3, exec_lo
	s_delay_alu instid0(VALU_DEP_1) | instskip(NEXT) | instid1(VALU_DEP_1)
	v_and_b32_e32 v2, 31, v2
	v_cmpx_gt_u32_e32 8, v2
	s_cbranch_execz .LBB78_30
; %bb.27:                               ;   in Loop: Header=BB78_3 Depth=1
	v_add_co_u32 v2, vcc_lo, v57, v2
	s_wait_alu 0xfffd
	v_add_co_ci_u32_e64 v3, null, 0, v58, vcc_lo
	v_dual_mov_b32 v59, 0 :: v_dual_mov_b32 v60, 0
	s_delay_alu instid0(VALU_DEP_3) | instskip(SKIP_1) | instid1(VALU_DEP_3)
	v_add_co_u32 v2, vcc_lo, 0xffffffc1, v2
	s_wait_alu 0xfffd
	v_add_co_ci_u32_e64 v3, null, -1, v3, vcc_lo
	s_mov_b32 s18, exec_lo
	v_cmpx_gt_i64_e64 s[4:5], v[2:3]
	s_cbranch_execz .LBB78_29
; %bb.28:                               ;   in Loop: Header=BB78_3 Depth=1
	v_lshlrev_b64_e32 v[2:3], 2, v[2:3]
	s_delay_alu instid0(VALU_DEP_1) | instskip(SKIP_1) | instid1(VALU_DEP_2)
	v_add_co_u32 v4, vcc_lo, s12, v2
	s_wait_alu 0xfffd
	v_add_co_ci_u32_e64 v5, null, s13, v3, vcc_lo
	v_add_co_u32 v2, vcc_lo, s14, v2
	s_wait_alu 0xfffd
	v_add_co_ci_u32_e64 v3, null, s15, v3, vcc_lo
	global_load_b32 v59, v[4:5], off
	global_load_b32 v60, v[2:3], off
.LBB78_29:                              ;   in Loop: Header=BB78_3 Depth=1
	s_wait_alu 0xfffe
	s_or_b32 exec_lo, exec_lo, s18
.LBB78_30:                              ;   in Loop: Header=BB78_3 Depth=1
	s_wait_alu 0xfffe
	s_or_b32 exec_lo, exec_lo, s3
	v_mov_b32_e32 v8, v1
	v_dual_mov_b32 v2, v1 :: v_dual_mov_b32 v3, v1
	v_dual_mov_b32 v4, v1 :: v_dual_mov_b32 v5, v1
	v_dual_mov_b32 v6, v1 :: v_dual_mov_b32 v7, v1
	s_delay_alu instid0(VALU_DEP_4) | instskip(NEXT) | instid1(VALU_DEP_3)
	v_mov_b32_e32 v17, v8
	v_dual_mov_b32 v13, v4 :: v_dual_mov_b32 v12, v3
	s_delay_alu instid0(VALU_DEP_3) | instskip(NEXT) | instid1(VALU_DEP_4)
	v_dual_mov_b32 v15, v6 :: v_dual_mov_b32 v14, v5
	v_dual_mov_b32 v16, v7 :: v_dual_mov_b32 v11, v2
	;; [unrolled: 1-line block ×3, first 2 shown]
	v_mov_b32_e32 v8, v7
	v_mov_b32_e32 v7, v6
	v_mov_b32_e32 v6, v5
	v_mov_b32_e32 v5, v4
	v_mov_b32_e32 v4, v3
	v_mov_b32_e32 v3, v2
	v_mov_b32_e32 v2, v1
	s_and_saveexec_b32 s3, s2
	s_cbranch_execnz .LBB78_42
; %bb.31:                               ;   in Loop: Header=BB78_3 Depth=1
	s_wait_alu 0xfffe
	s_or_b32 exec_lo, exec_lo, s3
	s_and_saveexec_b32 s3, s2
	s_cbranch_execnz .LBB78_43
.LBB78_32:                              ;   in Loop: Header=BB78_3 Depth=1
	s_wait_alu 0xfffe
	s_or_b32 exec_lo, exec_lo, s3
	s_and_saveexec_b32 s3, s2
	s_cbranch_execnz .LBB78_44
.LBB78_33:                              ;   in Loop: Header=BB78_3 Depth=1
	s_wait_alu 0xfffe
	s_or_b32 exec_lo, exec_lo, s3
	s_and_saveexec_b32 s3, s2
	s_cbranch_execnz .LBB78_45
.LBB78_34:                              ;   in Loop: Header=BB78_3 Depth=1
	s_wait_alu 0xfffe
	s_or_b32 exec_lo, exec_lo, s3
	s_and_saveexec_b32 s3, s2
	s_cbranch_execnz .LBB78_46
.LBB78_35:                              ;   in Loop: Header=BB78_3 Depth=1
	s_wait_alu 0xfffe
	s_or_b32 exec_lo, exec_lo, s3
	s_and_saveexec_b32 s3, s2
	s_cbranch_execnz .LBB78_47
.LBB78_36:                              ;   in Loop: Header=BB78_3 Depth=1
	s_wait_alu 0xfffe
	s_or_b32 exec_lo, exec_lo, s3
	s_and_saveexec_b32 s3, s2
	s_cbranch_execnz .LBB78_48
.LBB78_37:                              ;   in Loop: Header=BB78_3 Depth=1
	s_wait_alu 0xfffe
	s_or_b32 exec_lo, exec_lo, s3
	s_and_saveexec_b32 s3, s2
	s_cbranch_execz .LBB78_39
.LBB78_38:                              ;   in Loop: Header=BB78_3 Depth=1
	v_add_co_u32 v57, vcc_lo, v27, v18
	s_wait_alu 0xfffd
	v_add_co_ci_u32_e64 v58, null, v28, v19, vcc_lo
	v_add_co_u32 v61, vcc_lo, v29, v18
	s_wait_alu 0xfffd
	v_add_co_ci_u32_e64 v62, null, v30, v19, vcc_lo
	global_load_u16 v9, v[57:58], off
	global_load_u16 v17, v[61:62], off
	s_wait_loadcnt 0x1
	v_cvt_f32_f16_e32 v9, v9
	s_wait_loadcnt 0x0
	v_cvt_f32_f16_e32 v17, v17
.LBB78_39:                              ;   in Loop: Header=BB78_3 Depth=1
	s_wait_alu 0xfffe
	s_or_b32 exec_lo, exec_lo, s3
	s_wait_loadcnt 0x1
	ds_bpermute_b32 v57, v1, v59
	ds_bpermute_b32 v58, v1, v59 offset:4
	ds_bpermute_b32 v61, v1, v59 offset:8
	s_wait_loadcnt 0x0
	ds_bpermute_b32 v62, v1, v60
	ds_bpermute_b32 v63, v1, v59 offset:12
	ds_bpermute_b32 v64, v1, v60 offset:4
	;; [unrolled: 1-line block ×5, first 2 shown]
	s_wait_dscnt 0x7
	v_dual_sub_f32 v10, v10, v57 :: v_dual_sub_f32 v11, v11, v58
	ds_bpermute_b32 v57, v1, v60 offset:12
	s_wait_dscnt 0x7
	v_sub_f32_e32 v12, v12, v61
	ds_bpermute_b32 v58, v1, v60 offset:20
	v_dual_mul_f32 v10, v2, v10 :: v_dual_mul_f32 v11, v3, v11
	s_wait_dscnt 0x6
	v_dual_add_f32 v2, v55, v2 :: v_dual_sub_f32 v13, v13, v63
	ds_bpermute_b32 v55, v1, v60 offset:16
	v_fmac_f32_e32 v56, v10, v62
	ds_bpermute_b32 v10, v1, v59 offset:24
	s_wait_dscnt 0x6
	v_dual_add_f32 v2, v3, v2 :: v_dual_sub_f32 v3, v14, v65
	v_dual_fmac_f32 v56, v11, v64 :: v_dual_mul_f32 v11, v5, v13
	s_wait_dscnt 0x5
	v_dual_sub_f32 v13, v15, v67 :: v_dual_mul_f32 v12, v4, v12
	s_wait_dscnt 0x4
	s_delay_alu instid0(VALU_DEP_1)
	v_dual_mul_f32 v3, v6, v3 :: v_dual_fmac_f32 v56, v12, v66
	ds_bpermute_b32 v12, v1, v60 offset:24
	ds_bpermute_b32 v60, v1, v60 offset:28
	s_wait_dscnt 0x5
	v_fmac_f32_e32 v56, v11, v57
	s_wait_dscnt 0x2
	s_delay_alu instid0(VALU_DEP_1) | instskip(NEXT) | instid1(VALU_DEP_1)
	v_dual_fmac_f32 v56, v3, v55 :: v_dual_sub_f32 v3, v16, v10
	v_mul_f32_e32 v3, v8, v3
	v_add_f32_e32 v4, v4, v2
	ds_bpermute_b32 v2, v1, v59 offset:28
	v_dual_add_f32 v4, v5, v4 :: v_dual_mul_f32 v5, v7, v13
	s_delay_alu instid0(VALU_DEP_1) | instskip(NEXT) | instid1(VALU_DEP_2)
	v_add_f32_e32 v4, v6, v4
	v_fmac_f32_e32 v56, v5, v58
	s_delay_alu instid0(VALU_DEP_2) | instskip(SKIP_1) | instid1(VALU_DEP_2)
	v_add_f32_e32 v4, v7, v4
	s_wait_dscnt 0x2
	v_fmac_f32_e32 v56, v3, v12
	s_delay_alu instid0(VALU_DEP_2) | instskip(NEXT) | instid1(VALU_DEP_2)
	v_add_f32_e32 v3, v8, v4
	v_mov_b32_e32 v10, v56
.LBB78_40:                              ;   in Loop: Header=BB78_3 Depth=1
	v_add_co_u32 v23, vcc_lo, v23, s24
	s_wait_alu 0xfffd
	v_add_co_ci_u32_e64 v24, null, s25, v24, vcc_lo
	v_add_co_u32 v25, vcc_lo, v25, s24
	s_wait_alu 0xfffd
	v_add_co_ci_u32_e64 v26, null, s25, v26, vcc_lo
	;; [unrolled: 3-line block ×10, first 2 shown]
	v_add_co_u32 v43, vcc_lo, v43, s24
	s_wait_dscnt 0x0
	v_dual_sub_f32 v2, v17, v2 :: v_dual_add_f32 v55, v3, v9
	s_wait_alu 0xfffd
	v_add_co_ci_u32_e64 v44, null, s25, v44, vcc_lo
	v_add_co_u32 v45, vcc_lo, v45, s24
	s_wait_alu 0xfffd
	v_add_co_ci_u32_e64 v46, null, s25, v46, vcc_lo
	v_add_co_u32 v47, vcc_lo, v47, s24
	;; [unrolled: 3-line block ×3, first 2 shown]
	s_add_nc_u64 s[28:29], s[28:29], s[22:23]
	v_mul_f32_e32 v2, v9, v2
	s_wait_alu 0xfffd
	v_add_co_ci_u32_e64 v50, null, s25, v50, vcc_lo
	v_add_co_u32 v51, vcc_lo, v51, s24
	s_wait_alu 0xfffe
	v_cmp_lt_i64_e64 s3, s[28:29], s[4:5]
	s_wait_alu 0xfffd
	v_add_co_ci_u32_e64 v52, null, s25, v52, vcc_lo
	v_add_co_u32 v53, vcc_lo, v53, s24
	v_fmac_f32_e32 v10, v2, v60
	s_wait_alu 0xfffd
	v_add_co_ci_u32_e64 v54, null, s25, v54, vcc_lo
	s_and_b32 vcc_lo, exec_lo, s3
	s_add_nc_u64 s[26:27], s[26:27], s[22:23]
	s_wait_alu 0xfffe
	s_cbranch_vccz .LBB78_50
; %bb.41:                               ;   in Loop: Header=BB78_3 Depth=1
	v_mov_b32_e32 v56, v10
	s_branch .LBB78_3
.LBB78_42:                              ;   in Loop: Header=BB78_3 Depth=1
	v_add_co_u32 v2, vcc_lo, v23, v18
	s_wait_alu 0xfffd
	v_add_co_ci_u32_e64 v3, null, v24, v19, vcc_lo
	v_add_co_u32 v4, vcc_lo, v25, v18
	s_wait_alu 0xfffd
	v_add_co_ci_u32_e64 v5, null, v26, v19, vcc_lo
	global_load_u16 v2, v[2:3], off
	global_load_u16 v10, v[4:5], off
	v_dual_mov_b32 v3, v1 :: v_dual_mov_b32 v4, v1
	v_dual_mov_b32 v5, v1 :: v_dual_mov_b32 v6, v1
	;; [unrolled: 1-line block ×6, first 2 shown]
	v_mov_b32_e32 v15, v1
	v_mov_b32_e32 v17, v1
	s_wait_loadcnt 0x1
	v_cvt_f32_f16_e32 v2, v2
	s_wait_loadcnt 0x0
	v_cvt_f32_f16_e32 v10, v10
	s_wait_alu 0xfffe
	s_or_b32 exec_lo, exec_lo, s3
	s_and_saveexec_b32 s3, s2
	s_cbranch_execz .LBB78_32
.LBB78_43:                              ;   in Loop: Header=BB78_3 Depth=1
	v_add_co_u32 v57, vcc_lo, v51, v18
	s_wait_alu 0xfffd
	v_add_co_ci_u32_e64 v58, null, v52, v19, vcc_lo
	v_add_co_u32 v61, vcc_lo, v53, v18
	s_wait_alu 0xfffd
	v_add_co_ci_u32_e64 v62, null, v54, v19, vcc_lo
	global_load_u16 v3, v[57:58], off
	global_load_u16 v11, v[61:62], off
	s_wait_loadcnt 0x1
	v_cvt_f32_f16_e32 v3, v3
	s_wait_loadcnt 0x0
	v_cvt_f32_f16_e32 v11, v11
	s_wait_alu 0xfffe
	s_or_b32 exec_lo, exec_lo, s3
	s_and_saveexec_b32 s3, s2
	s_cbranch_execz .LBB78_33
.LBB78_44:                              ;   in Loop: Header=BB78_3 Depth=1
	v_add_co_u32 v57, vcc_lo, v47, v18
	s_wait_alu 0xfffd
	v_add_co_ci_u32_e64 v58, null, v48, v19, vcc_lo
	v_add_co_u32 v61, vcc_lo, v49, v18
	s_wait_alu 0xfffd
	v_add_co_ci_u32_e64 v62, null, v50, v19, vcc_lo
	global_load_u16 v4, v[57:58], off
	global_load_u16 v12, v[61:62], off
	s_wait_loadcnt 0x1
	v_cvt_f32_f16_e32 v4, v4
	s_wait_loadcnt 0x0
	v_cvt_f32_f16_e32 v12, v12
	s_wait_alu 0xfffe
	s_or_b32 exec_lo, exec_lo, s3
	s_and_saveexec_b32 s3, s2
	s_cbranch_execz .LBB78_34
.LBB78_45:                              ;   in Loop: Header=BB78_3 Depth=1
	v_add_co_u32 v57, vcc_lo, v43, v18
	s_wait_alu 0xfffd
	v_add_co_ci_u32_e64 v58, null, v44, v19, vcc_lo
	v_add_co_u32 v61, vcc_lo, v45, v18
	s_wait_alu 0xfffd
	v_add_co_ci_u32_e64 v62, null, v46, v19, vcc_lo
	global_load_u16 v5, v[57:58], off
	global_load_u16 v13, v[61:62], off
	s_wait_loadcnt 0x1
	v_cvt_f32_f16_e32 v5, v5
	s_wait_loadcnt 0x0
	v_cvt_f32_f16_e32 v13, v13
	s_wait_alu 0xfffe
	s_or_b32 exec_lo, exec_lo, s3
	s_and_saveexec_b32 s3, s2
	s_cbranch_execz .LBB78_35
.LBB78_46:                              ;   in Loop: Header=BB78_3 Depth=1
	v_add_co_u32 v57, vcc_lo, v39, v18
	s_wait_alu 0xfffd
	v_add_co_ci_u32_e64 v58, null, v40, v19, vcc_lo
	v_add_co_u32 v61, vcc_lo, v41, v18
	s_wait_alu 0xfffd
	v_add_co_ci_u32_e64 v62, null, v42, v19, vcc_lo
	global_load_u16 v6, v[57:58], off
	global_load_u16 v14, v[61:62], off
	s_wait_loadcnt 0x1
	v_cvt_f32_f16_e32 v6, v6
	s_wait_loadcnt 0x0
	v_cvt_f32_f16_e32 v14, v14
	s_wait_alu 0xfffe
	s_or_b32 exec_lo, exec_lo, s3
	s_and_saveexec_b32 s3, s2
	s_cbranch_execz .LBB78_36
.LBB78_47:                              ;   in Loop: Header=BB78_3 Depth=1
	v_add_co_u32 v57, vcc_lo, v35, v18
	s_wait_alu 0xfffd
	v_add_co_ci_u32_e64 v58, null, v36, v19, vcc_lo
	v_add_co_u32 v61, vcc_lo, v37, v18
	s_wait_alu 0xfffd
	v_add_co_ci_u32_e64 v62, null, v38, v19, vcc_lo
	global_load_u16 v7, v[57:58], off
	global_load_u16 v15, v[61:62], off
	s_wait_loadcnt 0x1
	v_cvt_f32_f16_e32 v7, v7
	s_wait_loadcnt 0x0
	v_cvt_f32_f16_e32 v15, v15
	s_wait_alu 0xfffe
	s_or_b32 exec_lo, exec_lo, s3
	s_and_saveexec_b32 s3, s2
	s_cbranch_execz .LBB78_37
.LBB78_48:                              ;   in Loop: Header=BB78_3 Depth=1
	v_add_co_u32 v57, vcc_lo, v31, v18
	s_wait_alu 0xfffd
	v_add_co_ci_u32_e64 v58, null, v32, v19, vcc_lo
	v_add_co_u32 v61, vcc_lo, v33, v18
	s_wait_alu 0xfffd
	v_add_co_ci_u32_e64 v62, null, v34, v19, vcc_lo
	global_load_u16 v8, v[57:58], off
	global_load_u16 v16, v[61:62], off
	s_wait_loadcnt 0x1
	v_cvt_f32_f16_e32 v8, v8
	s_wait_loadcnt 0x0
	v_cvt_f32_f16_e32 v16, v16
	s_wait_alu 0xfffe
	s_or_b32 exec_lo, exec_lo, s3
	s_and_saveexec_b32 s3, s2
	s_cbranch_execnz .LBB78_38
	s_branch .LBB78_39
.LBB78_49:
                                        ; implicit-def: $vgpr10
                                        ; implicit-def: $vgpr55
	s_branch .LBB78_51
.LBB78_50:
	s_cbranch_execnz .LBB78_83
.LBB78_51:
	v_dual_mov_b32 v10, 0 :: v_dual_mov_b32 v55, 0
	s_and_not1_b32 vcc_lo, exec_lo, s31
	s_wait_alu 0xfffe
	s_cbranch_vccnz .LBB78_83
; %bb.52:
	v_bfe_u32 v48, v0, 10, 10
	v_dual_mov_b32 v1, 0 :: v_dual_and_b32 v50, 0x3ff, v0
	s_lshl_b64 s[20:21], s[16:17], 1
	s_mov_b32 s3, 0
	s_delay_alu instid0(VALU_DEP_2) | instskip(SKIP_2) | instid1(VALU_DEP_3)
	v_dual_mov_b32 v84, 0 :: v_dual_lshlrev_b32 v49, 3, v48
	v_dual_mov_b32 v85, 0 :: v_dual_lshlrev_b32 v8, 4, v48
	v_dual_mov_b32 v5, v1 :: v_dual_add_nc_u32 v4, s30, v50
	v_add_co_u32 v10, s2, v49, s16
	s_wait_alu 0xf1ff
	v_add_co_ci_u32_e64 v11, null, 0, 0, s2
	s_delay_alu instid0(VALU_DEP_3) | instskip(NEXT) | instid1(VALU_DEP_3)
	v_lshlrev_b64_e32 v[18:19], 1, v[4:5]
	v_mul_lo_u32 v6, s7, v10
	v_mad_co_u64_u32 v[2:3], null, s6, v10, 0
	s_delay_alu instid0(VALU_DEP_4) | instskip(SKIP_2) | instid1(VALU_DEP_1)
	v_mul_lo_u32 v7, s6, v11
	s_load_b32 s2, s[0:1], 0x44
	s_mov_b32 s19, s3
	v_add3_u32 v3, v3, v7, v6
	v_add_co_u32 v6, s18, v8, s20
	s_wait_alu 0xf1ff
	v_add_co_ci_u32_e64 v7, null, 0, s21, s18
	s_delay_alu instid0(VALU_DEP_3) | instskip(NEXT) | instid1(VALU_DEP_3)
	v_lshlrev_b64_e32 v[4:5], 1, v[2:3]
	v_add_co_u32 v8, vcc_lo, v6, 2
	s_wait_alu 0xfffd
	s_delay_alu instid0(VALU_DEP_3) | instskip(NEXT) | instid1(VALU_DEP_3)
	v_add_co_ci_u32_e64 v9, null, 0, v7, vcc_lo
	v_add_co_u32 v51, vcc_lo, s8, v4
	s_wait_alu 0xfffd
	v_add_co_ci_u32_e64 v52, null, s9, v5, vcc_lo
	v_add_co_u32 v53, vcc_lo, s10, v4
	s_wait_alu 0xfffd
	v_add_co_ci_u32_e64 v54, null, s11, v5, vcc_lo
	v_add_co_u32 v4, vcc_lo, v6, 4
	s_wait_alu 0xfffd
	v_add_co_ci_u32_e64 v5, null, 0, v7, vcc_lo
	v_add_co_u32 v13, vcc_lo, v6, 6
	s_wait_alu 0xfffd
	v_add_co_ci_u32_e64 v14, null, 0, v7, vcc_lo
	v_add_co_u32 v16, vcc_lo, v6, 8
	s_wait_alu 0xfffd
	v_add_co_ci_u32_e64 v28, null, 0, v7, vcc_lo
	v_add_co_u32 v42, vcc_lo, v6, 10
	v_mad_co_u64_u32 v[22:23], null, s6, v4, s[8:9]
	v_mul_lo_u32 v5, s6, v5
	v_mul_lo_u32 v15, s7, v4
	v_mad_co_u64_u32 v[36:37], null, s6, v4, s[10:11]
	s_wait_alu 0xfffd
	v_add_co_ci_u32_e64 v30, null, 0, v7, vcc_lo
	v_add_co_u32 v44, vcc_lo, v6, 12
	s_wait_alu 0xfffd
	v_add_co_ci_u32_e64 v32, null, 0, v7, vcc_lo
	v_add_co_u32 v6, vcc_lo, v6, 14
	v_mad_co_u64_u32 v[20:21], null, s6, v8, s[8:9]
	v_mul_lo_u32 v9, s6, v9
	v_mul_lo_u32 v12, s7, v8
	v_mad_co_u64_u32 v[34:35], null, s6, v8, s[10:11]
	s_wait_alu 0xfffd
	v_add_co_ci_u32_e64 v7, null, 0, v7, vcc_lo
	v_add_co_u32 v4, vcc_lo, v10, 7
	v_add3_u32 v23, v15, v23, v5
	v_add3_u32 v37, v15, v37, v5
	s_wait_alu 0xfffd
	v_add_co_ci_u32_e64 v5, null, 0, v11, vcc_lo
	v_mul_lo_u32 v61, s6, v7
	v_add_co_u32 v7, vcc_lo, v10, 6
	v_add3_u32 v21, v12, v21, v9
	v_add3_u32 v35, v12, v35, v9
	s_wait_alu 0xfffd
	v_add_co_ci_u32_e64 v12, null, 0, v11, vcc_lo
	v_mul_lo_u32 v8, s7, v4
	v_mul_lo_u32 v9, s6, v5
	v_mad_co_u64_u32 v[4:5], null, s6, v4, 0
	v_mad_co_u64_u32 v[24:25], null, s6, v13, s[8:9]
	v_mul_lo_u32 v17, s7, v13
	v_mul_lo_u32 v59, s6, v32
	v_mad_co_u64_u32 v[32:33], null, s6, v6, s[8:9]
	v_mul_lo_u32 v62, s7, v6
	v_mad_co_u64_u32 v[38:39], null, s6, v13, s[10:11]
	v_mad_co_u64_u32 v[46:47], null, s6, v6, s[10:11]
	v_mul_lo_u32 v13, s7, v7
	v_mul_lo_u32 v12, s6, v12
	v_mad_co_u64_u32 v[6:7], null, s6, v7, 0
	v_add3_u32 v5, v5, v9, v8
	v_add_co_u32 v8, vcc_lo, v10, 5
	v_mad_co_u64_u32 v[26:27], null, s6, v16, s[8:9]
	v_mul_lo_u32 v55, s6, v28
	v_mul_lo_u32 v56, s7, v16
	v_mad_co_u64_u32 v[40:41], null, s6, v16, s[10:11]
	s_wait_alu 0xfffd
	v_add_co_ci_u32_e64 v9, null, 0, v11, vcc_lo
	v_add3_u32 v7, v7, v12, v13
	v_mad_co_u64_u32 v[28:29], null, s6, v42, s[8:9]
	v_mul_lo_u32 v57, s6, v30
	v_mul_lo_u32 v58, s7, v42
	v_mad_co_u64_u32 v[42:43], null, s6, v42, s[10:11]
	v_lshlrev_b64_e32 v[4:5], 1, v[4:5]
	v_mad_co_u64_u32 v[30:31], null, s6, v44, s[8:9]
	v_mul_lo_u32 v60, s7, v44
	v_mad_co_u64_u32 v[44:45], null, s6, v44, s[10:11]
	v_mul_lo_u32 v12, s7, v8
	v_mul_lo_u32 v13, s6, v9
	v_mad_co_u64_u32 v[8:9], null, s6, v8, 0
	v_lshlrev_b64_e32 v[6:7], 1, v[6:7]
	v_add3_u32 v27, v56, v27, v55
	v_add3_u32 v41, v56, v41, v55
	v_add_co_u32 v56, vcc_lo, s8, v4
	v_add3_u32 v29, v58, v29, v57
	v_add3_u32 v43, v58, v43, v57
	s_wait_alu 0xfffd
	v_add_co_ci_u32_e64 v57, null, s9, v5, vcc_lo
	v_add_co_u32 v58, vcc_lo, s10, v4
	v_add3_u32 v31, v60, v31, v59
	v_add3_u32 v45, v60, v45, v59
	s_wait_alu 0xfffd
	v_add_co_ci_u32_e64 v59, null, s11, v5, vcc_lo
	v_add_co_u32 v60, vcc_lo, s8, v6
	v_mul_lo_u32 v14, s6, v14
	v_add3_u32 v9, v9, v13, v12
	v_add3_u32 v33, v62, v33, v61
	v_add3_u32 v47, v62, v47, v61
	s_wait_alu 0xfffd
	v_add_co_ci_u32_e64 v61, null, s9, v7, vcc_lo
	v_add_co_u32 v12, vcc_lo, v10, 4
	s_wait_kmcnt 0x0
	s_lshl_b32 s18, s2, 6
	v_add_co_u32 v62, s2, s10, v6
	s_wait_alu 0xfffd
	v_add_co_ci_u32_e64 v6, null, 0, v11, vcc_lo
	v_lshlrev_b64_e32 v[4:5], 1, v[8:9]
	v_add_co_u32 v8, vcc_lo, v10, 3
	s_wait_alu 0xfffd
	v_add_co_ci_u32_e64 v9, null, 0, v11, vcc_lo
	v_add3_u32 v25, v17, v25, v14
	v_add3_u32 v39, v17, v39, v14
	s_wait_alu 0xf1ff
	v_add_co_ci_u32_e64 v63, null, s11, v7, s2
	v_mul_lo_u32 v13, s7, v12
	v_mul_lo_u32 v14, s6, v6
	v_mad_co_u64_u32 v[6:7], null, s6, v12, 0
	v_mul_lo_u32 v12, s7, v8
	v_mul_lo_u32 v15, s6, v9
	v_mad_co_u64_u32 v[8:9], null, s6, v8, 0
	v_add_co_u32 v64, vcc_lo, s8, v4
	s_wait_alu 0xfffd
	v_add_co_ci_u32_e64 v65, null, s9, v5, vcc_lo
	v_add3_u32 v7, v7, v14, v13
	v_add_co_u32 v66, vcc_lo, s10, v4
	s_wait_alu 0xfffd
	v_add_co_ci_u32_e64 v67, null, s11, v5, vcc_lo
	v_add_co_u32 v10, vcc_lo, v10, 2
	v_add3_u32 v9, v9, v15, v12
	s_wait_alu 0xfffd
	v_add_co_ci_u32_e64 v11, null, 0, v11, vcc_lo
	v_lshlrev_b64_e32 v[4:5], 1, v[6:7]
	v_mul_lo_u32 v12, s7, v10
	v_lshlrev_b64_e32 v[6:7], 1, v[8:9]
	s_delay_alu instid0(VALU_DEP_4)
	v_mul_lo_u32 v11, s6, v11
	v_mad_co_u64_u32 v[8:9], null, s6, v10, 0
	v_add_co_u32 v68, vcc_lo, s8, v4
	s_wait_alu 0xfffd
	v_add_co_ci_u32_e64 v69, null, s9, v5, vcc_lo
	v_add_co_u32 v70, vcc_lo, s10, v4
	s_wait_alu 0xfffd
	v_add_co_ci_u32_e64 v71, null, s11, v5, vcc_lo
	;; [unrolled: 3-line block ×3, first 2 shown]
	v_add3_u32 v9, v9, v11, v12
	v_add_co_u32 v74, vcc_lo, s10, v6
	s_wait_alu 0xfffd
	v_add_co_ci_u32_e64 v75, null, s11, v7, vcc_lo
	v_add_co_u32 v2, vcc_lo, v2, s6
	s_wait_alu 0xfffd
	v_add_co_ci_u32_e64 v3, null, s7, v3, vcc_lo
	v_lshlrev_b64_e32 v[4:5], 1, v[8:9]
	s_wait_alu 0xfffe
	s_mul_u64 s[20:21], s[6:7], s[18:19]
	s_delay_alu instid0(VALU_DEP_2) | instskip(NEXT) | instid1(VALU_DEP_2)
	v_lshlrev_b64_e32 v[2:3], 1, v[2:3]
	v_add_co_u32 v76, vcc_lo, s8, v4
	s_wait_alu 0xfffd
	v_add_co_ci_u32_e64 v77, null, s9, v5, vcc_lo
	v_add_co_u32 v78, vcc_lo, s10, v4
	s_wait_alu 0xfffd
	v_add_co_ci_u32_e64 v79, null, s11, v5, vcc_lo
	;; [unrolled: 3-line block ×4, first 2 shown]
	s_add_nc_u64 s[8:9], s[0:1], 64
	s_wait_alu 0xfffe
	s_lshl_b64 s[10:11], s[20:21], 1
	s_add_nc_u64 s[20:21], s[16:17], 63
.LBB78_53:                              ; =>This Inner Loop Header: Depth=1
	s_wait_alu 0xfffe
	v_cmp_ge_i64_e64 s2, s[20:21], s[4:5]
	v_add_co_u32 v86, s22, v49, s20
	s_wait_alu 0xf1ff
	v_add_co_ci_u32_e64 v87, null, 0, s21, s22
                                        ; implicit-def: $vgpr55
                                        ; implicit-def: $vgpr10
	s_and_b32 vcc_lo, exec_lo, s2
	s_mov_b32 s2, -1
	s_wait_alu 0xfffe
	s_cbranch_vccz .LBB78_75
; %bb.54:                               ;   in Loop: Header=BB78_53 Depth=1
	s_load_b32 s2, s[8:9], 0xc
	v_dual_mov_b32 v88, 0 :: v_dual_mov_b32 v55, 0
	s_wait_kmcnt 0x0
	s_and_b32 s2, s2, 0xffff
	s_wait_alu 0xfffe
	v_mad_u32_u24 v2, v48, s2, v50
	s_mov_b32 s2, exec_lo
	s_delay_alu instid0(VALU_DEP_1) | instskip(NEXT) | instid1(VALU_DEP_1)
	v_and_b32_e32 v2, 31, v2
	v_cmpx_gt_u32_e32 8, v2
	s_cbranch_execz .LBB78_58
; %bb.55:                               ;   in Loop: Header=BB78_53 Depth=1
	v_add_co_u32 v2, vcc_lo, v86, v2
	s_wait_alu 0xfffd
	v_add_co_ci_u32_e64 v3, null, 0, v87, vcc_lo
	v_dual_mov_b32 v55, 0 :: v_dual_mov_b32 v88, 0
	s_delay_alu instid0(VALU_DEP_3) | instskip(SKIP_1) | instid1(VALU_DEP_3)
	v_add_co_u32 v2, vcc_lo, 0xffffffc1, v2
	s_wait_alu 0xfffd
	v_add_co_ci_u32_e64 v3, null, -1, v3, vcc_lo
	s_mov_b32 s22, exec_lo
	v_cmpx_gt_i64_e64 s[4:5], v[2:3]
	s_cbranch_execz .LBB78_57
; %bb.56:                               ;   in Loop: Header=BB78_53 Depth=1
	v_lshlrev_b64_e32 v[2:3], 2, v[2:3]
	s_delay_alu instid0(VALU_DEP_1) | instskip(SKIP_1) | instid1(VALU_DEP_2)
	v_add_co_u32 v4, vcc_lo, s12, v2
	s_wait_alu 0xfffd
	v_add_co_ci_u32_e64 v5, null, s13, v3, vcc_lo
	v_add_co_u32 v2, vcc_lo, s14, v2
	s_wait_alu 0xfffd
	v_add_co_ci_u32_e64 v3, null, s15, v3, vcc_lo
	global_load_b32 v55, v[4:5], off
	global_load_b32 v88, v[2:3], off
.LBB78_57:                              ;   in Loop: Header=BB78_53 Depth=1
	s_wait_alu 0xfffe
	s_or_b32 exec_lo, exec_lo, s22
.LBB78_58:                              ;   in Loop: Header=BB78_53 Depth=1
	s_wait_alu 0xfffe
	s_or_b32 exec_lo, exec_lo, s2
	v_add_co_u32 v9, vcc_lo, 0xffffffc1, v86
	s_wait_alu 0xfffd
	v_add_co_ci_u32_e64 v10, null, -1, v87, vcc_lo
	v_mov_b32_e32 v8, v1
	v_dual_mov_b32 v2, v1 :: v_dual_mov_b32 v3, v1
	v_dual_mov_b32 v4, v1 :: v_dual_mov_b32 v5, v1
	;; [unrolled: 1-line block ×3, first 2 shown]
	v_cmp_gt_i64_e32 vcc_lo, s[4:5], v[9:10]
	s_delay_alu instid0(VALU_DEP_3) | instskip(NEXT) | instid1(VALU_DEP_3)
	v_dual_mov_b32 v17, v8 :: v_dual_mov_b32 v14, v5
	v_dual_mov_b32 v15, v6 :: v_dual_mov_b32 v16, v7
	;; [unrolled: 1-line block ×4, first 2 shown]
	v_mov_b32_e32 v9, v8
	v_mov_b32_e32 v8, v7
	;; [unrolled: 1-line block ×8, first 2 shown]
	s_and_saveexec_b32 s2, vcc_lo
	s_cbranch_execz .LBB78_60
; %bb.59:                               ;   in Loop: Header=BB78_53 Depth=1
	v_add_co_u32 v2, vcc_lo, v51, v18
	s_wait_alu 0xfffd
	v_add_co_ci_u32_e64 v3, null, v52, v19, vcc_lo
	v_add_co_u32 v4, vcc_lo, v53, v18
	s_wait_alu 0xfffd
	v_add_co_ci_u32_e64 v5, null, v54, v19, vcc_lo
	global_load_u16 v2, v[2:3], off
	global_load_u16 v10, v[4:5], off
	v_dual_mov_b32 v3, v1 :: v_dual_mov_b32 v4, v1
	v_dual_mov_b32 v5, v1 :: v_dual_mov_b32 v6, v1
	;; [unrolled: 1-line block ×6, first 2 shown]
	v_mov_b32_e32 v15, v1
	v_mov_b32_e32 v17, v1
	s_wait_loadcnt 0x1
	v_cvt_f32_f16_e32 v2, v2
	s_wait_loadcnt 0x0
	v_cvt_f32_f16_e32 v10, v10
.LBB78_60:                              ;   in Loop: Header=BB78_53 Depth=1
	s_wait_alu 0xfffe
	s_or_b32 exec_lo, exec_lo, s2
	v_add_co_u32 v89, vcc_lo, 0xffffffc2, v86
	s_wait_alu 0xfffd
	v_add_co_ci_u32_e64 v90, null, -1, v87, vcc_lo
	s_mov_b32 s2, exec_lo
	v_cmpx_gt_i64_e64 s[4:5], v[89:90]
	s_cbranch_execz .LBB78_62
; %bb.61:                               ;   in Loop: Header=BB78_53 Depth=1
	v_add_co_u32 v89, vcc_lo, v80, v18
	s_wait_alu 0xfffd
	v_add_co_ci_u32_e64 v90, null, v81, v19, vcc_lo
	v_add_co_u32 v91, vcc_lo, v82, v18
	s_wait_alu 0xfffd
	v_add_co_ci_u32_e64 v92, null, v83, v19, vcc_lo
	global_load_u16 v3, v[89:90], off
	global_load_u16 v11, v[91:92], off
	s_wait_loadcnt 0x1
	v_cvt_f32_f16_e32 v3, v3
	s_wait_loadcnt 0x0
	v_cvt_f32_f16_e32 v11, v11
.LBB78_62:                              ;   in Loop: Header=BB78_53 Depth=1
	s_wait_alu 0xfffe
	s_or_b32 exec_lo, exec_lo, s2
	v_add_co_u32 v89, vcc_lo, 0xffffffc3, v86
	s_wait_alu 0xfffd
	v_add_co_ci_u32_e64 v90, null, -1, v87, vcc_lo
	s_mov_b32 s2, exec_lo
	v_cmpx_gt_i64_e64 s[4:5], v[89:90]
	s_cbranch_execz .LBB78_64
; %bb.63:                               ;   in Loop: Header=BB78_53 Depth=1
	v_add_co_u32 v89, vcc_lo, v76, v18
	s_wait_alu 0xfffd
	v_add_co_ci_u32_e64 v90, null, v77, v19, vcc_lo
	v_add_co_u32 v91, vcc_lo, v78, v18
	s_wait_alu 0xfffd
	v_add_co_ci_u32_e64 v92, null, v79, v19, vcc_lo
	global_load_u16 v4, v[89:90], off
	global_load_u16 v12, v[91:92], off
	s_wait_loadcnt 0x1
	v_cvt_f32_f16_e32 v4, v4
	s_wait_loadcnt 0x0
	v_cvt_f32_f16_e32 v12, v12
.LBB78_64:                              ;   in Loop: Header=BB78_53 Depth=1
	;; [unrolled: 22-line block ×7, first 2 shown]
	s_wait_alu 0xfffe
	s_or_b32 exec_lo, exec_lo, s2
	s_wait_loadcnt 0x1
	ds_bpermute_b32 v90, v1, v55
	s_wait_loadcnt 0x0
	ds_bpermute_b32 v89, v1, v88
	s_mov_b32 s2, 0
	s_wait_dscnt 0x1
	v_sub_f32_e32 v10, v10, v90
	ds_bpermute_b32 v90, v1, v55 offset:4
	s_wait_dscnt 0x0
	v_sub_f32_e32 v11, v11, v90
	s_delay_alu instid0(VALU_DEP_1) | instskip(NEXT) | instid1(VALU_DEP_1)
	v_dual_mul_f32 v11, v3, v11 :: v_dual_mul_f32 v10, v2, v10
	v_fma_f32 v10, v10, v89, v84
	ds_bpermute_b32 v89, v1, v88 offset:4
	s_wait_dscnt 0x0
	v_fmac_f32_e32 v10, v11, v89
	ds_bpermute_b32 v11, v1, v55 offset:8
	s_wait_dscnt 0x0
	v_dual_sub_f32 v11, v12, v11 :: v_dual_add_f32 v2, v85, v2
	s_delay_alu instid0(VALU_DEP_1) | instskip(SKIP_4) | instid1(VALU_DEP_1)
	v_dual_mul_f32 v11, v4, v11 :: v_dual_add_f32 v2, v3, v2
	ds_bpermute_b32 v3, v1, v88 offset:8
	v_add_f32_e32 v2, v4, v2
	ds_bpermute_b32 v4, v1, v55 offset:12
	v_add_f32_e32 v2, v5, v2
	v_add_f32_e32 v2, v6, v2
	s_delay_alu instid0(VALU_DEP_1)
	v_add_f32_e32 v2, v7, v2
	s_wait_dscnt 0x1
	v_fmac_f32_e32 v10, v11, v3
	ds_bpermute_b32 v3, v1, v88 offset:12
	v_add_f32_e32 v2, v8, v2
	s_wait_dscnt 0x1
	v_sub_f32_e32 v4, v13, v4
	s_delay_alu instid0(VALU_DEP_1) | instskip(SKIP_1) | instid1(VALU_DEP_1)
	v_mul_f32_e32 v4, v5, v4
	s_wait_dscnt 0x0
	v_fmac_f32_e32 v10, v4, v3
	ds_bpermute_b32 v4, v1, v55 offset:16
	ds_bpermute_b32 v3, v1, v88 offset:16
	s_wait_dscnt 0x1
	v_sub_f32_e32 v4, v14, v4
	s_delay_alu instid0(VALU_DEP_1) | instskip(SKIP_1) | instid1(VALU_DEP_1)
	v_mul_f32_e32 v4, v6, v4
	s_wait_dscnt 0x0
	v_fmac_f32_e32 v10, v4, v3
	ds_bpermute_b32 v4, v1, v55 offset:20
	ds_bpermute_b32 v3, v1, v88 offset:20
	s_wait_dscnt 0x1
	v_sub_f32_e32 v4, v15, v4
	s_delay_alu instid0(VALU_DEP_1) | instskip(SKIP_1) | instid1(VALU_DEP_1)
	v_mul_f32_e32 v4, v7, v4
	s_wait_dscnt 0x0
	v_fmac_f32_e32 v10, v4, v3
	ds_bpermute_b32 v4, v1, v55 offset:24
	ds_bpermute_b32 v3, v1, v88 offset:24
	s_wait_dscnt 0x1
	v_sub_f32_e32 v4, v16, v4
	s_delay_alu instid0(VALU_DEP_1) | instskip(SKIP_1) | instid1(VALU_DEP_1)
	v_mul_f32_e32 v4, v8, v4
	s_wait_dscnt 0x0
	v_fmac_f32_e32 v10, v4, v3
	ds_bpermute_b32 v4, v1, v55 offset:28
	ds_bpermute_b32 v3, v1, v88 offset:28
	v_add_f32_e32 v55, v9, v2
	s_wait_dscnt 0x1
	v_sub_f32_e32 v4, v17, v4
	s_delay_alu instid0(VALU_DEP_1) | instskip(SKIP_1) | instid1(VALU_DEP_1)
	v_mul_f32_e32 v4, v9, v4
	s_wait_dscnt 0x0
	v_fmac_f32_e32 v10, v4, v3
.LBB78_75:                              ;   in Loop: Header=BB78_53 Depth=1
	s_wait_alu 0xfffe
	s_and_b32 vcc_lo, exec_lo, s2
	s_wait_alu 0xfffe
	s_cbranch_vccz .LBB78_81
; %bb.76:                               ;   in Loop: Header=BB78_53 Depth=1
	s_load_b32 s2, s[8:9], 0x0
	v_dual_mov_b32 v4, 0 :: v_dual_mov_b32 v5, 0
	s_wait_kmcnt 0x0
	s_cmp_lt_u32 ttmp9, s2
	s_cselect_b32 s2, 12, 18
	s_wait_alu 0xfffe
	s_add_nc_u64 s[22:23], s[8:9], s[2:3]
	s_load_u16 s2, s[22:23], 0x0
	s_wait_kmcnt 0x0
	v_mad_u32_u24 v2, v48, s2, v50
	s_mov_b32 s2, exec_lo
	s_delay_alu instid0(VALU_DEP_1) | instskip(NEXT) | instid1(VALU_DEP_1)
	v_and_b32_e32 v2, 31, v2
	v_cmpx_gt_u32_e32 8, v2
	s_cbranch_execz .LBB78_80
; %bb.77:                               ;   in Loop: Header=BB78_53 Depth=1
	v_add_co_u32 v2, vcc_lo, v86, v2
	s_wait_alu 0xfffd
	v_add_co_ci_u32_e64 v3, null, 0, v87, vcc_lo
	v_dual_mov_b32 v4, 0 :: v_dual_mov_b32 v5, 0
	s_delay_alu instid0(VALU_DEP_3) | instskip(SKIP_1) | instid1(VALU_DEP_3)
	v_add_co_u32 v2, vcc_lo, 0xffffffc1, v2
	s_wait_alu 0xfffd
	v_add_co_ci_u32_e64 v3, null, -1, v3, vcc_lo
	s_mov_b32 s22, exec_lo
	v_cmpx_gt_i64_e64 s[4:5], v[2:3]
	s_cbranch_execz .LBB78_79
; %bb.78:                               ;   in Loop: Header=BB78_53 Depth=1
	v_lshlrev_b64_e32 v[2:3], 2, v[2:3]
	s_delay_alu instid0(VALU_DEP_1) | instskip(SKIP_1) | instid1(VALU_DEP_2)
	v_add_co_u32 v4, vcc_lo, s12, v2
	s_wait_alu 0xfffd
	v_add_co_ci_u32_e64 v5, null, s13, v3, vcc_lo
	v_add_co_u32 v2, vcc_lo, s14, v2
	s_wait_alu 0xfffd
	v_add_co_ci_u32_e64 v3, null, s15, v3, vcc_lo
	global_load_b32 v4, v[4:5], off
	global_load_b32 v5, v[2:3], off
.LBB78_79:                              ;   in Loop: Header=BB78_53 Depth=1
	s_wait_alu 0xfffe
	s_or_b32 exec_lo, exec_lo, s22
.LBB78_80:                              ;   in Loop: Header=BB78_53 Depth=1
	s_wait_alu 0xfffe
	s_or_b32 exec_lo, exec_lo, s2
	v_add_co_u32 v2, vcc_lo, v51, v18
	s_wait_alu 0xfffd
	v_add_co_ci_u32_e64 v3, null, v52, v19, vcc_lo
	s_wait_loadcnt 0x1
	ds_bpermute_b32 v88, v1, v4
	global_load_u16 v2, v[2:3], off
	s_wait_loadcnt 0x0
	v_cvt_f32_f16_e32 v6, v2
	v_add_co_u32 v2, vcc_lo, v53, v18
	s_wait_alu 0xfffd
	v_add_co_ci_u32_e64 v3, null, v54, v19, vcc_lo
	global_load_u16 v2, v[2:3], off
	s_wait_loadcnt 0x0
	v_cvt_f32_f16_e32 v7, v2
	v_add_co_u32 v2, vcc_lo, v20, v18
	s_wait_alu 0xfffd
	v_add_co_ci_u32_e64 v3, null, v21, v19, vcc_lo
	;; [unrolled: 6-line block ×15, first 2 shown]
	s_wait_dscnt 0x0
	v_sub_f32_e32 v7, v7, v88
	global_load_u16 v2, v[2:3], off
	ds_bpermute_b32 v3, v1, v5
	s_wait_loadcnt 0x0
	v_cvt_f32_f16_e32 v2, v2
	v_mul_f32_e32 v7, v7, v6
	s_wait_dscnt 0x0
	s_delay_alu instid0(VALU_DEP_1) | instskip(SKIP_3) | instid1(VALU_DEP_1)
	v_dual_fmac_f32 v84, v7, v3 :: v_dual_add_f32 v3, v85, v6
	ds_bpermute_b32 v7, v1, v4 offset:4
	ds_bpermute_b32 v6, v1, v5 offset:4
	v_add_f32_e32 v3, v3, v8
	v_add_f32_e32 v3, v3, v10
	s_delay_alu instid0(VALU_DEP_1) | instskip(NEXT) | instid1(VALU_DEP_1)
	v_add_f32_e32 v3, v3, v12
	v_add_f32_e32 v3, v3, v14
	s_wait_dscnt 0x1
	v_sub_f32_e32 v7, v9, v7
	s_delay_alu instid0(VALU_DEP_2) | instskip(NEXT) | instid1(VALU_DEP_2)
	v_add_f32_e32 v3, v3, v16
	v_mul_f32_e32 v7, v7, v8
	s_delay_alu instid0(VALU_DEP_2) | instskip(SKIP_1) | instid1(VALU_DEP_2)
	v_add_f32_e32 v3, v3, v55
	s_wait_dscnt 0x0
	v_fmac_f32_e32 v84, v7, v6
	ds_bpermute_b32 v7, v1, v4 offset:8
	ds_bpermute_b32 v6, v1, v5 offset:8
	s_wait_dscnt 0x1
	v_sub_f32_e32 v7, v11, v7
	s_delay_alu instid0(VALU_DEP_1) | instskip(SKIP_1) | instid1(VALU_DEP_1)
	v_mul_f32_e32 v7, v7, v10
	s_wait_dscnt 0x0
	v_fmac_f32_e32 v84, v7, v6
	ds_bpermute_b32 v7, v1, v4 offset:12
	ds_bpermute_b32 v6, v1, v5 offset:12
	s_wait_dscnt 0x1
	v_sub_f32_e32 v7, v13, v7
	s_delay_alu instid0(VALU_DEP_1) | instskip(SKIP_1) | instid1(VALU_DEP_1)
	v_mul_f32_e32 v7, v7, v12
	;; [unrolled: 8-line block ×4, first 2 shown]
	s_wait_dscnt 0x0
	v_fmac_f32_e32 v84, v7, v6
	ds_bpermute_b32 v7, v1, v4 offset:24
	ds_bpermute_b32 v4, v1, v4 offset:28
	;; [unrolled: 1-line block ×4, first 2 shown]
	s_wait_dscnt 0x3
	v_sub_f32_e32 v7, v86, v7
	s_wait_dscnt 0x2
	s_delay_alu instid0(VALU_DEP_1) | instskip(NEXT) | instid1(VALU_DEP_1)
	v_dual_sub_f32 v2, v2, v4 :: v_dual_mul_f32 v7, v7, v55
	v_mul_f32_e32 v2, v2, v87
	v_add_f32_e32 v55, v3, v87
	s_wait_dscnt 0x1
	s_delay_alu instid0(VALU_DEP_3) | instskip(SKIP_1) | instid1(VALU_DEP_1)
	v_fmac_f32_e32 v84, v7, v6
	s_wait_dscnt 0x0
	v_fmac_f32_e32 v84, v2, v5
	s_delay_alu instid0(VALU_DEP_1)
	v_mov_b32_e32 v10, v84
.LBB78_81:                              ;   in Loop: Header=BB78_53 Depth=1
	v_add_co_u32 v51, vcc_lo, v51, s10
	s_wait_alu 0xfffd
	v_add_co_ci_u32_e64 v52, null, s11, v52, vcc_lo
	v_add_co_u32 v53, vcc_lo, v53, s10
	s_wait_alu 0xfffd
	v_add_co_ci_u32_e64 v54, null, s11, v54, vcc_lo
	;; [unrolled: 3-line block ×27, first 2 shown]
	v_add_co_u32 v78, vcc_lo, v78, s10
	s_add_nc_u64 s[16:17], s[16:17], s[18:19]
	s_wait_alu 0xfffd
	v_add_co_ci_u32_e64 v79, null, s11, v79, vcc_lo
	v_add_co_u32 v80, vcc_lo, v80, s10
	s_wait_alu 0xfffe
	v_cmp_ge_i64_e64 s2, s[16:17], s[4:5]
	s_wait_alu 0xfffd
	v_add_co_ci_u32_e64 v81, null, s11, v81, vcc_lo
	v_add_co_u32 v82, vcc_lo, v82, s10
	s_wait_alu 0xfffd
	v_add_co_ci_u32_e64 v83, null, s11, v83, vcc_lo
	s_and_b32 vcc_lo, exec_lo, s2
	s_add_nc_u64 s[20:21], s[20:21], s[18:19]
	s_wait_alu 0xfffe
	s_cbranch_vccnz .LBB78_83
; %bb.82:                               ;   in Loop: Header=BB78_53 Depth=1
	v_dual_mov_b32 v85, v55 :: v_dual_mov_b32 v84, v10
	s_branch .LBB78_53
.LBB78_83:
	v_and_b32_e32 v8, 0x3ff, v0
	v_bfe_u32 v0, v0, 10, 10
	s_mov_b32 s2, exec_lo
	s_delay_alu instid0(VALU_DEP_1) | instskip(NEXT) | instid1(VALU_DEP_1)
	v_mad_u32_u24 v1, 0x41, v0, v8
	v_lshl_add_u32 v2, v1, 2, 0
	v_sub_nc_u32_e32 v3, v1, v0
	ds_store_b32 v2, v10
	ds_store_b32 v2, v55 offset:2080
	s_wait_dscnt 0x0
	s_barrier_signal -1
	s_barrier_wait -1
	global_inv scope:SCOPE_SE
	v_cmpx_gt_u32_e32 0x800, v3
	s_cbranch_execz .LBB78_115
; %bb.84:
	s_load_b128 s[8:11], s[0:1], 0x30
	v_and_b32_e32 v0, 31, v8
	v_lshrrev_b32_e32 v2, 5, v3
                                        ; implicit-def: $vgpr1
	s_delay_alu instid0(VALU_DEP_2)
	v_cmp_gt_u32_e64 s0, 8, v0
	v_mul_u32_u24_e32 v4, 0x41, v0
                                        ; implicit-def: $vgpr0
	s_and_saveexec_b32 s1, s0
	s_cbranch_execz .LBB78_86
; %bb.85:
	s_delay_alu instid0(VALU_DEP_1) | instskip(NEXT) | instid1(VALU_DEP_1)
	v_add_nc_u32_e32 v0, v2, v4
	v_lshl_add_u32 v0, v0, 2, 0
	ds_load_b32 v1, v0
	ds_load_b32 v0, v0 offset:2080
.LBB78_86:
	s_or_b32 exec_lo, exec_lo, s1
	v_mbcnt_lo_u32_b32 v7, -1, 0
	s_mov_b32 s2, ttmp9
	s_mov_b32 s3, 0
	v_cmp_eq_u32_e64 s1, 0, v8
	s_wait_alu 0xfffe
	s_lshl_b64 s[2:3], s[2:3], 6
	v_xor_b32_e32 v5, 4, v7
	v_xor_b32_e32 v6, 2, v7
	;; [unrolled: 1-line block ×3, first 2 shown]
	s_wait_kmcnt 0x0
	s_cmp_lg_u64 s[8:9], 0
	s_cselect_b32 s5, -1, 0
	v_cmp_gt_i32_e32 vcc_lo, 32, v5
	s_cmp_lg_u64 s[10:11], 0
	s_cselect_b32 s4, -1, 0
	s_wait_alu 0xfffd
	v_cndmask_b32_e32 v5, v7, v5, vcc_lo
	v_cmp_gt_i32_e32 vcc_lo, 32, v6
	s_wait_alu 0xfffd
	v_cndmask_b32_e32 v6, v7, v6, vcc_lo
	v_cmp_gt_i32_e32 vcc_lo, 32, v11
	s_delay_alu instid0(VALU_DEP_2)
	v_lshlrev_b32_e32 v6, 2, v6
	v_lshlrev_b32_e32 v5, 2, v5
	s_wait_dscnt 0x0
	ds_bpermute_b32 v10, v5, v0
	s_wait_dscnt 0x0
	v_add_f32_e32 v0, v0, v10
	ds_bpermute_b32 v9, v5, v1
	ds_bpermute_b32 v10, v6, v0
	s_wait_alu 0xfffd
	v_cndmask_b32_e32 v7, v7, v11, vcc_lo
	s_wait_dscnt 0x0
	v_dual_add_f32 v1, v1, v9 :: v_dual_add_f32 v10, v0, v10
	ds_bpermute_b32 v9, v6, v1
	v_lshlrev_b32_e32 v7, 2, v7
	s_wait_alu 0xfffe
	v_or_b32_e32 v0, s2, v2
	ds_bpermute_b32 v12, v7, v10
	s_wait_dscnt 0x1
	v_add_f32_e32 v9, v1, v9
	ds_bpermute_b32 v11, v7, v9
	s_wait_dscnt 0x0
	v_dual_mov_b32 v1, s3 :: v_dual_add_f32 v8, v9, v11
	s_delay_alu instid0(VALU_DEP_1)
	v_cmp_gt_i64_e32 vcc_lo, s[6:7], v[0:1]
	v_add_f32_e32 v9, v10, v12
	s_and_b32 s13, s1, vcc_lo
	s_wait_alu 0xfffe
	s_and_saveexec_b32 s12, s13
	s_cbranch_execz .LBB78_91
; %bb.87:
	v_lshlrev_b64_e32 v[0:1], 1, v[0:1]
	s_and_not1_b32 vcc_lo, exec_lo, s5
	s_wait_alu 0xfffe
	s_cbranch_vccnz .LBB78_89
; %bb.88:
	s_delay_alu instid0(VALU_DEP_1)
	v_add_co_u32 v10, vcc_lo, s8, v0
	s_wait_alu 0xfffd
	v_add_co_ci_u32_e64 v11, null, s9, v1, vcc_lo
	v_cvt_f16_f32_e32 v12, v8
	global_store_b16 v[10:11], v12, off
.LBB78_89:
	s_and_not1_b32 vcc_lo, exec_lo, s4
	s_wait_alu 0xfffe
	s_cbranch_vccnz .LBB78_91
; %bb.90:
	v_add_co_u32 v0, vcc_lo, s10, v0
	s_wait_alu 0xfffd
	v_add_co_ci_u32_e64 v1, null, s11, v1, vcc_lo
	v_cvt_f16_f32_e32 v10, v9
	global_store_b16 v[0:1], v10, off
.LBB78_91:
	s_wait_alu 0xfffe
	s_or_b32 exec_lo, exec_lo, s12
	v_cmp_gt_u32_e32 vcc_lo, 0x600, v3
	s_and_b32 exec_lo, exec_lo, vcc_lo
	s_cbranch_execz .LBB78_115
; %bb.92:
	s_and_saveexec_b32 s12, s0
	s_cbranch_execz .LBB78_94
; %bb.93:
	v_add_nc_u32_e32 v0, v2, v4
	s_delay_alu instid0(VALU_DEP_1)
	v_lshl_add_u32 v0, v0, 2, 0
	ds_load_b32 v8, v0 offset:64
	ds_load_b32 v9, v0 offset:2144
.LBB78_94:
	s_wait_alu 0xfffe
	s_or_b32 exec_lo, exec_lo, s12
	s_wait_dscnt 0x1
	ds_bpermute_b32 v0, v5, v8
	s_wait_dscnt 0x1
	ds_bpermute_b32 v1, v5, v9
	s_wait_dscnt 0x0
	v_dual_add_f32 v0, v8, v0 :: v_dual_add_f32 v1, v9, v1
	ds_bpermute_b32 v8, v6, v0
	ds_bpermute_b32 v9, v6, v1
	s_wait_dscnt 0x0
	v_dual_add_f32 v8, v0, v8 :: v_dual_add_f32 v9, v1, v9
	ds_bpermute_b32 v10, v7, v8
	ds_bpermute_b32 v11, v7, v9
	v_add_nc_u32_e32 v0, 16, v2
	s_delay_alu instid0(VALU_DEP_1) | instskip(SKIP_2) | instid1(VALU_DEP_1)
	v_add_co_u32 v0, s12, s2, v0
	s_wait_alu 0xf1ff
	v_add_co_ci_u32_e64 v1, null, s3, 0, s12
	v_cmp_gt_i64_e32 vcc_lo, s[6:7], v[0:1]
	s_and_b32 s13, s1, vcc_lo
	s_wait_dscnt 0x0
	v_dual_add_f32 v0, v8, v10 :: v_dual_add_f32 v1, v9, v11
	s_wait_alu 0xfffe
	s_and_saveexec_b32 s12, s13
	s_cbranch_execz .LBB78_99
; %bb.95:
	s_and_not1_b32 vcc_lo, exec_lo, s5
	s_wait_alu 0xfffe
	s_cbranch_vccnz .LBB78_97
; %bb.96:
	v_add_co_u32 v8, s13, s2, v2
	s_wait_alu 0xf1ff
	v_add_co_ci_u32_e64 v9, null, s3, 0, s13
	v_cvt_f16_f32_e32 v10, v0
	s_delay_alu instid0(VALU_DEP_2) | instskip(NEXT) | instid1(VALU_DEP_1)
	v_lshlrev_b64_e32 v[8:9], 1, v[8:9]
	v_add_co_u32 v8, vcc_lo, s8, v8
	s_wait_alu 0xfffd
	s_delay_alu instid0(VALU_DEP_2)
	v_add_co_ci_u32_e64 v9, null, s9, v9, vcc_lo
	global_store_b16 v[8:9], v10, off offset:32
.LBB78_97:
	s_and_not1_b32 vcc_lo, exec_lo, s4
	s_wait_alu 0xfffe
	s_cbranch_vccnz .LBB78_99
; %bb.98:
	v_add_co_u32 v8, s13, s2, v2
	s_wait_alu 0xf1ff
	v_add_co_ci_u32_e64 v9, null, s3, 0, s13
	v_cvt_f16_f32_e32 v10, v1
	s_delay_alu instid0(VALU_DEP_2) | instskip(NEXT) | instid1(VALU_DEP_1)
	v_lshlrev_b64_e32 v[8:9], 1, v[8:9]
	v_add_co_u32 v8, vcc_lo, s10, v8
	s_wait_alu 0xfffd
	s_delay_alu instid0(VALU_DEP_2)
	v_add_co_ci_u32_e64 v9, null, s11, v9, vcc_lo
	global_store_b16 v[8:9], v10, off offset:32
.LBB78_99:
	s_wait_alu 0xfffe
	s_or_b32 exec_lo, exec_lo, s12
	v_cmp_gt_u32_e32 vcc_lo, 0x400, v3
	s_and_b32 exec_lo, exec_lo, vcc_lo
	s_cbranch_execz .LBB78_115
; %bb.100:
	s_and_saveexec_b32 s12, s0
	s_cbranch_execz .LBB78_102
; %bb.101:
	v_add_nc_u32_e32 v0, v2, v4
	s_delay_alu instid0(VALU_DEP_1)
	v_lshl_add_u32 v1, v0, 2, 0
	ds_load_b32 v0, v1 offset:128
	ds_load_b32 v1, v1 offset:2208
.LBB78_102:
	s_wait_alu 0xfffe
	s_or_b32 exec_lo, exec_lo, s12
	s_wait_dscnt 0x1
	ds_bpermute_b32 v8, v5, v0
	s_wait_dscnt 0x1
	ds_bpermute_b32 v9, v5, v1
	s_wait_dscnt 0x0
	v_dual_add_f32 v0, v0, v8 :: v_dual_add_f32 v1, v1, v9
	ds_bpermute_b32 v8, v6, v0
	ds_bpermute_b32 v9, v6, v1
	s_wait_dscnt 0x0
	v_dual_add_f32 v8, v0, v8 :: v_dual_add_f32 v9, v1, v9
	v_dual_mov_b32 v1, s3 :: v_dual_add_nc_u32 v0, 32, v2
	ds_bpermute_b32 v10, v7, v8
	ds_bpermute_b32 v11, v7, v9
	v_or_b32_e32 v0, s2, v0
	s_delay_alu instid0(VALU_DEP_1)
	v_cmp_gt_i64_e32 vcc_lo, s[6:7], v[0:1]
	s_and_b32 s13, s1, vcc_lo
	s_wait_dscnt 0x0
	v_dual_add_f32 v0, v8, v10 :: v_dual_add_f32 v1, v9, v11
	s_wait_alu 0xfffe
	s_and_saveexec_b32 s12, s13
	s_cbranch_execz .LBB78_107
; %bb.103:
	s_and_not1_b32 vcc_lo, exec_lo, s5
	s_wait_alu 0xfffe
	s_cbranch_vccnz .LBB78_105
; %bb.104:
	v_add_co_u32 v8, s13, s2, v2
	s_wait_alu 0xf1ff
	v_add_co_ci_u32_e64 v9, null, s3, 0, s13
	v_cvt_f16_f32_e32 v10, v0
	s_delay_alu instid0(VALU_DEP_2) | instskip(NEXT) | instid1(VALU_DEP_1)
	v_lshlrev_b64_e32 v[8:9], 1, v[8:9]
	v_add_co_u32 v8, vcc_lo, s8, v8
	s_wait_alu 0xfffd
	s_delay_alu instid0(VALU_DEP_2)
	v_add_co_ci_u32_e64 v9, null, s9, v9, vcc_lo
	global_store_b16 v[8:9], v10, off offset:64
.LBB78_105:
	s_and_not1_b32 vcc_lo, exec_lo, s4
	s_wait_alu 0xfffe
	s_cbranch_vccnz .LBB78_107
; %bb.106:
	v_add_co_u32 v8, s13, s2, v2
	s_wait_alu 0xf1ff
	v_add_co_ci_u32_e64 v9, null, s3, 0, s13
	v_cvt_f16_f32_e32 v10, v1
	s_delay_alu instid0(VALU_DEP_2) | instskip(NEXT) | instid1(VALU_DEP_1)
	v_lshlrev_b64_e32 v[8:9], 1, v[8:9]
	v_add_co_u32 v8, vcc_lo, s10, v8
	s_wait_alu 0xfffd
	s_delay_alu instid0(VALU_DEP_2)
	v_add_co_ci_u32_e64 v9, null, s11, v9, vcc_lo
	global_store_b16 v[8:9], v10, off offset:64
.LBB78_107:
	s_wait_alu 0xfffe
	s_or_b32 exec_lo, exec_lo, s12
	v_cmp_gt_u32_e32 vcc_lo, 0x200, v3
	s_and_b32 exec_lo, exec_lo, vcc_lo
	s_cbranch_execz .LBB78_115
; %bb.108:
	s_and_saveexec_b32 s12, s0
	s_cbranch_execz .LBB78_110
; %bb.109:
	v_add_nc_u32_e32 v0, v2, v4
	s_delay_alu instid0(VALU_DEP_1)
	v_lshl_add_u32 v1, v0, 2, 0
	ds_load_b32 v0, v1 offset:192
	ds_load_b32 v1, v1 offset:2272
.LBB78_110:
	s_wait_alu 0xfffe
	s_or_b32 exec_lo, exec_lo, s12
	s_wait_dscnt 0x1
	ds_bpermute_b32 v3, v5, v0
	s_wait_dscnt 0x1
	ds_bpermute_b32 v4, v5, v1
	s_wait_dscnt 0x1
	v_dual_add_f32 v0, v0, v3 :: v_dual_add_nc_u32 v5, 48, v2
	s_wait_dscnt 0x0
	v_add_f32_e32 v1, v1, v4
	ds_bpermute_b32 v3, v6, v0
	ds_bpermute_b32 v4, v6, v1
	v_mov_b32_e32 v6, s3
	v_or_b32_e32 v5, s2, v5
	s_delay_alu instid0(VALU_DEP_1)
	v_cmp_gt_i64_e32 vcc_lo, s[6:7], v[5:6]
	s_and_b32 s0, s1, vcc_lo
	s_wait_dscnt 0x0
	v_dual_add_f32 v3, v0, v3 :: v_dual_add_f32 v0, v1, v4
	ds_bpermute_b32 v4, v7, v3
	ds_bpermute_b32 v1, v7, v0
	s_and_b32 exec_lo, exec_lo, s0
	s_cbranch_execz .LBB78_115
; %bb.111:
	s_and_not1_b32 vcc_lo, exec_lo, s5
	s_wait_alu 0xfffe
	s_cbranch_vccnz .LBB78_113
; %bb.112:
	v_add_co_u32 v5, s0, s2, v2
	s_delay_alu instid0(VALU_DEP_1) | instskip(SKIP_2) | instid1(VALU_DEP_2)
	v_add_co_ci_u32_e64 v6, null, s3, 0, s0
	s_wait_dscnt 0x1
	v_add_f32_e32 v7, v3, v4
	v_lshlrev_b64_e32 v[5:6], 1, v[5:6]
	s_delay_alu instid0(VALU_DEP_1) | instskip(SKIP_1) | instid1(VALU_DEP_2)
	v_add_co_u32 v3, vcc_lo, s8, v5
	s_wait_alu 0xfffd
	v_add_co_ci_u32_e64 v4, null, s9, v6, vcc_lo
	v_cvt_f16_f32_e32 v5, v7
	global_store_b16 v[3:4], v5, off offset:96
.LBB78_113:
	s_and_not1_b32 vcc_lo, exec_lo, s4
	s_wait_alu 0xfffe
	s_cbranch_vccnz .LBB78_115
; %bb.114:
	v_add_co_u32 v2, s0, s2, v2
	s_wait_alu 0xf1ff
	v_add_co_ci_u32_e64 v3, null, s3, 0, s0
	s_wait_dscnt 0x0
	v_add_f32_e32 v4, v0, v1
	s_delay_alu instid0(VALU_DEP_2) | instskip(NEXT) | instid1(VALU_DEP_1)
	v_lshlrev_b64_e32 v[2:3], 1, v[2:3]
	v_add_co_u32 v0, vcc_lo, s10, v2
	s_wait_alu 0xfffd
	s_delay_alu instid0(VALU_DEP_2)
	v_add_co_ci_u32_e64 v1, null, s11, v3, vcc_lo
	v_cvt_f16_f32_e32 v2, v4
	global_store_b16 v[0:1], v2, off offset:96
.LBB78_115:
	s_endpgm
	.section	.rodata,"a",@progbits
	.p2align	6, 0x0
	.amdhsa_kernel _ZN2at6native12_GLOBAL__N_135GammaBetaBackwardCUDAKernelTemplateIN3c104HalfEfLj64ELj8ELj64ELb0ELb0ELb0EEEvllPKT_S7_PKT0_SA_PS5_SB_
		.amdhsa_group_segment_fixed_size 0
		.amdhsa_private_segment_fixed_size 0
		.amdhsa_kernarg_size 320
		.amdhsa_user_sgpr_count 2
		.amdhsa_user_sgpr_dispatch_ptr 0
		.amdhsa_user_sgpr_queue_ptr 0
		.amdhsa_user_sgpr_kernarg_segment_ptr 1
		.amdhsa_user_sgpr_dispatch_id 0
		.amdhsa_user_sgpr_private_segment_size 0
		.amdhsa_wavefront_size32 1
		.amdhsa_uses_dynamic_stack 0
		.amdhsa_enable_private_segment 0
		.amdhsa_system_sgpr_workgroup_id_x 1
		.amdhsa_system_sgpr_workgroup_id_y 1
		.amdhsa_system_sgpr_workgroup_id_z 0
		.amdhsa_system_sgpr_workgroup_info 0
		.amdhsa_system_vgpr_workitem_id 1
		.amdhsa_next_free_vgpr 93
		.amdhsa_next_free_sgpr 36
		.amdhsa_reserve_vcc 1
		.amdhsa_float_round_mode_32 0
		.amdhsa_float_round_mode_16_64 0
		.amdhsa_float_denorm_mode_32 3
		.amdhsa_float_denorm_mode_16_64 3
		.amdhsa_fp16_overflow 0
		.amdhsa_workgroup_processor_mode 1
		.amdhsa_memory_ordered 1
		.amdhsa_forward_progress 1
		.amdhsa_inst_pref_size 90
		.amdhsa_round_robin_scheduling 0
		.amdhsa_exception_fp_ieee_invalid_op 0
		.amdhsa_exception_fp_denorm_src 0
		.amdhsa_exception_fp_ieee_div_zero 0
		.amdhsa_exception_fp_ieee_overflow 0
		.amdhsa_exception_fp_ieee_underflow 0
		.amdhsa_exception_fp_ieee_inexact 0
		.amdhsa_exception_int_div_zero 0
	.end_amdhsa_kernel
	.section	.text._ZN2at6native12_GLOBAL__N_135GammaBetaBackwardCUDAKernelTemplateIN3c104HalfEfLj64ELj8ELj64ELb0ELb0ELb0EEEvllPKT_S7_PKT0_SA_PS5_SB_,"axG",@progbits,_ZN2at6native12_GLOBAL__N_135GammaBetaBackwardCUDAKernelTemplateIN3c104HalfEfLj64ELj8ELj64ELb0ELb0ELb0EEEvllPKT_S7_PKT0_SA_PS5_SB_,comdat
.Lfunc_end78:
	.size	_ZN2at6native12_GLOBAL__N_135GammaBetaBackwardCUDAKernelTemplateIN3c104HalfEfLj64ELj8ELj64ELb0ELb0ELb0EEEvllPKT_S7_PKT0_SA_PS5_SB_, .Lfunc_end78-_ZN2at6native12_GLOBAL__N_135GammaBetaBackwardCUDAKernelTemplateIN3c104HalfEfLj64ELj8ELj64ELb0ELb0ELb0EEEvllPKT_S7_PKT0_SA_PS5_SB_
                                        ; -- End function
	.set _ZN2at6native12_GLOBAL__N_135GammaBetaBackwardCUDAKernelTemplateIN3c104HalfEfLj64ELj8ELj64ELb0ELb0ELb0EEEvllPKT_S7_PKT0_SA_PS5_SB_.num_vgpr, 93
	.set _ZN2at6native12_GLOBAL__N_135GammaBetaBackwardCUDAKernelTemplateIN3c104HalfEfLj64ELj8ELj64ELb0ELb0ELb0EEEvllPKT_S7_PKT0_SA_PS5_SB_.num_agpr, 0
	.set _ZN2at6native12_GLOBAL__N_135GammaBetaBackwardCUDAKernelTemplateIN3c104HalfEfLj64ELj8ELj64ELb0ELb0ELb0EEEvllPKT_S7_PKT0_SA_PS5_SB_.numbered_sgpr, 36
	.set _ZN2at6native12_GLOBAL__N_135GammaBetaBackwardCUDAKernelTemplateIN3c104HalfEfLj64ELj8ELj64ELb0ELb0ELb0EEEvllPKT_S7_PKT0_SA_PS5_SB_.num_named_barrier, 0
	.set _ZN2at6native12_GLOBAL__N_135GammaBetaBackwardCUDAKernelTemplateIN3c104HalfEfLj64ELj8ELj64ELb0ELb0ELb0EEEvllPKT_S7_PKT0_SA_PS5_SB_.private_seg_size, 0
	.set _ZN2at6native12_GLOBAL__N_135GammaBetaBackwardCUDAKernelTemplateIN3c104HalfEfLj64ELj8ELj64ELb0ELb0ELb0EEEvllPKT_S7_PKT0_SA_PS5_SB_.uses_vcc, 1
	.set _ZN2at6native12_GLOBAL__N_135GammaBetaBackwardCUDAKernelTemplateIN3c104HalfEfLj64ELj8ELj64ELb0ELb0ELb0EEEvllPKT_S7_PKT0_SA_PS5_SB_.uses_flat_scratch, 0
	.set _ZN2at6native12_GLOBAL__N_135GammaBetaBackwardCUDAKernelTemplateIN3c104HalfEfLj64ELj8ELj64ELb0ELb0ELb0EEEvllPKT_S7_PKT0_SA_PS5_SB_.has_dyn_sized_stack, 0
	.set _ZN2at6native12_GLOBAL__N_135GammaBetaBackwardCUDAKernelTemplateIN3c104HalfEfLj64ELj8ELj64ELb0ELb0ELb0EEEvllPKT_S7_PKT0_SA_PS5_SB_.has_recursion, 0
	.set _ZN2at6native12_GLOBAL__N_135GammaBetaBackwardCUDAKernelTemplateIN3c104HalfEfLj64ELj8ELj64ELb0ELb0ELb0EEEvllPKT_S7_PKT0_SA_PS5_SB_.has_indirect_call, 0
	.section	.AMDGPU.csdata,"",@progbits
; Kernel info:
; codeLenInByte = 11488
; TotalNumSgprs: 38
; NumVgprs: 93
; ScratchSize: 0
; MemoryBound: 0
; FloatMode: 240
; IeeeMode: 1
; LDSByteSize: 0 bytes/workgroup (compile time only)
; SGPRBlocks: 0
; VGPRBlocks: 11
; NumSGPRsForWavesPerEU: 38
; NumVGPRsForWavesPerEU: 93
; Occupancy: 16
; WaveLimiterHint : 0
; COMPUTE_PGM_RSRC2:SCRATCH_EN: 0
; COMPUTE_PGM_RSRC2:USER_SGPR: 2
; COMPUTE_PGM_RSRC2:TRAP_HANDLER: 0
; COMPUTE_PGM_RSRC2:TGID_X_EN: 1
; COMPUTE_PGM_RSRC2:TGID_Y_EN: 1
; COMPUTE_PGM_RSRC2:TGID_Z_EN: 0
; COMPUTE_PGM_RSRC2:TIDIG_COMP_CNT: 1
	.section	.text._ZN2at6native12_GLOBAL__N_135GammaBetaBackwardCUDAKernelTemplateIN3c104HalfEfLj64ELj16ELj128ELb0ELb1ELb0EEEvllPKT_S7_PKT0_SA_PS5_SB_,"axG",@progbits,_ZN2at6native12_GLOBAL__N_135GammaBetaBackwardCUDAKernelTemplateIN3c104HalfEfLj64ELj16ELj128ELb0ELb1ELb0EEEvllPKT_S7_PKT0_SA_PS5_SB_,comdat
	.globl	_ZN2at6native12_GLOBAL__N_135GammaBetaBackwardCUDAKernelTemplateIN3c104HalfEfLj64ELj16ELj128ELb0ELb1ELb0EEEvllPKT_S7_PKT0_SA_PS5_SB_ ; -- Begin function _ZN2at6native12_GLOBAL__N_135GammaBetaBackwardCUDAKernelTemplateIN3c104HalfEfLj64ELj16ELj128ELb0ELb1ELb0EEEvllPKT_S7_PKT0_SA_PS5_SB_
	.p2align	8
	.type	_ZN2at6native12_GLOBAL__N_135GammaBetaBackwardCUDAKernelTemplateIN3c104HalfEfLj64ELj16ELj128ELb0ELb1ELb0EEEvllPKT_S7_PKT0_SA_PS5_SB_,@function
_ZN2at6native12_GLOBAL__N_135GammaBetaBackwardCUDAKernelTemplateIN3c104HalfEfLj64ELj16ELj128ELb0ELb1ELb0EEEvllPKT_S7_PKT0_SA_PS5_SB_: ; @_ZN2at6native12_GLOBAL__N_135GammaBetaBackwardCUDAKernelTemplateIN3c104HalfEfLj64ELj16ELj128ELb0ELb1ELb0EEEvllPKT_S7_PKT0_SA_PS5_SB_
; %bb.0:
	s_load_b128 s[16:19], s[0:1], 0x0
	s_lshl_b32 s2, ttmp7, 7
	s_mov_b32 s3, 0
	v_bfe_u32 v7, v0, 10, 10
	s_wait_kmcnt 0x0
	v_cmp_gt_i64_e64 s4, s[16:17], s[2:3]
	s_and_b32 vcc_lo, exec_lo, s4
	s_cbranch_vccnz .LBB79_2
; %bb.1:
	v_bfe_u32 v1, v0, 10, 10
	s_mov_b32 s4, s3
	s_branch .LBB79_3
.LBB79_2:
	s_mov_b32 s4, -1
                                        ; implicit-def: $vgpr1
.LBB79_3:
	s_load_b128 s[12:15], s[0:1], 0x30
	v_dual_mov_b32 v17, 0 :: v_dual_and_b32 v6, 0x3ff, v0
	v_mov_b32_e32 v0, 0
	s_and_not1_b32 vcc_lo, exec_lo, s4
	s_cbranch_vccnz .LBB79_11
; %bb.4:
	s_load_b32 s20, s[0:1], 0x4c
	v_dual_mov_b32 v1, 0 :: v_dual_lshlrev_b32 v0, 3, v7
	s_clause 0x1
	s_load_b32 s22, s[0:1], 0x44
	s_load_b256 s[4:11], s[0:1], 0x10
	s_mov_b32 s21, 0
	v_dual_mov_b32 v8, 8 :: v_dual_mov_b32 v9, 4
	v_add_co_u32 v2, s0, v0, s2
	s_delay_alu instid0(VALU_DEP_1) | instskip(SKIP_1) | instid1(VALU_DEP_3)
	v_add_co_ci_u32_e64 v3, null, 0, 0, s0
	v_lshl_add_u32 v0, ttmp9, 6, v6
	v_mul_lo_u32 v14, s19, v2
	v_mad_co_u64_u32 v[4:5], null, s18, v2, 0
	s_delay_alu instid0(VALU_DEP_4) | instskip(NEXT) | instid1(VALU_DEP_4)
	v_mul_lo_u32 v17, s18, v3
	v_lshlrev_b64_e32 v[15:16], 1, v[0:1]
	v_dual_mov_b32 v10, 12 :: v_dual_mov_b32 v11, 16
	v_mov_b32_e32 v0, 0
	s_wait_kmcnt 0x0
	s_and_b32 s0, s20, 0xffff
	s_wait_alu 0xfffe
	v_mad_u32_u24 v13, v7, s0, v6
	v_mov_b32_e32 v12, 20
	v_add3_u32 v5, v5, v17, v14
	s_lshl_b32 s20, s22, 7
	s_delay_alu instid0(VALU_DEP_3) | instskip(SKIP_1) | instid1(VALU_DEP_3)
	v_dual_mov_b32 v14, 28 :: v_dual_and_b32 v19, 31, v13
	v_mov_b32_e32 v13, 24
	v_lshlrev_b64_e32 v[17:18], 1, v[4:5]
	s_mul_u64 s[24:25], s[18:19], s[20:21]
	s_lshl_b64 s[22:23], s[20:21], 2
	v_add_co_u32 v2, vcc_lo, v2, v19
	s_delay_alu instid0(VALU_DEP_1) | instskip(NEXT) | instid1(VALU_DEP_3)
	v_add_co_ci_u32_e64 v3, null, 0, v3, vcc_lo
	v_add_co_u32 v15, vcc_lo, v17, v15
	v_cmp_gt_u32_e64 s0, 8, v19
	s_delay_alu instid0(VALU_DEP_3)
	v_lshlrev_b64_e32 v[4:5], 2, v[2:3]
	s_wait_alu 0xfffd
	v_add_co_ci_u32_e64 v16, null, v18, v16, vcc_lo
	v_mov_b32_e32 v17, 0
	s_lshl_b64 s[24:25], s[24:25], 1
	s_lshl_b64 s[18:19], s[18:19], 1
	s_branch .LBB79_7
.LBB79_5:                               ;   in Loop: Header=BB79_7 Depth=1
	s_or_b32 exec_lo, exec_lo, s26
.LBB79_6:                               ;   in Loop: Header=BB79_7 Depth=1
	s_wait_alu 0xfffe
	s_or_b32 exec_lo, exec_lo, s1
	v_add_co_u32 v20, vcc_lo, s4, v15
	s_wait_alu 0xfffd
	v_add_co_ci_u32_e64 v21, null, s5, v16, vcc_lo
	v_add_co_u32 v22, vcc_lo, s6, v15
	s_wait_alu 0xfffd
	v_add_co_ci_u32_e64 v23, null, s7, v16, vcc_lo
	;; [unrolled: 3-line block ×5, first 2 shown]
	global_load_u16 v30, v[20:21], off
	global_load_u16 v31, v[22:23], off
	;; [unrolled: 1-line block ×5, first 2 shown]
	v_add_co_u32 v20, vcc_lo, v26, s18
	s_wait_alu 0xfffd
	v_add_co_ci_u32_e64 v21, null, s19, v27, vcc_lo
	v_add_co_u32 v22, vcc_lo, v28, s18
	s_wait_alu 0xfffd
	v_add_co_ci_u32_e64 v23, null, s19, v29, vcc_lo
	;; [unrolled: 3-line block ×5, first 2 shown]
	global_load_u16 v35, v[20:21], off
	global_load_u16 v36, v[22:23], off
	;; [unrolled: 1-line block ×5, first 2 shown]
	v_add_co_u32 v20, vcc_lo, v26, s18
	s_wait_alu 0xfffd
	v_add_co_ci_u32_e64 v21, null, s19, v27, vcc_lo
	v_add_co_u32 v22, vcc_lo, v28, s18
	s_wait_alu 0xfffd
	v_add_co_ci_u32_e64 v23, null, s19, v29, vcc_lo
	v_add_co_u32 v24, vcc_lo, v20, s18
	s_wait_alu 0xfffd
	v_add_co_ci_u32_e64 v25, null, s19, v21, vcc_lo
	v_add_co_u32 v26, vcc_lo, v22, s18
	s_wait_alu 0xfffd
	v_add_co_ci_u32_e64 v27, null, s19, v23, vcc_lo
	global_load_u16 v28, v[20:21], off
	global_load_u16 v29, v[22:23], off
	;; [unrolled: 1-line block ×4, first 2 shown]
	v_add_co_u32 v20, vcc_lo, v26, s18
	s_wait_alu 0xfffd
	v_add_co_ci_u32_e64 v21, null, s19, v27, vcc_lo
	v_add_co_u32 v22, vcc_lo, v24, s18
	s_wait_alu 0xfffd
	v_add_co_ci_u32_e64 v23, null, s19, v25, vcc_lo
	global_load_u16 v20, v[20:21], off
	global_load_u16 v21, v[22:23], off
	s_wait_loadcnt 0x11
	ds_bpermute_b32 v22, v1, v18
	ds_bpermute_b32 v25, v9, v18
	s_wait_loadcnt 0x10
	ds_bpermute_b32 v23, v1, v19
	ds_bpermute_b32 v27, v8, v18
	;; [unrolled: 1-line block ×14, first 2 shown]
	v_add_co_u32 v4, vcc_lo, v4, s22
	s_add_nc_u64 s[2:3], s[2:3], s[20:21]
	s_wait_alu 0xfffd
	v_add_co_ci_u32_e64 v5, null, s23, v5, vcc_lo
	v_add_co_u32 v2, vcc_lo, v2, s20
	s_wait_alu 0xfffe
	v_cmp_lt_i64_e64 s1, s[2:3], s[16:17]
	s_wait_alu 0xfffd
	v_add_co_ci_u32_e64 v3, null, 0, v3, vcc_lo
	v_add_co_u32 v15, vcc_lo, v15, s24
	s_wait_alu 0xfffd
	v_add_co_ci_u32_e64 v16, null, s25, v16, vcc_lo
	s_and_b32 vcc_lo, exec_lo, s1
	s_wait_loadcnt 0xf
	v_cvt_f32_f16_e32 v30, v30
	s_wait_loadcnt 0xe
	v_cvt_f32_f16_e32 v31, v31
	;; [unrolled: 2-line block ×3, first 2 shown]
	s_wait_dscnt 0xf
	s_delay_alu instid0(VALU_DEP_2)
	v_sub_f32_e32 v22, v31, v22
	v_cvt_f32_f16_e32 v31, v32
	s_wait_dscnt 0xe
	v_sub_f32_e32 v25, v33, v25
	s_wait_loadcnt 0xa
	v_cvt_f32_f16_e32 v32, v35
	v_mul_f32_e32 v22, v22, v30
	v_add_f32_e32 v17, v17, v30
	v_cvt_f32_f16_e32 v30, v34
	s_wait_dscnt 0xd
	s_delay_alu instid0(VALU_DEP_3)
	v_fmac_f32_e32 v0, v22, v23
	v_mul_f32_e32 v22, v25, v31
	s_wait_dscnt 0xc
	v_sub_f32_e32 v23, v32, v27
	s_wait_loadcnt 0x8
	v_cvt_f32_f16_e32 v25, v37
	v_add_f32_e32 v17, v17, v31
	v_cvt_f32_f16_e32 v27, v36
	s_wait_dscnt 0xb
	v_fmac_f32_e32 v0, v22, v24
	s_wait_dscnt 0xa
	v_dual_mul_f32 v22, v23, v30 :: v_dual_sub_f32 v23, v25, v43
	s_wait_loadcnt 0x6
	v_cvt_f32_f16_e32 v24, v39
	v_add_f32_e32 v17, v17, v30
	v_cvt_f32_f16_e32 v25, v38
	s_wait_dscnt 0x9
	v_fmac_f32_e32 v0, v22, v26
	s_wait_dscnt 0x8
	v_dual_mul_f32 v22, v23, v27 :: v_dual_sub_f32 v23, v24, v45
	s_wait_loadcnt 0x4
	v_cvt_f32_f16_e32 v24, v29
	v_add_f32_e32 v17, v17, v27
	v_cvt_f32_f16_e32 v26, v28
	s_wait_dscnt 0x7
	s_delay_alu instid0(VALU_DEP_2)
	v_dual_fmac_f32 v0, v22, v42 :: v_dual_add_f32 v17, v17, v25
	s_wait_dscnt 0x6
	v_dual_mul_f32 v22, v23, v25 :: v_dual_sub_f32 v23, v24, v47
	s_wait_loadcnt 0x2
	v_cvt_f32_f16_e32 v24, v41
	v_cvt_f32_f16_e32 v25, v40
	s_wait_loadcnt 0x1
	v_cvt_f32_f16_e32 v20, v20
	s_wait_dscnt 0x5
	v_dual_add_f32 v17, v17, v26 :: v_dual_fmac_f32 v0, v22, v44
	s_wait_dscnt 0x4
	v_dual_mul_f32 v22, v23, v26 :: v_dual_sub_f32 v23, v24, v49
	s_wait_loadcnt 0x0
	v_cvt_f32_f16_e32 v21, v21
	s_wait_dscnt 0x2
	v_dual_add_f32 v17, v17, v25 :: v_dual_sub_f32 v18, v20, v18
	v_fmac_f32_e32 v0, v22, v46
	v_mul_f32_e32 v22, v23, v25
	s_delay_alu instid0(VALU_DEP_3) | instskip(NEXT) | instid1(VALU_DEP_4)
	v_add_f32_e32 v17, v17, v21
	v_mul_f32_e32 v18, v18, v21
	s_wait_dscnt 0x1
	s_delay_alu instid0(VALU_DEP_3) | instskip(SKIP_1) | instid1(VALU_DEP_1)
	v_fmac_f32_e32 v0, v22, v48
	s_wait_dscnt 0x0
	v_fmac_f32_e32 v0, v18, v19
	s_wait_alu 0xfffe
	s_cbranch_vccz .LBB79_10
.LBB79_7:                               ; =>This Inner Loop Header: Depth=1
	v_dual_mov_b32 v19, 0 :: v_dual_mov_b32 v18, 0
	s_and_saveexec_b32 s1, s0
	s_cbranch_execz .LBB79_6
; %bb.8:                                ;   in Loop: Header=BB79_7 Depth=1
	v_dual_mov_b32 v18, 0 :: v_dual_mov_b32 v19, 0
	s_mov_b32 s26, exec_lo
	v_cmpx_gt_i64_e64 s[16:17], v[2:3]
	s_cbranch_execz .LBB79_5
; %bb.9:                                ;   in Loop: Header=BB79_7 Depth=1
	v_add_co_u32 v18, vcc_lo, s8, v4
	s_wait_alu 0xfffd
	v_add_co_ci_u32_e64 v19, null, s9, v5, vcc_lo
	v_add_co_u32 v20, vcc_lo, s10, v4
	s_wait_alu 0xfffd
	v_add_co_ci_u32_e64 v21, null, s11, v5, vcc_lo
	global_load_b32 v18, v[18:19], off
	global_load_b32 v19, v[20:21], off
	s_branch .LBB79_5
.LBB79_10:
	v_mov_b32_e32 v1, v7
.LBB79_11:
	s_delay_alu instid0(VALU_DEP_1) | instskip(SKIP_1) | instid1(VALU_DEP_1)
	v_mad_u32_u24 v2, 0x41, v1, v6
	s_mov_b32 s0, exec_lo
	v_lshl_add_u32 v4, v2, 2, 0
	v_sub_nc_u32_e32 v3, v2, v1
	ds_store_b32 v4, v0
	ds_store_b32 v4, v17 offset:4160
	s_wait_dscnt 0x0
	s_barrier_signal -1
	s_barrier_wait -1
	global_inv scope:SCOPE_SE
	v_cmpx_gt_u32_e32 0x800, v3
	s_cbranch_execz .LBB79_27
; %bb.12:
	v_and_b32_e32 v0, 31, v6
	v_lshrrev_b32_e32 v2, 5, v3
                                        ; implicit-def: $vgpr1
	s_delay_alu instid0(VALU_DEP_2)
	v_cmp_gt_u32_e64 s0, 16, v0
	v_mul_u32_u24_e32 v4, 0x41, v0
                                        ; implicit-def: $vgpr0
	s_wait_alu 0xfffe
	s_and_saveexec_b32 s1, s0
	s_cbranch_execz .LBB79_14
; %bb.13:
	s_delay_alu instid0(VALU_DEP_1) | instskip(NEXT) | instid1(VALU_DEP_1)
	v_add_nc_u32_e32 v0, v2, v4
	v_lshl_add_u32 v0, v0, 2, 0
	ds_load_b32 v1, v0
	ds_load_b32 v0, v0 offset:4160
.LBB79_14:
	s_wait_alu 0xfffe
	s_or_b32 exec_lo, exec_lo, s1
	v_mbcnt_lo_u32_b32 v9, -1, 0
	v_cmp_eq_u32_e64 s1, 0, v6
	s_mov_b32 s2, ttmp9
	s_mov_b32 s3, 0
	s_wait_alu 0xfffe
	s_lshl_b64 s[2:3], s[2:3], 6
	v_xor_b32_e32 v5, 8, v9
	v_xor_b32_e32 v7, 4, v9
	v_xor_b32_e32 v12, 1, v9
	s_wait_kmcnt 0x0
	s_cmp_lg_u64 s[12:13], 0
	v_cmp_gt_i32_e32 vcc_lo, 32, v5
	s_cselect_b32 s5, -1, 0
	s_cmp_lg_u64 s[14:15], 0
	s_cselect_b32 s4, -1, 0
	s_wait_alu 0xfffd
	v_cndmask_b32_e32 v5, v9, v5, vcc_lo
	v_cmp_gt_i32_e32 vcc_lo, 32, v7
	s_delay_alu instid0(VALU_DEP_2)
	v_lshlrev_b32_e32 v5, 2, v5
	s_wait_alu 0xfffd
	v_cndmask_b32_e32 v7, v9, v7, vcc_lo
	s_wait_dscnt 0x1
	ds_bpermute_b32 v8, v5, v1
	s_wait_dscnt 0x0
	v_add_f32_e32 v1, v1, v8
	v_xor_b32_e32 v8, 2, v9
	s_delay_alu instid0(VALU_DEP_1)
	v_cmp_gt_i32_e32 vcc_lo, 32, v8
	s_wait_alu 0xfffd
	v_cndmask_b32_e32 v8, v9, v8, vcc_lo
	ds_bpermute_b32 v10, v5, v0
	v_cmp_gt_i32_e32 vcc_lo, 32, v12
	v_lshlrev_b32_e32 v8, 2, v8
	v_lshlrev_b32_e32 v7, 2, v7
	s_wait_alu 0xfffd
	v_cndmask_b32_e32 v9, v9, v12, vcc_lo
	s_wait_dscnt 0x0
	s_delay_alu instid0(VALU_DEP_1)
	v_dual_add_f32 v0, v0, v10 :: v_dual_lshlrev_b32 v9, 2, v9
	ds_bpermute_b32 v10, v7, v1
	s_wait_dscnt 0x0
	v_add_f32_e32 v1, v1, v10
	ds_bpermute_b32 v10, v8, v1
	s_wait_dscnt 0x0
	v_add_f32_e32 v1, v1, v10
	;; [unrolled: 3-line block ×6, first 2 shown]
	s_and_saveexec_b32 s6, s1
	s_cbranch_execz .LBB79_19
; %bb.15:
	s_wait_alu 0xfffe
	v_mov_b32_e32 v1, s3
	v_or_b32_e32 v0, s2, v2
	s_and_not1_b32 vcc_lo, exec_lo, s5
	s_delay_alu instid0(VALU_DEP_1)
	v_lshlrev_b64_e32 v[0:1], 1, v[0:1]
	s_wait_alu 0xfffe
	s_cbranch_vccnz .LBB79_17
; %bb.16:
	s_delay_alu instid0(VALU_DEP_1) | instskip(SKIP_1) | instid1(VALU_DEP_2)
	v_add_co_u32 v11, vcc_lo, s12, v0
	s_wait_alu 0xfffd
	v_add_co_ci_u32_e64 v12, null, s13, v1, vcc_lo
	v_cvt_f16_f32_e32 v13, v6
	global_store_b16 v[11:12], v13, off
.LBB79_17:
	s_and_not1_b32 vcc_lo, exec_lo, s4
	s_wait_alu 0xfffe
	s_cbranch_vccnz .LBB79_19
; %bb.18:
	v_add_co_u32 v0, vcc_lo, s14, v0
	s_wait_alu 0xfffd
	v_add_co_ci_u32_e64 v1, null, s15, v1, vcc_lo
	v_cvt_f16_f32_e32 v11, v10
	global_store_b16 v[0:1], v11, off
.LBB79_19:
	s_wait_alu 0xfffe
	s_or_b32 exec_lo, exec_lo, s6
	v_cmp_gt_u32_e32 vcc_lo, 0x400, v3
	s_and_b32 exec_lo, exec_lo, vcc_lo
	s_cbranch_execz .LBB79_27
; %bb.20:
	s_and_saveexec_b32 s6, s0
	s_cbranch_execz .LBB79_22
; %bb.21:
	v_add_nc_u32_e32 v0, v2, v4
	s_delay_alu instid0(VALU_DEP_1)
	v_lshl_add_u32 v0, v0, 2, 0
	ds_load_b32 v6, v0 offset:128
	ds_load_b32 v10, v0 offset:4288
.LBB79_22:
	s_wait_alu 0xfffe
	s_or_b32 exec_lo, exec_lo, s6
	s_wait_dscnt 0x1
	ds_bpermute_b32 v0, v5, v6
	s_wait_dscnt 0x1
	ds_bpermute_b32 v1, v5, v10
	s_wait_dscnt 0x1
	v_add_f32_e32 v0, v6, v0
	ds_bpermute_b32 v3, v7, v0
	s_wait_dscnt 0x0
	v_dual_add_f32 v1, v10, v1 :: v_dual_add_f32 v0, v0, v3
	ds_bpermute_b32 v4, v7, v1
	ds_bpermute_b32 v3, v8, v0
	s_wait_dscnt 0x1
	v_add_f32_e32 v1, v1, v4
	ds_bpermute_b32 v4, v8, v1
	s_wait_dscnt 0x0
	v_dual_add_f32 v3, v0, v3 :: v_dual_add_f32 v0, v1, v4
	ds_bpermute_b32 v4, v9, v3
	ds_bpermute_b32 v1, v9, v0
	s_and_b32 exec_lo, exec_lo, s1
	s_cbranch_execz .LBB79_27
; %bb.23:
	s_and_not1_b32 vcc_lo, exec_lo, s5
	s_wait_alu 0xfffe
	s_cbranch_vccnz .LBB79_25
; %bb.24:
	v_add_co_u32 v5, s0, s2, v2
	s_wait_alu 0xf1ff
	v_add_co_ci_u32_e64 v6, null, s3, 0, s0
	s_wait_dscnt 0x1
	v_add_f32_e32 v7, v3, v4
	s_delay_alu instid0(VALU_DEP_2) | instskip(NEXT) | instid1(VALU_DEP_1)
	v_lshlrev_b64_e32 v[5:6], 1, v[5:6]
	v_add_co_u32 v3, vcc_lo, s12, v5
	s_wait_alu 0xfffd
	s_delay_alu instid0(VALU_DEP_2)
	v_add_co_ci_u32_e64 v4, null, s13, v6, vcc_lo
	v_cvt_f16_f32_e32 v5, v7
	global_store_b16 v[3:4], v5, off offset:64
.LBB79_25:
	s_and_not1_b32 vcc_lo, exec_lo, s4
	s_wait_alu 0xfffe
	s_cbranch_vccnz .LBB79_27
; %bb.26:
	v_add_co_u32 v2, s0, s2, v2
	s_wait_alu 0xf1ff
	v_add_co_ci_u32_e64 v3, null, s3, 0, s0
	s_wait_dscnt 0x0
	v_add_f32_e32 v4, v0, v1
	s_delay_alu instid0(VALU_DEP_2) | instskip(NEXT) | instid1(VALU_DEP_1)
	v_lshlrev_b64_e32 v[2:3], 1, v[2:3]
	v_add_co_u32 v0, vcc_lo, s14, v2
	s_wait_alu 0xfffd
	s_delay_alu instid0(VALU_DEP_2)
	v_add_co_ci_u32_e64 v1, null, s15, v3, vcc_lo
	v_cvt_f16_f32_e32 v2, v4
	global_store_b16 v[0:1], v2, off offset:64
.LBB79_27:
	s_endpgm
	.section	.rodata,"a",@progbits
	.p2align	6, 0x0
	.amdhsa_kernel _ZN2at6native12_GLOBAL__N_135GammaBetaBackwardCUDAKernelTemplateIN3c104HalfEfLj64ELj16ELj128ELb0ELb1ELb0EEEvllPKT_S7_PKT0_SA_PS5_SB_
		.amdhsa_group_segment_fixed_size 0
		.amdhsa_private_segment_fixed_size 0
		.amdhsa_kernarg_size 320
		.amdhsa_user_sgpr_count 2
		.amdhsa_user_sgpr_dispatch_ptr 0
		.amdhsa_user_sgpr_queue_ptr 0
		.amdhsa_user_sgpr_kernarg_segment_ptr 1
		.amdhsa_user_sgpr_dispatch_id 0
		.amdhsa_user_sgpr_private_segment_size 0
		.amdhsa_wavefront_size32 1
		.amdhsa_uses_dynamic_stack 0
		.amdhsa_enable_private_segment 0
		.amdhsa_system_sgpr_workgroup_id_x 1
		.amdhsa_system_sgpr_workgroup_id_y 1
		.amdhsa_system_sgpr_workgroup_id_z 0
		.amdhsa_system_sgpr_workgroup_info 0
		.amdhsa_system_vgpr_workitem_id 1
		.amdhsa_next_free_vgpr 50
		.amdhsa_next_free_sgpr 27
		.amdhsa_reserve_vcc 1
		.amdhsa_float_round_mode_32 0
		.amdhsa_float_round_mode_16_64 0
		.amdhsa_float_denorm_mode_32 3
		.amdhsa_float_denorm_mode_16_64 3
		.amdhsa_fp16_overflow 0
		.amdhsa_workgroup_processor_mode 1
		.amdhsa_memory_ordered 1
		.amdhsa_forward_progress 1
		.amdhsa_inst_pref_size 20
		.amdhsa_round_robin_scheduling 0
		.amdhsa_exception_fp_ieee_invalid_op 0
		.amdhsa_exception_fp_denorm_src 0
		.amdhsa_exception_fp_ieee_div_zero 0
		.amdhsa_exception_fp_ieee_overflow 0
		.amdhsa_exception_fp_ieee_underflow 0
		.amdhsa_exception_fp_ieee_inexact 0
		.amdhsa_exception_int_div_zero 0
	.end_amdhsa_kernel
	.section	.text._ZN2at6native12_GLOBAL__N_135GammaBetaBackwardCUDAKernelTemplateIN3c104HalfEfLj64ELj16ELj128ELb0ELb1ELb0EEEvllPKT_S7_PKT0_SA_PS5_SB_,"axG",@progbits,_ZN2at6native12_GLOBAL__N_135GammaBetaBackwardCUDAKernelTemplateIN3c104HalfEfLj64ELj16ELj128ELb0ELb1ELb0EEEvllPKT_S7_PKT0_SA_PS5_SB_,comdat
.Lfunc_end79:
	.size	_ZN2at6native12_GLOBAL__N_135GammaBetaBackwardCUDAKernelTemplateIN3c104HalfEfLj64ELj16ELj128ELb0ELb1ELb0EEEvllPKT_S7_PKT0_SA_PS5_SB_, .Lfunc_end79-_ZN2at6native12_GLOBAL__N_135GammaBetaBackwardCUDAKernelTemplateIN3c104HalfEfLj64ELj16ELj128ELb0ELb1ELb0EEEvllPKT_S7_PKT0_SA_PS5_SB_
                                        ; -- End function
	.set _ZN2at6native12_GLOBAL__N_135GammaBetaBackwardCUDAKernelTemplateIN3c104HalfEfLj64ELj16ELj128ELb0ELb1ELb0EEEvllPKT_S7_PKT0_SA_PS5_SB_.num_vgpr, 50
	.set _ZN2at6native12_GLOBAL__N_135GammaBetaBackwardCUDAKernelTemplateIN3c104HalfEfLj64ELj16ELj128ELb0ELb1ELb0EEEvllPKT_S7_PKT0_SA_PS5_SB_.num_agpr, 0
	.set _ZN2at6native12_GLOBAL__N_135GammaBetaBackwardCUDAKernelTemplateIN3c104HalfEfLj64ELj16ELj128ELb0ELb1ELb0EEEvllPKT_S7_PKT0_SA_PS5_SB_.numbered_sgpr, 27
	.set _ZN2at6native12_GLOBAL__N_135GammaBetaBackwardCUDAKernelTemplateIN3c104HalfEfLj64ELj16ELj128ELb0ELb1ELb0EEEvllPKT_S7_PKT0_SA_PS5_SB_.num_named_barrier, 0
	.set _ZN2at6native12_GLOBAL__N_135GammaBetaBackwardCUDAKernelTemplateIN3c104HalfEfLj64ELj16ELj128ELb0ELb1ELb0EEEvllPKT_S7_PKT0_SA_PS5_SB_.private_seg_size, 0
	.set _ZN2at6native12_GLOBAL__N_135GammaBetaBackwardCUDAKernelTemplateIN3c104HalfEfLj64ELj16ELj128ELb0ELb1ELb0EEEvllPKT_S7_PKT0_SA_PS5_SB_.uses_vcc, 1
	.set _ZN2at6native12_GLOBAL__N_135GammaBetaBackwardCUDAKernelTemplateIN3c104HalfEfLj64ELj16ELj128ELb0ELb1ELb0EEEvllPKT_S7_PKT0_SA_PS5_SB_.uses_flat_scratch, 0
	.set _ZN2at6native12_GLOBAL__N_135GammaBetaBackwardCUDAKernelTemplateIN3c104HalfEfLj64ELj16ELj128ELb0ELb1ELb0EEEvllPKT_S7_PKT0_SA_PS5_SB_.has_dyn_sized_stack, 0
	.set _ZN2at6native12_GLOBAL__N_135GammaBetaBackwardCUDAKernelTemplateIN3c104HalfEfLj64ELj16ELj128ELb0ELb1ELb0EEEvllPKT_S7_PKT0_SA_PS5_SB_.has_recursion, 0
	.set _ZN2at6native12_GLOBAL__N_135GammaBetaBackwardCUDAKernelTemplateIN3c104HalfEfLj64ELj16ELj128ELb0ELb1ELb0EEEvllPKT_S7_PKT0_SA_PS5_SB_.has_indirect_call, 0
	.section	.AMDGPU.csdata,"",@progbits
; Kernel info:
; codeLenInByte = 2468
; TotalNumSgprs: 29
; NumVgprs: 50
; ScratchSize: 0
; MemoryBound: 0
; FloatMode: 240
; IeeeMode: 1
; LDSByteSize: 0 bytes/workgroup (compile time only)
; SGPRBlocks: 0
; VGPRBlocks: 6
; NumSGPRsForWavesPerEU: 29
; NumVGPRsForWavesPerEU: 50
; Occupancy: 16
; WaveLimiterHint : 0
; COMPUTE_PGM_RSRC2:SCRATCH_EN: 0
; COMPUTE_PGM_RSRC2:USER_SGPR: 2
; COMPUTE_PGM_RSRC2:TRAP_HANDLER: 0
; COMPUTE_PGM_RSRC2:TGID_X_EN: 1
; COMPUTE_PGM_RSRC2:TGID_Y_EN: 1
; COMPUTE_PGM_RSRC2:TGID_Z_EN: 0
; COMPUTE_PGM_RSRC2:TIDIG_COMP_CNT: 1
	.section	.text._ZN2at6native12_GLOBAL__N_135GammaBetaBackwardCUDAKernelTemplateIN3c104HalfEfLj64ELj16ELj128ELb0ELb0ELb0EEEvllPKT_S7_PKT0_SA_PS5_SB_,"axG",@progbits,_ZN2at6native12_GLOBAL__N_135GammaBetaBackwardCUDAKernelTemplateIN3c104HalfEfLj64ELj16ELj128ELb0ELb0ELb0EEEvllPKT_S7_PKT0_SA_PS5_SB_,comdat
	.globl	_ZN2at6native12_GLOBAL__N_135GammaBetaBackwardCUDAKernelTemplateIN3c104HalfEfLj64ELj16ELj128ELb0ELb0ELb0EEEvllPKT_S7_PKT0_SA_PS5_SB_ ; -- Begin function _ZN2at6native12_GLOBAL__N_135GammaBetaBackwardCUDAKernelTemplateIN3c104HalfEfLj64ELj16ELj128ELb0ELb0ELb0EEEvllPKT_S7_PKT0_SA_PS5_SB_
	.p2align	8
	.type	_ZN2at6native12_GLOBAL__N_135GammaBetaBackwardCUDAKernelTemplateIN3c104HalfEfLj64ELj16ELj128ELb0ELb0ELb0EEEvllPKT_S7_PKT0_SA_PS5_SB_,@function
_ZN2at6native12_GLOBAL__N_135GammaBetaBackwardCUDAKernelTemplateIN3c104HalfEfLj64ELj16ELj128ELb0ELb0ELb0EEEvllPKT_S7_PKT0_SA_PS5_SB_: ; @_ZN2at6native12_GLOBAL__N_135GammaBetaBackwardCUDAKernelTemplateIN3c104HalfEfLj64ELj16ELj128ELb0ELb0ELb0EEEvllPKT_S7_PKT0_SA_PS5_SB_
; %bb.0:
	s_clause 0x1
	s_load_b256 s[4:11], s[0:1], 0x0
	s_load_b128 s[12:15], s[0:1], 0x20
	s_lshl_b32 s30, ttmp9, 6
	s_mov_b32 s17, 0
	s_or_b32 s16, s30, 63
	s_wait_kmcnt 0x0
	v_cmp_le_i64_e64 s2, s[6:7], s[16:17]
	s_lshl_b32 s16, ttmp7, 7
	s_wait_alu 0xfffe
	v_cmp_gt_i64_e64 s31, s[4:5], s[16:17]
	s_and_b32 vcc_lo, exec_lo, s2
	v_cndmask_b32_e64 v1, 0, 1, s31
	s_delay_alu instid0(VALU_DEP_1)
	v_cmp_ne_u32_e64 s2, 1, v1
	s_cbranch_vccz .LBB80_49
; %bb.1:
	v_dual_mov_b32 v10, 0 :: v_dual_mov_b32 v55, 0
	s_and_b32 vcc_lo, exec_lo, s2
	s_cbranch_vccnz .LBB80_50
; %bb.2:
	v_bfe_u32 v20, v0, 10, 10
	v_dual_mov_b32 v1, 0 :: v_dual_and_b32 v22, 0x3ff, v0
	s_load_b32 s3, s[0:1], 0x44
	s_mov_b32 s19, 0
	s_delay_alu instid0(VALU_DEP_2) | instskip(NEXT) | instid1(VALU_DEP_2)
	v_dual_mov_b32 v56, 0 :: v_dual_lshlrev_b32 v21, 3, v20
	v_dual_mov_b32 v3, v1 :: v_dual_add_nc_u32 v2, s30, v22
	s_mov_b32 s23, s19
	s_delay_alu instid0(VALU_DEP_2) | instskip(NEXT) | instid1(VALU_DEP_1)
	v_add_co_u32 v10, s2, v21, s16
	v_add_co_ci_u32_e64 v11, null, 0, 0, s2
	s_delay_alu instid0(VALU_DEP_3) | instskip(NEXT) | instid1(VALU_DEP_3)
	v_cmp_gt_i64_e64 s2, s[6:7], v[2:3]
	v_mul_lo_u32 v6, s7, v10
	v_mad_co_u64_u32 v[4:5], null, s6, v10, 0
	s_delay_alu instid0(VALU_DEP_4) | instskip(SKIP_1) | instid1(VALU_DEP_1)
	v_mul_lo_u32 v7, s6, v11
	v_add_co_u32 v8, vcc_lo, v10, 7
	v_add_co_ci_u32_e64 v9, null, 0, v11, vcc_lo
	v_lshlrev_b64_e32 v[18:19], 1, v[2:3]
	s_delay_alu instid0(VALU_DEP_3)
	v_mul_lo_u32 v12, s7, v8
	s_wait_kmcnt 0x0
	s_lshl_b32 s22, s3, 7
	v_add3_u32 v5, v5, v7, v6
	v_mad_co_u64_u32 v[6:7], null, s6, v8, 0
	v_add_co_u32 v8, vcc_lo, v10, 6
	v_mul_lo_u32 v13, s6, v9
	s_wait_alu 0xfffd
	v_add_co_ci_u32_e64 v9, null, 0, v11, vcc_lo
	v_lshlrev_b64_e32 v[2:3], 1, v[4:5]
	v_mul_lo_u32 v14, s7, v8
	v_mov_b32_e32 v55, 0
	s_delay_alu instid0(VALU_DEP_4)
	v_mul_lo_u32 v15, s6, v9
	v_mad_co_u64_u32 v[8:9], null, s6, v8, 0
	v_add_co_u32 v23, vcc_lo, s8, v2
	s_wait_alu 0xfffd
	v_add_co_ci_u32_e64 v24, null, s9, v3, vcc_lo
	v_add_co_u32 v25, vcc_lo, s10, v2
	v_add3_u32 v7, v7, v13, v12
	s_wait_alu 0xfffd
	v_add_co_ci_u32_e64 v26, null, s11, v3, vcc_lo
	v_add_co_u32 v12, vcc_lo, v10, 5
	v_add3_u32 v9, v9, v15, v14
	s_wait_alu 0xfffd
	v_add_co_ci_u32_e64 v13, null, 0, v11, vcc_lo
	v_lshlrev_b64_e32 v[2:3], 1, v[6:7]
	v_mul_lo_u32 v14, s7, v12
	v_lshlrev_b64_e32 v[6:7], 1, v[8:9]
	s_delay_alu instid0(VALU_DEP_4)
	v_mul_lo_u32 v13, s6, v13
	v_mad_co_u64_u32 v[8:9], null, s6, v12, 0
	v_add_co_u32 v27, vcc_lo, s8, v2
	s_wait_alu 0xfffd
	v_add_co_ci_u32_e64 v28, null, s9, v3, vcc_lo
	v_add_co_u32 v29, vcc_lo, s10, v2
	s_wait_alu 0xfffd
	v_add_co_ci_u32_e64 v30, null, s11, v3, vcc_lo
	v_add_co_u32 v31, vcc_lo, s8, v6
	v_add3_u32 v9, v9, v13, v14
	s_wait_alu 0xfffd
	v_add_co_ci_u32_e64 v32, null, s9, v7, vcc_lo
	v_add_co_u32 v12, vcc_lo, v10, 4
	v_add_co_u32 v33, s3, s10, v6
	s_wait_alu 0xfffd
	v_add_co_ci_u32_e64 v6, null, 0, v11, vcc_lo
	v_lshlrev_b64_e32 v[2:3], 1, v[8:9]
	v_add_co_u32 v8, vcc_lo, v10, 3
	s_wait_alu 0xfffd
	v_add_co_ci_u32_e64 v9, null, 0, v11, vcc_lo
	s_wait_alu 0xf1ff
	v_add_co_ci_u32_e64 v34, null, s11, v7, s3
	v_mul_lo_u32 v13, s7, v12
	v_mul_lo_u32 v14, s6, v6
	v_mad_co_u64_u32 v[6:7], null, s6, v12, 0
	v_mul_lo_u32 v12, s7, v8
	v_mul_lo_u32 v15, s6, v9
	v_mad_co_u64_u32 v[8:9], null, s6, v8, 0
	v_add_co_u32 v35, vcc_lo, s8, v2
	s_wait_alu 0xfffd
	v_add_co_ci_u32_e64 v36, null, s9, v3, vcc_lo
	v_add3_u32 v7, v7, v14, v13
	v_add_co_u32 v37, vcc_lo, s10, v2
	s_wait_alu 0xfffd
	v_add_co_ci_u32_e64 v38, null, s11, v3, vcc_lo
	v_add_co_u32 v10, vcc_lo, v10, 2
	v_add3_u32 v9, v9, v15, v12
	s_wait_alu 0xfffd
	v_add_co_ci_u32_e64 v11, null, 0, v11, vcc_lo
	v_lshlrev_b64_e32 v[2:3], 1, v[6:7]
	v_mul_lo_u32 v12, s7, v10
	v_lshlrev_b64_e32 v[6:7], 1, v[8:9]
	s_delay_alu instid0(VALU_DEP_4)
	v_mul_lo_u32 v11, s6, v11
	v_mad_co_u64_u32 v[8:9], null, s6, v10, 0
	v_add_co_u32 v39, vcc_lo, s8, v2
	s_wait_alu 0xfffd
	v_add_co_ci_u32_e64 v40, null, s9, v3, vcc_lo
	v_add_co_u32 v41, vcc_lo, s10, v2
	s_wait_alu 0xfffd
	v_add_co_ci_u32_e64 v42, null, s11, v3, vcc_lo
	;; [unrolled: 3-line block ×3, first 2 shown]
	v_add3_u32 v9, v9, v11, v12
	v_add_co_u32 v45, vcc_lo, s10, v6
	s_wait_alu 0xfffd
	v_add_co_ci_u32_e64 v46, null, s11, v7, vcc_lo
	v_add_co_u32 v4, vcc_lo, v4, s6
	s_wait_alu 0xfffd
	v_add_co_ci_u32_e64 v5, null, s7, v5, vcc_lo
	v_lshlrev_b64_e32 v[2:3], 1, v[8:9]
	s_mul_u64 s[24:25], s[6:7], s[22:23]
	s_add_nc_u64 s[20:21], s[0:1], 64
	s_delay_alu instid0(VALU_DEP_2)
	v_lshlrev_b64_e32 v[4:5], 1, v[4:5]
	s_lshl_b64 s[24:25], s[24:25], 1
	s_add_nc_u64 s[26:27], s[16:17], 0x7f
	v_add_co_u32 v47, vcc_lo, s8, v2
	s_wait_alu 0xfffd
	v_add_co_ci_u32_e64 v48, null, s9, v3, vcc_lo
	v_add_co_u32 v49, vcc_lo, s10, v2
	s_wait_alu 0xfffd
	v_add_co_ci_u32_e64 v50, null, s11, v3, vcc_lo
	;; [unrolled: 3-line block ×4, first 2 shown]
	s_mov_b64 s[28:29], s[16:17]
.LBB80_3:                               ; =>This Inner Loop Header: Depth=1
	v_cmp_ge_i64_e64 s3, s[26:27], s[4:5]
	v_add_co_u32 v57, s18, v21, s26
	s_wait_alu 0xf1ff
	v_add_co_ci_u32_e64 v58, null, 0, s27, s18
                                        ; implicit-def: $vgpr10_vgpr11_vgpr12_vgpr13_vgpr14_vgpr15_vgpr16_vgpr17
                                        ; implicit-def: $vgpr2_vgpr3_vgpr4_vgpr5_vgpr6_vgpr7_vgpr8_vgpr9
                                        ; implicit-def: $vgpr60
                                        ; implicit-def: $vgpr2
	s_and_b32 vcc_lo, exec_lo, s3
	s_mov_b32 s3, -1
                                        ; implicit-def: $vgpr10
                                        ; implicit-def: $vgpr3
	s_wait_alu 0xfffe
	s_cbranch_vccz .LBB80_25
; %bb.4:                                ;   in Loop: Header=BB80_3 Depth=1
	s_load_b32 s3, s[20:21], 0xc
	v_dual_mov_b32 v60, 0 :: v_dual_mov_b32 v59, 0
	s_wait_kmcnt 0x0
	s_and_b32 s3, s3, 0xffff
	s_wait_alu 0xfffe
	v_mad_u32_u24 v2, v20, s3, v22
	s_mov_b32 s3, exec_lo
	s_delay_alu instid0(VALU_DEP_1) | instskip(NEXT) | instid1(VALU_DEP_1)
	v_and_b32_e32 v2, 31, v2
	v_cmpx_gt_u32_e32 8, v2
	s_cbranch_execz .LBB80_8
; %bb.5:                                ;   in Loop: Header=BB80_3 Depth=1
	v_add_co_u32 v2, vcc_lo, v57, v2
	s_wait_alu 0xfffd
	v_add_co_ci_u32_e64 v3, null, 0, v58, vcc_lo
	v_dual_mov_b32 v59, 0 :: v_dual_mov_b32 v60, 0
	s_delay_alu instid0(VALU_DEP_3) | instskip(SKIP_1) | instid1(VALU_DEP_3)
	v_add_co_u32 v2, vcc_lo, 0xffffff81, v2
	s_wait_alu 0xfffd
	v_add_co_ci_u32_e64 v3, null, -1, v3, vcc_lo
	s_mov_b32 s18, exec_lo
	v_cmpx_gt_i64_e64 s[4:5], v[2:3]
	s_cbranch_execz .LBB80_7
; %bb.6:                                ;   in Loop: Header=BB80_3 Depth=1
	v_lshlrev_b64_e32 v[2:3], 2, v[2:3]
	s_delay_alu instid0(VALU_DEP_1) | instskip(SKIP_1) | instid1(VALU_DEP_2)
	v_add_co_u32 v4, vcc_lo, s12, v2
	s_wait_alu 0xfffd
	v_add_co_ci_u32_e64 v5, null, s13, v3, vcc_lo
	v_add_co_u32 v2, vcc_lo, s14, v2
	s_wait_alu 0xfffd
	v_add_co_ci_u32_e64 v3, null, s15, v3, vcc_lo
	global_load_b32 v59, v[4:5], off
	global_load_b32 v60, v[2:3], off
.LBB80_7:                               ;   in Loop: Header=BB80_3 Depth=1
	s_wait_alu 0xfffe
	s_or_b32 exec_lo, exec_lo, s18
.LBB80_8:                               ;   in Loop: Header=BB80_3 Depth=1
	s_wait_alu 0xfffe
	s_or_b32 exec_lo, exec_lo, s3
	v_add_co_u32 v9, vcc_lo, 0xffffff81, v57
	s_wait_alu 0xfffd
	v_add_co_ci_u32_e64 v10, null, -1, v58, vcc_lo
	v_mov_b32_e32 v8, v1
	v_dual_mov_b32 v2, v1 :: v_dual_mov_b32 v3, v1
	v_dual_mov_b32 v4, v1 :: v_dual_mov_b32 v5, v1
	;; [unrolled: 1-line block ×3, first 2 shown]
	v_cmp_gt_i64_e32 vcc_lo, s[4:5], v[9:10]
	s_delay_alu instid0(VALU_DEP_3) | instskip(NEXT) | instid1(VALU_DEP_3)
	v_dual_mov_b32 v17, v8 :: v_dual_mov_b32 v14, v5
	v_dual_mov_b32 v15, v6 :: v_dual_mov_b32 v16, v7
	;; [unrolled: 1-line block ×4, first 2 shown]
	v_mov_b32_e32 v9, v8
	v_mov_b32_e32 v8, v7
	;; [unrolled: 1-line block ×8, first 2 shown]
	s_and_b32 s18, s2, vcc_lo
	s_wait_alu 0xfffe
	s_and_saveexec_b32 s3, s18
	s_cbranch_execz .LBB80_10
; %bb.9:                                ;   in Loop: Header=BB80_3 Depth=1
	v_add_co_u32 v2, vcc_lo, v23, v18
	s_wait_alu 0xfffd
	v_add_co_ci_u32_e64 v3, null, v24, v19, vcc_lo
	v_add_co_u32 v4, vcc_lo, v25, v18
	s_wait_alu 0xfffd
	v_add_co_ci_u32_e64 v5, null, v26, v19, vcc_lo
	global_load_u16 v2, v[2:3], off
	global_load_u16 v10, v[4:5], off
	v_dual_mov_b32 v3, v1 :: v_dual_mov_b32 v4, v1
	v_dual_mov_b32 v5, v1 :: v_dual_mov_b32 v6, v1
	;; [unrolled: 1-line block ×6, first 2 shown]
	v_mov_b32_e32 v15, v1
	v_mov_b32_e32 v17, v1
	s_wait_loadcnt 0x1
	v_cvt_f32_f16_e32 v2, v2
	s_wait_loadcnt 0x0
	v_cvt_f32_f16_e32 v10, v10
.LBB80_10:                              ;   in Loop: Header=BB80_3 Depth=1
	s_wait_alu 0xfffe
	s_or_b32 exec_lo, exec_lo, s3
	v_add_co_u32 v61, vcc_lo, 0xffffff82, v57
	s_wait_alu 0xfffd
	v_add_co_ci_u32_e64 v62, null, -1, v58, vcc_lo
	s_delay_alu instid0(VALU_DEP_1)
	v_cmp_gt_i64_e32 vcc_lo, s[4:5], v[61:62]
	s_and_b32 s18, s2, vcc_lo
	s_wait_alu 0xfffe
	s_and_saveexec_b32 s3, s18
	s_cbranch_execz .LBB80_12
; %bb.11:                               ;   in Loop: Header=BB80_3 Depth=1
	v_add_co_u32 v61, vcc_lo, v51, v18
	s_wait_alu 0xfffd
	v_add_co_ci_u32_e64 v62, null, v52, v19, vcc_lo
	v_add_co_u32 v63, vcc_lo, v53, v18
	s_wait_alu 0xfffd
	v_add_co_ci_u32_e64 v64, null, v54, v19, vcc_lo
	global_load_u16 v3, v[61:62], off
	global_load_u16 v11, v[63:64], off
	s_wait_loadcnt 0x1
	v_cvt_f32_f16_e32 v3, v3
	s_wait_loadcnt 0x0
	v_cvt_f32_f16_e32 v11, v11
.LBB80_12:                              ;   in Loop: Header=BB80_3 Depth=1
	s_wait_alu 0xfffe
	s_or_b32 exec_lo, exec_lo, s3
	v_add_co_u32 v61, vcc_lo, 0xffffff83, v57
	s_wait_alu 0xfffd
	v_add_co_ci_u32_e64 v62, null, -1, v58, vcc_lo
	s_delay_alu instid0(VALU_DEP_1)
	v_cmp_gt_i64_e32 vcc_lo, s[4:5], v[61:62]
	s_and_b32 s18, s2, vcc_lo
	s_wait_alu 0xfffe
	s_and_saveexec_b32 s3, s18
	s_cbranch_execz .LBB80_14
; %bb.13:                               ;   in Loop: Header=BB80_3 Depth=1
	v_add_co_u32 v61, vcc_lo, v47, v18
	s_wait_alu 0xfffd
	v_add_co_ci_u32_e64 v62, null, v48, v19, vcc_lo
	v_add_co_u32 v63, vcc_lo, v49, v18
	s_wait_alu 0xfffd
	v_add_co_ci_u32_e64 v64, null, v50, v19, vcc_lo
	global_load_u16 v4, v[61:62], off
	global_load_u16 v12, v[63:64], off
	s_wait_loadcnt 0x1
	v_cvt_f32_f16_e32 v4, v4
	s_wait_loadcnt 0x0
	v_cvt_f32_f16_e32 v12, v12
.LBB80_14:                              ;   in Loop: Header=BB80_3 Depth=1
	;; [unrolled: 25-line block ×7, first 2 shown]
	s_wait_alu 0xfffe
	s_or_b32 exec_lo, exec_lo, s3
	s_wait_loadcnt 0x1
	ds_bpermute_b32 v61, v1, v59
	ds_bpermute_b32 v62, v1, v59 offset:4
	ds_bpermute_b32 v63, v1, v59 offset:8
	s_wait_loadcnt 0x0
	ds_bpermute_b32 v64, v1, v60
	ds_bpermute_b32 v65, v1, v59 offset:12
	ds_bpermute_b32 v66, v1, v60 offset:4
	;; [unrolled: 1-line block ×7, first 2 shown]
	s_mov_b32 s3, 0
	s_wait_dscnt 0xa
	v_dual_sub_f32 v10, v10, v61 :: v_dual_add_f32 v61, v55, v2
	s_wait_dscnt 0x8
	v_dual_sub_f32 v11, v11, v62 :: v_dual_sub_f32 v12, v12, v63
	ds_bpermute_b32 v62, v1, v60 offset:16
	v_mul_f32_e32 v2, v2, v10
	ds_bpermute_b32 v63, v1, v60 offset:20
	v_dual_mul_f32 v11, v3, v11 :: v_dual_mul_f32 v12, v4, v12
	v_add_f32_e32 v3, v3, v61
	s_wait_dscnt 0x9
	v_fma_f32 v10, v2, v64, v56
	s_wait_dscnt 0x8
	v_sub_f32_e32 v2, v13, v65
	ds_bpermute_b32 v64, v1, v60 offset:24
	ds_bpermute_b32 v60, v1, v60 offset:28
	s_wait_dscnt 0x9
	v_dual_add_f32 v3, v4, v3 :: v_dual_fmac_f32 v10, v11, v66
	s_wait_dscnt 0x8
	v_sub_f32_e32 v11, v14, v67
	v_mul_f32_e32 v13, v5, v2
	ds_bpermute_b32 v2, v1, v59 offset:28
	s_wait_dscnt 0x6
	v_sub_f32_e32 v4, v15, v70
	v_dual_fmac_f32 v10, v12, v68 :: v_dual_mul_f32 v11, v6, v11
	v_add_f32_e32 v3, v5, v3
	s_wait_dscnt 0x5
	s_delay_alu instid0(VALU_DEP_3) | instskip(NEXT) | instid1(VALU_DEP_2)
	v_dual_sub_f32 v5, v16, v71 :: v_dual_mul_f32 v4, v7, v4
	v_dual_fmac_f32 v10, v13, v69 :: v_dual_add_f32 v3, v6, v3
	s_wait_dscnt 0x4
	s_delay_alu instid0(VALU_DEP_1) | instskip(SKIP_1) | instid1(VALU_DEP_1)
	v_dual_mul_f32 v5, v8, v5 :: v_dual_fmac_f32 v10, v11, v62
	s_wait_dscnt 0x3
	v_fmac_f32_e32 v10, v4, v63
	s_wait_dscnt 0x2
	s_delay_alu instid0(VALU_DEP_1) | instskip(NEXT) | instid1(VALU_DEP_1)
	v_dual_add_f32 v3, v7, v3 :: v_dual_fmac_f32 v10, v5, v64
	v_add_f32_e32 v3, v8, v3
.LBB80_25:                              ;   in Loop: Header=BB80_3 Depth=1
	s_wait_alu 0xfffe
	s_and_b32 vcc_lo, exec_lo, s3
	s_wait_alu 0xfffe
	s_cbranch_vccz .LBB80_40
; %bb.26:                               ;   in Loop: Header=BB80_3 Depth=1
	s_load_b32 s3, s[20:21], 0x0
	s_wait_dscnt 0x1
	v_dual_mov_b32 v60, 0 :: v_dual_mov_b32 v59, 0
	s_wait_kmcnt 0x0
	s_cmp_lt_u32 ttmp9, s3
	s_cselect_b32 s18, 12, 18
	s_wait_alu 0xfffe
	s_add_nc_u64 s[34:35], s[20:21], s[18:19]
	s_load_u16 s3, s[34:35], 0x0
	s_wait_dscnt 0x0
	s_wait_kmcnt 0x0
	v_mad_u32_u24 v2, v20, s3, v22
	s_mov_b32 s3, exec_lo
	s_delay_alu instid0(VALU_DEP_1) | instskip(NEXT) | instid1(VALU_DEP_1)
	v_and_b32_e32 v2, 31, v2
	v_cmpx_gt_u32_e32 8, v2
	s_cbranch_execz .LBB80_30
; %bb.27:                               ;   in Loop: Header=BB80_3 Depth=1
	v_add_co_u32 v2, vcc_lo, v57, v2
	s_wait_alu 0xfffd
	v_add_co_ci_u32_e64 v3, null, 0, v58, vcc_lo
	v_dual_mov_b32 v59, 0 :: v_dual_mov_b32 v60, 0
	s_delay_alu instid0(VALU_DEP_3) | instskip(SKIP_1) | instid1(VALU_DEP_3)
	v_add_co_u32 v2, vcc_lo, 0xffffff81, v2
	s_wait_alu 0xfffd
	v_add_co_ci_u32_e64 v3, null, -1, v3, vcc_lo
	s_mov_b32 s18, exec_lo
	v_cmpx_gt_i64_e64 s[4:5], v[2:3]
	s_cbranch_execz .LBB80_29
; %bb.28:                               ;   in Loop: Header=BB80_3 Depth=1
	v_lshlrev_b64_e32 v[2:3], 2, v[2:3]
	s_delay_alu instid0(VALU_DEP_1) | instskip(SKIP_1) | instid1(VALU_DEP_2)
	v_add_co_u32 v4, vcc_lo, s12, v2
	s_wait_alu 0xfffd
	v_add_co_ci_u32_e64 v5, null, s13, v3, vcc_lo
	v_add_co_u32 v2, vcc_lo, s14, v2
	s_wait_alu 0xfffd
	v_add_co_ci_u32_e64 v3, null, s15, v3, vcc_lo
	global_load_b32 v59, v[4:5], off
	global_load_b32 v60, v[2:3], off
.LBB80_29:                              ;   in Loop: Header=BB80_3 Depth=1
	s_wait_alu 0xfffe
	s_or_b32 exec_lo, exec_lo, s18
.LBB80_30:                              ;   in Loop: Header=BB80_3 Depth=1
	s_wait_alu 0xfffe
	s_or_b32 exec_lo, exec_lo, s3
	v_mov_b32_e32 v8, v1
	v_dual_mov_b32 v2, v1 :: v_dual_mov_b32 v3, v1
	v_dual_mov_b32 v4, v1 :: v_dual_mov_b32 v5, v1
	;; [unrolled: 1-line block ×3, first 2 shown]
	s_delay_alu instid0(VALU_DEP_4) | instskip(NEXT) | instid1(VALU_DEP_3)
	v_mov_b32_e32 v17, v8
	v_dual_mov_b32 v13, v4 :: v_dual_mov_b32 v12, v3
	s_delay_alu instid0(VALU_DEP_3) | instskip(NEXT) | instid1(VALU_DEP_4)
	v_dual_mov_b32 v15, v6 :: v_dual_mov_b32 v14, v5
	v_dual_mov_b32 v16, v7 :: v_dual_mov_b32 v11, v2
	;; [unrolled: 1-line block ×3, first 2 shown]
	v_mov_b32_e32 v8, v7
	v_mov_b32_e32 v7, v6
	;; [unrolled: 1-line block ×7, first 2 shown]
	s_and_saveexec_b32 s3, s2
	s_cbranch_execnz .LBB80_42
; %bb.31:                               ;   in Loop: Header=BB80_3 Depth=1
	s_wait_alu 0xfffe
	s_or_b32 exec_lo, exec_lo, s3
	s_and_saveexec_b32 s3, s2
	s_cbranch_execnz .LBB80_43
.LBB80_32:                              ;   in Loop: Header=BB80_3 Depth=1
	s_wait_alu 0xfffe
	s_or_b32 exec_lo, exec_lo, s3
	s_and_saveexec_b32 s3, s2
	s_cbranch_execnz .LBB80_44
.LBB80_33:                              ;   in Loop: Header=BB80_3 Depth=1
	s_wait_alu 0xfffe
	s_or_b32 exec_lo, exec_lo, s3
	s_and_saveexec_b32 s3, s2
	s_cbranch_execnz .LBB80_45
.LBB80_34:                              ;   in Loop: Header=BB80_3 Depth=1
	s_wait_alu 0xfffe
	s_or_b32 exec_lo, exec_lo, s3
	s_and_saveexec_b32 s3, s2
	s_cbranch_execnz .LBB80_46
.LBB80_35:                              ;   in Loop: Header=BB80_3 Depth=1
	s_wait_alu 0xfffe
	s_or_b32 exec_lo, exec_lo, s3
	s_and_saveexec_b32 s3, s2
	s_cbranch_execnz .LBB80_47
.LBB80_36:                              ;   in Loop: Header=BB80_3 Depth=1
	s_wait_alu 0xfffe
	s_or_b32 exec_lo, exec_lo, s3
	s_and_saveexec_b32 s3, s2
	s_cbranch_execnz .LBB80_48
.LBB80_37:                              ;   in Loop: Header=BB80_3 Depth=1
	s_wait_alu 0xfffe
	s_or_b32 exec_lo, exec_lo, s3
	s_and_saveexec_b32 s3, s2
	s_cbranch_execz .LBB80_39
.LBB80_38:                              ;   in Loop: Header=BB80_3 Depth=1
	v_add_co_u32 v57, vcc_lo, v27, v18
	s_wait_alu 0xfffd
	v_add_co_ci_u32_e64 v58, null, v28, v19, vcc_lo
	v_add_co_u32 v61, vcc_lo, v29, v18
	s_wait_alu 0xfffd
	v_add_co_ci_u32_e64 v62, null, v30, v19, vcc_lo
	global_load_u16 v9, v[57:58], off
	global_load_u16 v17, v[61:62], off
	s_wait_loadcnt 0x1
	v_cvt_f32_f16_e32 v9, v9
	s_wait_loadcnt 0x0
	v_cvt_f32_f16_e32 v17, v17
.LBB80_39:                              ;   in Loop: Header=BB80_3 Depth=1
	s_wait_alu 0xfffe
	s_or_b32 exec_lo, exec_lo, s3
	s_wait_loadcnt 0x1
	ds_bpermute_b32 v57, v1, v59
	ds_bpermute_b32 v58, v1, v59 offset:4
	ds_bpermute_b32 v61, v1, v59 offset:8
	s_wait_loadcnt 0x0
	ds_bpermute_b32 v62, v1, v60
	ds_bpermute_b32 v63, v1, v59 offset:12
	ds_bpermute_b32 v64, v1, v60 offset:4
	;; [unrolled: 1-line block ×5, first 2 shown]
	s_wait_dscnt 0x7
	v_dual_sub_f32 v10, v10, v57 :: v_dual_sub_f32 v11, v11, v58
	ds_bpermute_b32 v57, v1, v60 offset:12
	s_wait_dscnt 0x7
	v_sub_f32_e32 v12, v12, v61
	ds_bpermute_b32 v58, v1, v60 offset:20
	v_dual_mul_f32 v10, v2, v10 :: v_dual_mul_f32 v11, v3, v11
	s_wait_dscnt 0x6
	v_dual_add_f32 v2, v55, v2 :: v_dual_sub_f32 v13, v13, v63
	ds_bpermute_b32 v55, v1, v60 offset:16
	v_fmac_f32_e32 v56, v10, v62
	ds_bpermute_b32 v10, v1, v59 offset:24
	s_wait_dscnt 0x6
	v_dual_add_f32 v2, v3, v2 :: v_dual_sub_f32 v3, v14, v65
	v_dual_fmac_f32 v56, v11, v64 :: v_dual_mul_f32 v11, v5, v13
	s_wait_dscnt 0x5
	v_dual_sub_f32 v13, v15, v67 :: v_dual_mul_f32 v12, v4, v12
	s_wait_dscnt 0x4
	s_delay_alu instid0(VALU_DEP_1)
	v_dual_mul_f32 v3, v6, v3 :: v_dual_fmac_f32 v56, v12, v66
	ds_bpermute_b32 v12, v1, v60 offset:24
	ds_bpermute_b32 v60, v1, v60 offset:28
	s_wait_dscnt 0x5
	v_fmac_f32_e32 v56, v11, v57
	s_wait_dscnt 0x2
	s_delay_alu instid0(VALU_DEP_1) | instskip(NEXT) | instid1(VALU_DEP_1)
	v_dual_fmac_f32 v56, v3, v55 :: v_dual_sub_f32 v3, v16, v10
	v_mul_f32_e32 v3, v8, v3
	v_add_f32_e32 v4, v4, v2
	ds_bpermute_b32 v2, v1, v59 offset:28
	v_dual_add_f32 v4, v5, v4 :: v_dual_mul_f32 v5, v7, v13
	s_delay_alu instid0(VALU_DEP_1) | instskip(NEXT) | instid1(VALU_DEP_2)
	v_add_f32_e32 v4, v6, v4
	v_fmac_f32_e32 v56, v5, v58
	s_delay_alu instid0(VALU_DEP_2) | instskip(SKIP_1) | instid1(VALU_DEP_2)
	v_add_f32_e32 v4, v7, v4
	s_wait_dscnt 0x2
	v_fmac_f32_e32 v56, v3, v12
	s_delay_alu instid0(VALU_DEP_2) | instskip(NEXT) | instid1(VALU_DEP_2)
	v_add_f32_e32 v3, v8, v4
	v_mov_b32_e32 v10, v56
.LBB80_40:                              ;   in Loop: Header=BB80_3 Depth=1
	v_add_co_u32 v23, vcc_lo, v23, s24
	s_wait_alu 0xfffd
	v_add_co_ci_u32_e64 v24, null, s25, v24, vcc_lo
	v_add_co_u32 v25, vcc_lo, v25, s24
	s_wait_alu 0xfffd
	v_add_co_ci_u32_e64 v26, null, s25, v26, vcc_lo
	;; [unrolled: 3-line block ×10, first 2 shown]
	v_add_co_u32 v43, vcc_lo, v43, s24
	s_wait_dscnt 0x0
	v_dual_sub_f32 v2, v17, v2 :: v_dual_add_f32 v55, v3, v9
	s_wait_alu 0xfffd
	v_add_co_ci_u32_e64 v44, null, s25, v44, vcc_lo
	v_add_co_u32 v45, vcc_lo, v45, s24
	s_wait_alu 0xfffd
	v_add_co_ci_u32_e64 v46, null, s25, v46, vcc_lo
	v_add_co_u32 v47, vcc_lo, v47, s24
	;; [unrolled: 3-line block ×3, first 2 shown]
	s_add_nc_u64 s[28:29], s[28:29], s[22:23]
	v_mul_f32_e32 v2, v9, v2
	s_wait_alu 0xfffd
	v_add_co_ci_u32_e64 v50, null, s25, v50, vcc_lo
	v_add_co_u32 v51, vcc_lo, v51, s24
	s_wait_alu 0xfffe
	v_cmp_lt_i64_e64 s3, s[28:29], s[4:5]
	s_wait_alu 0xfffd
	v_add_co_ci_u32_e64 v52, null, s25, v52, vcc_lo
	v_add_co_u32 v53, vcc_lo, v53, s24
	v_fmac_f32_e32 v10, v2, v60
	s_wait_alu 0xfffd
	v_add_co_ci_u32_e64 v54, null, s25, v54, vcc_lo
	s_and_b32 vcc_lo, exec_lo, s3
	s_add_nc_u64 s[26:27], s[26:27], s[22:23]
	s_wait_alu 0xfffe
	s_cbranch_vccz .LBB80_50
; %bb.41:                               ;   in Loop: Header=BB80_3 Depth=1
	v_mov_b32_e32 v56, v10
	s_branch .LBB80_3
.LBB80_42:                              ;   in Loop: Header=BB80_3 Depth=1
	v_add_co_u32 v2, vcc_lo, v23, v18
	s_wait_alu 0xfffd
	v_add_co_ci_u32_e64 v3, null, v24, v19, vcc_lo
	v_add_co_u32 v4, vcc_lo, v25, v18
	s_wait_alu 0xfffd
	v_add_co_ci_u32_e64 v5, null, v26, v19, vcc_lo
	global_load_u16 v2, v[2:3], off
	global_load_u16 v10, v[4:5], off
	v_dual_mov_b32 v3, v1 :: v_dual_mov_b32 v4, v1
	v_dual_mov_b32 v5, v1 :: v_dual_mov_b32 v6, v1
	;; [unrolled: 1-line block ×6, first 2 shown]
	v_mov_b32_e32 v15, v1
	v_mov_b32_e32 v17, v1
	s_wait_loadcnt 0x1
	v_cvt_f32_f16_e32 v2, v2
	s_wait_loadcnt 0x0
	v_cvt_f32_f16_e32 v10, v10
	s_wait_alu 0xfffe
	s_or_b32 exec_lo, exec_lo, s3
	s_and_saveexec_b32 s3, s2
	s_cbranch_execz .LBB80_32
.LBB80_43:                              ;   in Loop: Header=BB80_3 Depth=1
	v_add_co_u32 v57, vcc_lo, v51, v18
	s_wait_alu 0xfffd
	v_add_co_ci_u32_e64 v58, null, v52, v19, vcc_lo
	v_add_co_u32 v61, vcc_lo, v53, v18
	s_wait_alu 0xfffd
	v_add_co_ci_u32_e64 v62, null, v54, v19, vcc_lo
	global_load_u16 v3, v[57:58], off
	global_load_u16 v11, v[61:62], off
	s_wait_loadcnt 0x1
	v_cvt_f32_f16_e32 v3, v3
	s_wait_loadcnt 0x0
	v_cvt_f32_f16_e32 v11, v11
	s_wait_alu 0xfffe
	s_or_b32 exec_lo, exec_lo, s3
	s_and_saveexec_b32 s3, s2
	s_cbranch_execz .LBB80_33
.LBB80_44:                              ;   in Loop: Header=BB80_3 Depth=1
	v_add_co_u32 v57, vcc_lo, v47, v18
	s_wait_alu 0xfffd
	v_add_co_ci_u32_e64 v58, null, v48, v19, vcc_lo
	v_add_co_u32 v61, vcc_lo, v49, v18
	s_wait_alu 0xfffd
	v_add_co_ci_u32_e64 v62, null, v50, v19, vcc_lo
	global_load_u16 v4, v[57:58], off
	global_load_u16 v12, v[61:62], off
	s_wait_loadcnt 0x1
	v_cvt_f32_f16_e32 v4, v4
	s_wait_loadcnt 0x0
	v_cvt_f32_f16_e32 v12, v12
	s_wait_alu 0xfffe
	s_or_b32 exec_lo, exec_lo, s3
	s_and_saveexec_b32 s3, s2
	s_cbranch_execz .LBB80_34
.LBB80_45:                              ;   in Loop: Header=BB80_3 Depth=1
	v_add_co_u32 v57, vcc_lo, v43, v18
	s_wait_alu 0xfffd
	v_add_co_ci_u32_e64 v58, null, v44, v19, vcc_lo
	v_add_co_u32 v61, vcc_lo, v45, v18
	s_wait_alu 0xfffd
	v_add_co_ci_u32_e64 v62, null, v46, v19, vcc_lo
	global_load_u16 v5, v[57:58], off
	global_load_u16 v13, v[61:62], off
	s_wait_loadcnt 0x1
	v_cvt_f32_f16_e32 v5, v5
	s_wait_loadcnt 0x0
	v_cvt_f32_f16_e32 v13, v13
	s_wait_alu 0xfffe
	s_or_b32 exec_lo, exec_lo, s3
	s_and_saveexec_b32 s3, s2
	s_cbranch_execz .LBB80_35
.LBB80_46:                              ;   in Loop: Header=BB80_3 Depth=1
	v_add_co_u32 v57, vcc_lo, v39, v18
	s_wait_alu 0xfffd
	v_add_co_ci_u32_e64 v58, null, v40, v19, vcc_lo
	v_add_co_u32 v61, vcc_lo, v41, v18
	s_wait_alu 0xfffd
	v_add_co_ci_u32_e64 v62, null, v42, v19, vcc_lo
	global_load_u16 v6, v[57:58], off
	global_load_u16 v14, v[61:62], off
	s_wait_loadcnt 0x1
	v_cvt_f32_f16_e32 v6, v6
	s_wait_loadcnt 0x0
	v_cvt_f32_f16_e32 v14, v14
	s_wait_alu 0xfffe
	s_or_b32 exec_lo, exec_lo, s3
	s_and_saveexec_b32 s3, s2
	s_cbranch_execz .LBB80_36
.LBB80_47:                              ;   in Loop: Header=BB80_3 Depth=1
	v_add_co_u32 v57, vcc_lo, v35, v18
	s_wait_alu 0xfffd
	v_add_co_ci_u32_e64 v58, null, v36, v19, vcc_lo
	v_add_co_u32 v61, vcc_lo, v37, v18
	s_wait_alu 0xfffd
	v_add_co_ci_u32_e64 v62, null, v38, v19, vcc_lo
	global_load_u16 v7, v[57:58], off
	global_load_u16 v15, v[61:62], off
	s_wait_loadcnt 0x1
	v_cvt_f32_f16_e32 v7, v7
	s_wait_loadcnt 0x0
	v_cvt_f32_f16_e32 v15, v15
	s_wait_alu 0xfffe
	s_or_b32 exec_lo, exec_lo, s3
	s_and_saveexec_b32 s3, s2
	s_cbranch_execz .LBB80_37
.LBB80_48:                              ;   in Loop: Header=BB80_3 Depth=1
	v_add_co_u32 v57, vcc_lo, v31, v18
	s_wait_alu 0xfffd
	v_add_co_ci_u32_e64 v58, null, v32, v19, vcc_lo
	v_add_co_u32 v61, vcc_lo, v33, v18
	s_wait_alu 0xfffd
	v_add_co_ci_u32_e64 v62, null, v34, v19, vcc_lo
	global_load_u16 v8, v[57:58], off
	global_load_u16 v16, v[61:62], off
	s_wait_loadcnt 0x1
	v_cvt_f32_f16_e32 v8, v8
	s_wait_loadcnt 0x0
	v_cvt_f32_f16_e32 v16, v16
	s_wait_alu 0xfffe
	s_or_b32 exec_lo, exec_lo, s3
	s_and_saveexec_b32 s3, s2
	s_cbranch_execnz .LBB80_38
	s_branch .LBB80_39
.LBB80_49:
                                        ; implicit-def: $vgpr10
                                        ; implicit-def: $vgpr55
	s_branch .LBB80_51
.LBB80_50:
	s_cbranch_execnz .LBB80_83
.LBB80_51:
	v_dual_mov_b32 v10, 0 :: v_dual_mov_b32 v55, 0
	s_and_not1_b32 vcc_lo, exec_lo, s31
	s_wait_alu 0xfffe
	s_cbranch_vccnz .LBB80_83
; %bb.52:
	v_bfe_u32 v48, v0, 10, 10
	v_dual_mov_b32 v1, 0 :: v_dual_and_b32 v50, 0x3ff, v0
	s_lshl_b64 s[20:21], s[16:17], 1
	s_mov_b32 s3, 0
	s_delay_alu instid0(VALU_DEP_2) | instskip(SKIP_2) | instid1(VALU_DEP_3)
	v_dual_mov_b32 v84, 0 :: v_dual_lshlrev_b32 v49, 3, v48
	v_dual_mov_b32 v85, 0 :: v_dual_lshlrev_b32 v8, 4, v48
	v_dual_mov_b32 v5, v1 :: v_dual_add_nc_u32 v4, s30, v50
	v_add_co_u32 v10, s2, v49, s16
	s_wait_alu 0xf1ff
	v_add_co_ci_u32_e64 v11, null, 0, 0, s2
	s_delay_alu instid0(VALU_DEP_3) | instskip(NEXT) | instid1(VALU_DEP_3)
	v_lshlrev_b64_e32 v[18:19], 1, v[4:5]
	v_mul_lo_u32 v6, s7, v10
	v_mad_co_u64_u32 v[2:3], null, s6, v10, 0
	s_delay_alu instid0(VALU_DEP_4) | instskip(SKIP_2) | instid1(VALU_DEP_1)
	v_mul_lo_u32 v7, s6, v11
	s_load_b32 s2, s[0:1], 0x44
	s_mov_b32 s19, s3
	v_add3_u32 v3, v3, v7, v6
	v_add_co_u32 v6, s18, v8, s20
	s_wait_alu 0xf1ff
	v_add_co_ci_u32_e64 v7, null, 0, s21, s18
	s_delay_alu instid0(VALU_DEP_3) | instskip(NEXT) | instid1(VALU_DEP_3)
	v_lshlrev_b64_e32 v[4:5], 1, v[2:3]
	v_add_co_u32 v8, vcc_lo, v6, 2
	s_wait_alu 0xfffd
	s_delay_alu instid0(VALU_DEP_3) | instskip(NEXT) | instid1(VALU_DEP_3)
	v_add_co_ci_u32_e64 v9, null, 0, v7, vcc_lo
	v_add_co_u32 v51, vcc_lo, s8, v4
	s_wait_alu 0xfffd
	v_add_co_ci_u32_e64 v52, null, s9, v5, vcc_lo
	v_add_co_u32 v53, vcc_lo, s10, v4
	s_wait_alu 0xfffd
	;; [unrolled: 3-line block ×5, first 2 shown]
	v_add_co_ci_u32_e64 v28, null, 0, v7, vcc_lo
	v_add_co_u32 v42, vcc_lo, v6, 10
	v_mad_co_u64_u32 v[22:23], null, s6, v4, s[8:9]
	v_mul_lo_u32 v5, s6, v5
	v_mul_lo_u32 v15, s7, v4
	v_mad_co_u64_u32 v[36:37], null, s6, v4, s[10:11]
	s_wait_alu 0xfffd
	v_add_co_ci_u32_e64 v30, null, 0, v7, vcc_lo
	v_add_co_u32 v44, vcc_lo, v6, 12
	s_wait_alu 0xfffd
	v_add_co_ci_u32_e64 v32, null, 0, v7, vcc_lo
	v_add_co_u32 v6, vcc_lo, v6, 14
	v_mad_co_u64_u32 v[20:21], null, s6, v8, s[8:9]
	v_mul_lo_u32 v9, s6, v9
	v_mul_lo_u32 v12, s7, v8
	v_mad_co_u64_u32 v[34:35], null, s6, v8, s[10:11]
	s_wait_alu 0xfffd
	v_add_co_ci_u32_e64 v7, null, 0, v7, vcc_lo
	v_add_co_u32 v4, vcc_lo, v10, 7
	v_add3_u32 v23, v15, v23, v5
	v_add3_u32 v37, v15, v37, v5
	s_wait_alu 0xfffd
	v_add_co_ci_u32_e64 v5, null, 0, v11, vcc_lo
	v_mul_lo_u32 v61, s6, v7
	v_add_co_u32 v7, vcc_lo, v10, 6
	v_add3_u32 v21, v12, v21, v9
	v_add3_u32 v35, v12, v35, v9
	s_wait_alu 0xfffd
	v_add_co_ci_u32_e64 v12, null, 0, v11, vcc_lo
	v_mul_lo_u32 v8, s7, v4
	v_mul_lo_u32 v9, s6, v5
	v_mad_co_u64_u32 v[4:5], null, s6, v4, 0
	v_mad_co_u64_u32 v[24:25], null, s6, v13, s[8:9]
	v_mul_lo_u32 v17, s7, v13
	v_mul_lo_u32 v59, s6, v32
	v_mad_co_u64_u32 v[32:33], null, s6, v6, s[8:9]
	v_mul_lo_u32 v62, s7, v6
	v_mad_co_u64_u32 v[38:39], null, s6, v13, s[10:11]
	v_mad_co_u64_u32 v[46:47], null, s6, v6, s[10:11]
	v_mul_lo_u32 v13, s7, v7
	v_mul_lo_u32 v12, s6, v12
	v_mad_co_u64_u32 v[6:7], null, s6, v7, 0
	v_add3_u32 v5, v5, v9, v8
	v_add_co_u32 v8, vcc_lo, v10, 5
	v_mad_co_u64_u32 v[26:27], null, s6, v16, s[8:9]
	v_mul_lo_u32 v55, s6, v28
	v_mul_lo_u32 v56, s7, v16
	v_mad_co_u64_u32 v[40:41], null, s6, v16, s[10:11]
	s_wait_alu 0xfffd
	v_add_co_ci_u32_e64 v9, null, 0, v11, vcc_lo
	v_add3_u32 v7, v7, v12, v13
	v_mad_co_u64_u32 v[28:29], null, s6, v42, s[8:9]
	v_mul_lo_u32 v57, s6, v30
	v_mul_lo_u32 v58, s7, v42
	v_mad_co_u64_u32 v[42:43], null, s6, v42, s[10:11]
	v_lshlrev_b64_e32 v[4:5], 1, v[4:5]
	v_mad_co_u64_u32 v[30:31], null, s6, v44, s[8:9]
	v_mul_lo_u32 v60, s7, v44
	v_mad_co_u64_u32 v[44:45], null, s6, v44, s[10:11]
	v_mul_lo_u32 v12, s7, v8
	v_mul_lo_u32 v13, s6, v9
	v_mad_co_u64_u32 v[8:9], null, s6, v8, 0
	v_lshlrev_b64_e32 v[6:7], 1, v[6:7]
	v_add3_u32 v27, v56, v27, v55
	v_add3_u32 v41, v56, v41, v55
	v_add_co_u32 v56, vcc_lo, s8, v4
	v_add3_u32 v29, v58, v29, v57
	v_add3_u32 v43, v58, v43, v57
	s_wait_alu 0xfffd
	v_add_co_ci_u32_e64 v57, null, s9, v5, vcc_lo
	v_add_co_u32 v58, vcc_lo, s10, v4
	v_add3_u32 v31, v60, v31, v59
	v_add3_u32 v45, v60, v45, v59
	s_wait_alu 0xfffd
	v_add_co_ci_u32_e64 v59, null, s11, v5, vcc_lo
	v_add_co_u32 v60, vcc_lo, s8, v6
	v_mul_lo_u32 v14, s6, v14
	v_add3_u32 v9, v9, v13, v12
	v_add3_u32 v33, v62, v33, v61
	;; [unrolled: 1-line block ×3, first 2 shown]
	s_wait_alu 0xfffd
	v_add_co_ci_u32_e64 v61, null, s9, v7, vcc_lo
	v_add_co_u32 v12, vcc_lo, v10, 4
	s_wait_kmcnt 0x0
	s_lshl_b32 s18, s2, 7
	v_add_co_u32 v62, s2, s10, v6
	s_wait_alu 0xfffd
	v_add_co_ci_u32_e64 v6, null, 0, v11, vcc_lo
	v_lshlrev_b64_e32 v[4:5], 1, v[8:9]
	v_add_co_u32 v8, vcc_lo, v10, 3
	s_wait_alu 0xfffd
	v_add_co_ci_u32_e64 v9, null, 0, v11, vcc_lo
	v_add3_u32 v25, v17, v25, v14
	v_add3_u32 v39, v17, v39, v14
	s_wait_alu 0xf1ff
	v_add_co_ci_u32_e64 v63, null, s11, v7, s2
	v_mul_lo_u32 v13, s7, v12
	v_mul_lo_u32 v14, s6, v6
	v_mad_co_u64_u32 v[6:7], null, s6, v12, 0
	v_mul_lo_u32 v12, s7, v8
	v_mul_lo_u32 v15, s6, v9
	v_mad_co_u64_u32 v[8:9], null, s6, v8, 0
	v_add_co_u32 v64, vcc_lo, s8, v4
	s_wait_alu 0xfffd
	v_add_co_ci_u32_e64 v65, null, s9, v5, vcc_lo
	v_add3_u32 v7, v7, v14, v13
	v_add_co_u32 v66, vcc_lo, s10, v4
	s_wait_alu 0xfffd
	v_add_co_ci_u32_e64 v67, null, s11, v5, vcc_lo
	v_add_co_u32 v10, vcc_lo, v10, 2
	v_add3_u32 v9, v9, v15, v12
	s_wait_alu 0xfffd
	v_add_co_ci_u32_e64 v11, null, 0, v11, vcc_lo
	v_lshlrev_b64_e32 v[4:5], 1, v[6:7]
	v_mul_lo_u32 v12, s7, v10
	v_lshlrev_b64_e32 v[6:7], 1, v[8:9]
	s_delay_alu instid0(VALU_DEP_4)
	v_mul_lo_u32 v11, s6, v11
	v_mad_co_u64_u32 v[8:9], null, s6, v10, 0
	v_add_co_u32 v68, vcc_lo, s8, v4
	s_wait_alu 0xfffd
	v_add_co_ci_u32_e64 v69, null, s9, v5, vcc_lo
	v_add_co_u32 v70, vcc_lo, s10, v4
	s_wait_alu 0xfffd
	v_add_co_ci_u32_e64 v71, null, s11, v5, vcc_lo
	;; [unrolled: 3-line block ×3, first 2 shown]
	v_add3_u32 v9, v9, v11, v12
	v_add_co_u32 v74, vcc_lo, s10, v6
	s_wait_alu 0xfffd
	v_add_co_ci_u32_e64 v75, null, s11, v7, vcc_lo
	v_add_co_u32 v2, vcc_lo, v2, s6
	s_wait_alu 0xfffd
	v_add_co_ci_u32_e64 v3, null, s7, v3, vcc_lo
	v_lshlrev_b64_e32 v[4:5], 1, v[8:9]
	s_wait_alu 0xfffe
	s_mul_u64 s[20:21], s[6:7], s[18:19]
	s_delay_alu instid0(VALU_DEP_2) | instskip(NEXT) | instid1(VALU_DEP_2)
	v_lshlrev_b64_e32 v[2:3], 1, v[2:3]
	v_add_co_u32 v76, vcc_lo, s8, v4
	s_wait_alu 0xfffd
	v_add_co_ci_u32_e64 v77, null, s9, v5, vcc_lo
	v_add_co_u32 v78, vcc_lo, s10, v4
	s_wait_alu 0xfffd
	v_add_co_ci_u32_e64 v79, null, s11, v5, vcc_lo
	;; [unrolled: 3-line block ×4, first 2 shown]
	s_add_nc_u64 s[8:9], s[0:1], 64
	s_wait_alu 0xfffe
	s_lshl_b64 s[10:11], s[20:21], 1
	s_add_nc_u64 s[20:21], s[16:17], 0x7f
.LBB80_53:                              ; =>This Inner Loop Header: Depth=1
	s_wait_alu 0xfffe
	v_cmp_ge_i64_e64 s2, s[20:21], s[4:5]
	v_add_co_u32 v86, s22, v49, s20
	s_wait_alu 0xf1ff
	v_add_co_ci_u32_e64 v87, null, 0, s21, s22
                                        ; implicit-def: $vgpr55
                                        ; implicit-def: $vgpr10
	s_and_b32 vcc_lo, exec_lo, s2
	s_mov_b32 s2, -1
	s_wait_alu 0xfffe
	s_cbranch_vccz .LBB80_75
; %bb.54:                               ;   in Loop: Header=BB80_53 Depth=1
	s_load_b32 s2, s[8:9], 0xc
	v_dual_mov_b32 v88, 0 :: v_dual_mov_b32 v55, 0
	s_wait_kmcnt 0x0
	s_and_b32 s2, s2, 0xffff
	s_wait_alu 0xfffe
	v_mad_u32_u24 v2, v48, s2, v50
	s_mov_b32 s2, exec_lo
	s_delay_alu instid0(VALU_DEP_1) | instskip(NEXT) | instid1(VALU_DEP_1)
	v_and_b32_e32 v2, 31, v2
	v_cmpx_gt_u32_e32 8, v2
	s_cbranch_execz .LBB80_58
; %bb.55:                               ;   in Loop: Header=BB80_53 Depth=1
	v_add_co_u32 v2, vcc_lo, v86, v2
	s_wait_alu 0xfffd
	v_add_co_ci_u32_e64 v3, null, 0, v87, vcc_lo
	v_dual_mov_b32 v55, 0 :: v_dual_mov_b32 v88, 0
	s_delay_alu instid0(VALU_DEP_3) | instskip(SKIP_1) | instid1(VALU_DEP_3)
	v_add_co_u32 v2, vcc_lo, 0xffffff81, v2
	s_wait_alu 0xfffd
	v_add_co_ci_u32_e64 v3, null, -1, v3, vcc_lo
	s_mov_b32 s22, exec_lo
	v_cmpx_gt_i64_e64 s[4:5], v[2:3]
	s_cbranch_execz .LBB80_57
; %bb.56:                               ;   in Loop: Header=BB80_53 Depth=1
	v_lshlrev_b64_e32 v[2:3], 2, v[2:3]
	s_delay_alu instid0(VALU_DEP_1) | instskip(SKIP_1) | instid1(VALU_DEP_2)
	v_add_co_u32 v4, vcc_lo, s12, v2
	s_wait_alu 0xfffd
	v_add_co_ci_u32_e64 v5, null, s13, v3, vcc_lo
	v_add_co_u32 v2, vcc_lo, s14, v2
	s_wait_alu 0xfffd
	v_add_co_ci_u32_e64 v3, null, s15, v3, vcc_lo
	global_load_b32 v55, v[4:5], off
	global_load_b32 v88, v[2:3], off
.LBB80_57:                              ;   in Loop: Header=BB80_53 Depth=1
	s_wait_alu 0xfffe
	s_or_b32 exec_lo, exec_lo, s22
.LBB80_58:                              ;   in Loop: Header=BB80_53 Depth=1
	s_wait_alu 0xfffe
	s_or_b32 exec_lo, exec_lo, s2
	v_add_co_u32 v9, vcc_lo, 0xffffff81, v86
	s_wait_alu 0xfffd
	v_add_co_ci_u32_e64 v10, null, -1, v87, vcc_lo
	v_mov_b32_e32 v8, v1
	v_dual_mov_b32 v2, v1 :: v_dual_mov_b32 v3, v1
	v_dual_mov_b32 v4, v1 :: v_dual_mov_b32 v5, v1
	v_dual_mov_b32 v6, v1 :: v_dual_mov_b32 v7, v1
	v_cmp_gt_i64_e32 vcc_lo, s[4:5], v[9:10]
	s_delay_alu instid0(VALU_DEP_3) | instskip(NEXT) | instid1(VALU_DEP_3)
	v_dual_mov_b32 v17, v8 :: v_dual_mov_b32 v14, v5
	v_dual_mov_b32 v15, v6 :: v_dual_mov_b32 v16, v7
	;; [unrolled: 1-line block ×4, first 2 shown]
	v_mov_b32_e32 v9, v8
	v_mov_b32_e32 v8, v7
	;; [unrolled: 1-line block ×8, first 2 shown]
	s_and_saveexec_b32 s2, vcc_lo
	s_cbranch_execz .LBB80_60
; %bb.59:                               ;   in Loop: Header=BB80_53 Depth=1
	v_add_co_u32 v2, vcc_lo, v51, v18
	s_wait_alu 0xfffd
	v_add_co_ci_u32_e64 v3, null, v52, v19, vcc_lo
	v_add_co_u32 v4, vcc_lo, v53, v18
	s_wait_alu 0xfffd
	v_add_co_ci_u32_e64 v5, null, v54, v19, vcc_lo
	global_load_u16 v2, v[2:3], off
	global_load_u16 v10, v[4:5], off
	v_dual_mov_b32 v3, v1 :: v_dual_mov_b32 v4, v1
	v_dual_mov_b32 v5, v1 :: v_dual_mov_b32 v6, v1
	;; [unrolled: 1-line block ×6, first 2 shown]
	v_mov_b32_e32 v15, v1
	v_mov_b32_e32 v17, v1
	s_wait_loadcnt 0x1
	v_cvt_f32_f16_e32 v2, v2
	s_wait_loadcnt 0x0
	v_cvt_f32_f16_e32 v10, v10
.LBB80_60:                              ;   in Loop: Header=BB80_53 Depth=1
	s_wait_alu 0xfffe
	s_or_b32 exec_lo, exec_lo, s2
	v_add_co_u32 v89, vcc_lo, 0xffffff82, v86
	s_wait_alu 0xfffd
	v_add_co_ci_u32_e64 v90, null, -1, v87, vcc_lo
	s_mov_b32 s2, exec_lo
	v_cmpx_gt_i64_e64 s[4:5], v[89:90]
	s_cbranch_execz .LBB80_62
; %bb.61:                               ;   in Loop: Header=BB80_53 Depth=1
	v_add_co_u32 v89, vcc_lo, v80, v18
	s_wait_alu 0xfffd
	v_add_co_ci_u32_e64 v90, null, v81, v19, vcc_lo
	v_add_co_u32 v91, vcc_lo, v82, v18
	s_wait_alu 0xfffd
	v_add_co_ci_u32_e64 v92, null, v83, v19, vcc_lo
	global_load_u16 v3, v[89:90], off
	global_load_u16 v11, v[91:92], off
	s_wait_loadcnt 0x1
	v_cvt_f32_f16_e32 v3, v3
	s_wait_loadcnt 0x0
	v_cvt_f32_f16_e32 v11, v11
.LBB80_62:                              ;   in Loop: Header=BB80_53 Depth=1
	s_wait_alu 0xfffe
	s_or_b32 exec_lo, exec_lo, s2
	v_add_co_u32 v89, vcc_lo, 0xffffff83, v86
	s_wait_alu 0xfffd
	v_add_co_ci_u32_e64 v90, null, -1, v87, vcc_lo
	s_mov_b32 s2, exec_lo
	v_cmpx_gt_i64_e64 s[4:5], v[89:90]
	s_cbranch_execz .LBB80_64
; %bb.63:                               ;   in Loop: Header=BB80_53 Depth=1
	v_add_co_u32 v89, vcc_lo, v76, v18
	s_wait_alu 0xfffd
	v_add_co_ci_u32_e64 v90, null, v77, v19, vcc_lo
	v_add_co_u32 v91, vcc_lo, v78, v18
	s_wait_alu 0xfffd
	v_add_co_ci_u32_e64 v92, null, v79, v19, vcc_lo
	global_load_u16 v4, v[89:90], off
	global_load_u16 v12, v[91:92], off
	s_wait_loadcnt 0x1
	v_cvt_f32_f16_e32 v4, v4
	s_wait_loadcnt 0x0
	v_cvt_f32_f16_e32 v12, v12
.LBB80_64:                              ;   in Loop: Header=BB80_53 Depth=1
	s_wait_alu 0xfffe
	s_or_b32 exec_lo, exec_lo, s2
	v_add_co_u32 v89, vcc_lo, 0xffffff84, v86
	s_wait_alu 0xfffd
	v_add_co_ci_u32_e64 v90, null, -1, v87, vcc_lo
	s_mov_b32 s2, exec_lo
	v_cmpx_gt_i64_e64 s[4:5], v[89:90]
	s_cbranch_execz .LBB80_66
; %bb.65:                               ;   in Loop: Header=BB80_53 Depth=1
	v_add_co_u32 v89, vcc_lo, v72, v18
	s_wait_alu 0xfffd
	v_add_co_ci_u32_e64 v90, null, v73, v19, vcc_lo
	v_add_co_u32 v91, vcc_lo, v74, v18
	s_wait_alu 0xfffd
	v_add_co_ci_u32_e64 v92, null, v75, v19, vcc_lo
	global_load_u16 v5, v[89:90], off
	global_load_u16 v13, v[91:92], off
	s_wait_loadcnt 0x1
	v_cvt_f32_f16_e32 v5, v5
	s_wait_loadcnt 0x0
	v_cvt_f32_f16_e32 v13, v13
.LBB80_66:                              ;   in Loop: Header=BB80_53 Depth=1
	s_wait_alu 0xfffe
	s_or_b32 exec_lo, exec_lo, s2
	v_add_co_u32 v89, vcc_lo, 0xffffff85, v86
	s_wait_alu 0xfffd
	v_add_co_ci_u32_e64 v90, null, -1, v87, vcc_lo
	s_mov_b32 s2, exec_lo
	v_cmpx_gt_i64_e64 s[4:5], v[89:90]
	s_cbranch_execz .LBB80_68
; %bb.67:                               ;   in Loop: Header=BB80_53 Depth=1
	v_add_co_u32 v89, vcc_lo, v68, v18
	s_wait_alu 0xfffd
	v_add_co_ci_u32_e64 v90, null, v69, v19, vcc_lo
	v_add_co_u32 v91, vcc_lo, v70, v18
	s_wait_alu 0xfffd
	v_add_co_ci_u32_e64 v92, null, v71, v19, vcc_lo
	global_load_u16 v6, v[89:90], off
	global_load_u16 v14, v[91:92], off
	s_wait_loadcnt 0x1
	v_cvt_f32_f16_e32 v6, v6
	s_wait_loadcnt 0x0
	v_cvt_f32_f16_e32 v14, v14
.LBB80_68:                              ;   in Loop: Header=BB80_53 Depth=1
	s_wait_alu 0xfffe
	s_or_b32 exec_lo, exec_lo, s2
	v_add_co_u32 v89, vcc_lo, 0xffffff86, v86
	s_wait_alu 0xfffd
	v_add_co_ci_u32_e64 v90, null, -1, v87, vcc_lo
	s_mov_b32 s2, exec_lo
	v_cmpx_gt_i64_e64 s[4:5], v[89:90]
	s_cbranch_execz .LBB80_70
; %bb.69:                               ;   in Loop: Header=BB80_53 Depth=1
	v_add_co_u32 v89, vcc_lo, v64, v18
	s_wait_alu 0xfffd
	v_add_co_ci_u32_e64 v90, null, v65, v19, vcc_lo
	v_add_co_u32 v91, vcc_lo, v66, v18
	s_wait_alu 0xfffd
	v_add_co_ci_u32_e64 v92, null, v67, v19, vcc_lo
	global_load_u16 v7, v[89:90], off
	global_load_u16 v15, v[91:92], off
	s_wait_loadcnt 0x1
	v_cvt_f32_f16_e32 v7, v7
	s_wait_loadcnt 0x0
	v_cvt_f32_f16_e32 v15, v15
.LBB80_70:                              ;   in Loop: Header=BB80_53 Depth=1
	s_wait_alu 0xfffe
	s_or_b32 exec_lo, exec_lo, s2
	v_add_co_u32 v89, vcc_lo, 0xffffff87, v86
	s_wait_alu 0xfffd
	v_add_co_ci_u32_e64 v90, null, -1, v87, vcc_lo
	s_mov_b32 s2, exec_lo
	v_cmpx_gt_i64_e64 s[4:5], v[89:90]
	s_cbranch_execz .LBB80_72
; %bb.71:                               ;   in Loop: Header=BB80_53 Depth=1
	v_add_co_u32 v89, vcc_lo, v60, v18
	s_wait_alu 0xfffd
	v_add_co_ci_u32_e64 v90, null, v61, v19, vcc_lo
	v_add_co_u32 v91, vcc_lo, v62, v18
	s_wait_alu 0xfffd
	v_add_co_ci_u32_e64 v92, null, v63, v19, vcc_lo
	global_load_u16 v8, v[89:90], off
	global_load_u16 v16, v[91:92], off
	s_wait_loadcnt 0x1
	v_cvt_f32_f16_e32 v8, v8
	s_wait_loadcnt 0x0
	v_cvt_f32_f16_e32 v16, v16
.LBB80_72:                              ;   in Loop: Header=BB80_53 Depth=1
	s_wait_alu 0xfffe
	s_or_b32 exec_lo, exec_lo, s2
	v_add_co_u32 v89, vcc_lo, 0xffffff88, v86
	s_wait_alu 0xfffd
	v_add_co_ci_u32_e64 v90, null, -1, v87, vcc_lo
	s_mov_b32 s2, exec_lo
	v_cmpx_gt_i64_e64 s[4:5], v[89:90]
	s_cbranch_execz .LBB80_74
; %bb.73:                               ;   in Loop: Header=BB80_53 Depth=1
	v_add_co_u32 v89, vcc_lo, v56, v18
	s_wait_alu 0xfffd
	v_add_co_ci_u32_e64 v90, null, v57, v19, vcc_lo
	v_add_co_u32 v91, vcc_lo, v58, v18
	s_wait_alu 0xfffd
	v_add_co_ci_u32_e64 v92, null, v59, v19, vcc_lo
	global_load_u16 v9, v[89:90], off
	global_load_u16 v17, v[91:92], off
	s_wait_loadcnt 0x1
	v_cvt_f32_f16_e32 v9, v9
	s_wait_loadcnt 0x0
	v_cvt_f32_f16_e32 v17, v17
.LBB80_74:                              ;   in Loop: Header=BB80_53 Depth=1
	s_wait_alu 0xfffe
	s_or_b32 exec_lo, exec_lo, s2
	s_wait_loadcnt 0x1
	ds_bpermute_b32 v90, v1, v55
	s_wait_loadcnt 0x0
	ds_bpermute_b32 v89, v1, v88
	s_mov_b32 s2, 0
	s_wait_dscnt 0x1
	v_sub_f32_e32 v10, v10, v90
	ds_bpermute_b32 v90, v1, v55 offset:4
	s_wait_dscnt 0x0
	v_sub_f32_e32 v11, v11, v90
	s_delay_alu instid0(VALU_DEP_1) | instskip(NEXT) | instid1(VALU_DEP_1)
	v_dual_mul_f32 v11, v3, v11 :: v_dual_mul_f32 v10, v2, v10
	v_fma_f32 v10, v10, v89, v84
	ds_bpermute_b32 v89, v1, v88 offset:4
	s_wait_dscnt 0x0
	v_fmac_f32_e32 v10, v11, v89
	ds_bpermute_b32 v11, v1, v55 offset:8
	s_wait_dscnt 0x0
	v_dual_sub_f32 v11, v12, v11 :: v_dual_add_f32 v2, v85, v2
	s_delay_alu instid0(VALU_DEP_1) | instskip(SKIP_4) | instid1(VALU_DEP_1)
	v_dual_mul_f32 v11, v4, v11 :: v_dual_add_f32 v2, v3, v2
	ds_bpermute_b32 v3, v1, v88 offset:8
	v_add_f32_e32 v2, v4, v2
	ds_bpermute_b32 v4, v1, v55 offset:12
	v_add_f32_e32 v2, v5, v2
	v_add_f32_e32 v2, v6, v2
	s_delay_alu instid0(VALU_DEP_1)
	v_add_f32_e32 v2, v7, v2
	s_wait_dscnt 0x1
	v_fmac_f32_e32 v10, v11, v3
	ds_bpermute_b32 v3, v1, v88 offset:12
	v_add_f32_e32 v2, v8, v2
	s_wait_dscnt 0x1
	v_sub_f32_e32 v4, v13, v4
	s_delay_alu instid0(VALU_DEP_1) | instskip(SKIP_1) | instid1(VALU_DEP_1)
	v_mul_f32_e32 v4, v5, v4
	s_wait_dscnt 0x0
	v_fmac_f32_e32 v10, v4, v3
	ds_bpermute_b32 v4, v1, v55 offset:16
	ds_bpermute_b32 v3, v1, v88 offset:16
	s_wait_dscnt 0x1
	v_sub_f32_e32 v4, v14, v4
	s_delay_alu instid0(VALU_DEP_1) | instskip(SKIP_1) | instid1(VALU_DEP_1)
	v_mul_f32_e32 v4, v6, v4
	s_wait_dscnt 0x0
	v_fmac_f32_e32 v10, v4, v3
	ds_bpermute_b32 v4, v1, v55 offset:20
	ds_bpermute_b32 v3, v1, v88 offset:20
	s_wait_dscnt 0x1
	v_sub_f32_e32 v4, v15, v4
	s_delay_alu instid0(VALU_DEP_1) | instskip(SKIP_1) | instid1(VALU_DEP_1)
	v_mul_f32_e32 v4, v7, v4
	s_wait_dscnt 0x0
	v_fmac_f32_e32 v10, v4, v3
	ds_bpermute_b32 v4, v1, v55 offset:24
	ds_bpermute_b32 v3, v1, v88 offset:24
	s_wait_dscnt 0x1
	v_sub_f32_e32 v4, v16, v4
	s_delay_alu instid0(VALU_DEP_1) | instskip(SKIP_1) | instid1(VALU_DEP_1)
	v_mul_f32_e32 v4, v8, v4
	s_wait_dscnt 0x0
	v_fmac_f32_e32 v10, v4, v3
	ds_bpermute_b32 v4, v1, v55 offset:28
	ds_bpermute_b32 v3, v1, v88 offset:28
	v_add_f32_e32 v55, v9, v2
	s_wait_dscnt 0x1
	v_sub_f32_e32 v4, v17, v4
	s_delay_alu instid0(VALU_DEP_1) | instskip(SKIP_1) | instid1(VALU_DEP_1)
	v_mul_f32_e32 v4, v9, v4
	s_wait_dscnt 0x0
	v_fmac_f32_e32 v10, v4, v3
.LBB80_75:                              ;   in Loop: Header=BB80_53 Depth=1
	s_wait_alu 0xfffe
	s_and_b32 vcc_lo, exec_lo, s2
	s_wait_alu 0xfffe
	s_cbranch_vccz .LBB80_81
; %bb.76:                               ;   in Loop: Header=BB80_53 Depth=1
	s_load_b32 s2, s[8:9], 0x0
	v_dual_mov_b32 v4, 0 :: v_dual_mov_b32 v5, 0
	s_wait_kmcnt 0x0
	s_cmp_lt_u32 ttmp9, s2
	s_cselect_b32 s2, 12, 18
	s_wait_alu 0xfffe
	s_add_nc_u64 s[22:23], s[8:9], s[2:3]
	s_load_u16 s2, s[22:23], 0x0
	s_wait_kmcnt 0x0
	v_mad_u32_u24 v2, v48, s2, v50
	s_mov_b32 s2, exec_lo
	s_delay_alu instid0(VALU_DEP_1) | instskip(NEXT) | instid1(VALU_DEP_1)
	v_and_b32_e32 v2, 31, v2
	v_cmpx_gt_u32_e32 8, v2
	s_cbranch_execz .LBB80_80
; %bb.77:                               ;   in Loop: Header=BB80_53 Depth=1
	v_add_co_u32 v2, vcc_lo, v86, v2
	s_wait_alu 0xfffd
	v_add_co_ci_u32_e64 v3, null, 0, v87, vcc_lo
	v_dual_mov_b32 v4, 0 :: v_dual_mov_b32 v5, 0
	s_delay_alu instid0(VALU_DEP_3) | instskip(SKIP_1) | instid1(VALU_DEP_3)
	v_add_co_u32 v2, vcc_lo, 0xffffff81, v2
	s_wait_alu 0xfffd
	v_add_co_ci_u32_e64 v3, null, -1, v3, vcc_lo
	s_mov_b32 s22, exec_lo
	v_cmpx_gt_i64_e64 s[4:5], v[2:3]
	s_cbranch_execz .LBB80_79
; %bb.78:                               ;   in Loop: Header=BB80_53 Depth=1
	v_lshlrev_b64_e32 v[2:3], 2, v[2:3]
	s_delay_alu instid0(VALU_DEP_1) | instskip(SKIP_1) | instid1(VALU_DEP_2)
	v_add_co_u32 v4, vcc_lo, s12, v2
	s_wait_alu 0xfffd
	v_add_co_ci_u32_e64 v5, null, s13, v3, vcc_lo
	v_add_co_u32 v2, vcc_lo, s14, v2
	s_wait_alu 0xfffd
	v_add_co_ci_u32_e64 v3, null, s15, v3, vcc_lo
	global_load_b32 v4, v[4:5], off
	global_load_b32 v5, v[2:3], off
.LBB80_79:                              ;   in Loop: Header=BB80_53 Depth=1
	s_wait_alu 0xfffe
	s_or_b32 exec_lo, exec_lo, s22
.LBB80_80:                              ;   in Loop: Header=BB80_53 Depth=1
	s_wait_alu 0xfffe
	s_or_b32 exec_lo, exec_lo, s2
	v_add_co_u32 v2, vcc_lo, v51, v18
	s_wait_alu 0xfffd
	v_add_co_ci_u32_e64 v3, null, v52, v19, vcc_lo
	s_wait_loadcnt 0x1
	ds_bpermute_b32 v88, v1, v4
	global_load_u16 v2, v[2:3], off
	s_wait_loadcnt 0x0
	v_cvt_f32_f16_e32 v6, v2
	v_add_co_u32 v2, vcc_lo, v53, v18
	s_wait_alu 0xfffd
	v_add_co_ci_u32_e64 v3, null, v54, v19, vcc_lo
	global_load_u16 v2, v[2:3], off
	s_wait_loadcnt 0x0
	v_cvt_f32_f16_e32 v7, v2
	v_add_co_u32 v2, vcc_lo, v20, v18
	s_wait_alu 0xfffd
	v_add_co_ci_u32_e64 v3, null, v21, v19, vcc_lo
	;; [unrolled: 6-line block ×15, first 2 shown]
	s_wait_dscnt 0x0
	v_sub_f32_e32 v7, v7, v88
	global_load_u16 v2, v[2:3], off
	ds_bpermute_b32 v3, v1, v5
	s_wait_loadcnt 0x0
	v_cvt_f32_f16_e32 v2, v2
	v_mul_f32_e32 v7, v7, v6
	s_wait_dscnt 0x0
	s_delay_alu instid0(VALU_DEP_1) | instskip(SKIP_3) | instid1(VALU_DEP_1)
	v_dual_fmac_f32 v84, v7, v3 :: v_dual_add_f32 v3, v85, v6
	ds_bpermute_b32 v7, v1, v4 offset:4
	ds_bpermute_b32 v6, v1, v5 offset:4
	v_add_f32_e32 v3, v3, v8
	v_add_f32_e32 v3, v3, v10
	s_delay_alu instid0(VALU_DEP_1) | instskip(NEXT) | instid1(VALU_DEP_1)
	v_add_f32_e32 v3, v3, v12
	v_add_f32_e32 v3, v3, v14
	s_wait_dscnt 0x1
	v_sub_f32_e32 v7, v9, v7
	s_delay_alu instid0(VALU_DEP_2) | instskip(NEXT) | instid1(VALU_DEP_2)
	v_add_f32_e32 v3, v3, v16
	v_mul_f32_e32 v7, v7, v8
	s_delay_alu instid0(VALU_DEP_2) | instskip(SKIP_1) | instid1(VALU_DEP_2)
	v_add_f32_e32 v3, v3, v55
	s_wait_dscnt 0x0
	v_fmac_f32_e32 v84, v7, v6
	ds_bpermute_b32 v7, v1, v4 offset:8
	ds_bpermute_b32 v6, v1, v5 offset:8
	s_wait_dscnt 0x1
	v_sub_f32_e32 v7, v11, v7
	s_delay_alu instid0(VALU_DEP_1) | instskip(SKIP_1) | instid1(VALU_DEP_1)
	v_mul_f32_e32 v7, v7, v10
	s_wait_dscnt 0x0
	v_fmac_f32_e32 v84, v7, v6
	ds_bpermute_b32 v7, v1, v4 offset:12
	ds_bpermute_b32 v6, v1, v5 offset:12
	s_wait_dscnt 0x1
	v_sub_f32_e32 v7, v13, v7
	s_delay_alu instid0(VALU_DEP_1) | instskip(SKIP_1) | instid1(VALU_DEP_1)
	v_mul_f32_e32 v7, v7, v12
	;; [unrolled: 8-line block ×4, first 2 shown]
	s_wait_dscnt 0x0
	v_fmac_f32_e32 v84, v7, v6
	ds_bpermute_b32 v7, v1, v4 offset:24
	ds_bpermute_b32 v4, v1, v4 offset:28
	;; [unrolled: 1-line block ×4, first 2 shown]
	s_wait_dscnt 0x3
	v_sub_f32_e32 v7, v86, v7
	s_wait_dscnt 0x2
	s_delay_alu instid0(VALU_DEP_1) | instskip(NEXT) | instid1(VALU_DEP_1)
	v_dual_sub_f32 v2, v2, v4 :: v_dual_mul_f32 v7, v7, v55
	v_mul_f32_e32 v2, v2, v87
	v_add_f32_e32 v55, v3, v87
	s_wait_dscnt 0x1
	s_delay_alu instid0(VALU_DEP_3) | instskip(SKIP_1) | instid1(VALU_DEP_1)
	v_fmac_f32_e32 v84, v7, v6
	s_wait_dscnt 0x0
	v_fmac_f32_e32 v84, v2, v5
	s_delay_alu instid0(VALU_DEP_1)
	v_mov_b32_e32 v10, v84
.LBB80_81:                              ;   in Loop: Header=BB80_53 Depth=1
	v_add_co_u32 v51, vcc_lo, v51, s10
	s_wait_alu 0xfffd
	v_add_co_ci_u32_e64 v52, null, s11, v52, vcc_lo
	v_add_co_u32 v53, vcc_lo, v53, s10
	s_wait_alu 0xfffd
	v_add_co_ci_u32_e64 v54, null, s11, v54, vcc_lo
	;; [unrolled: 3-line block ×27, first 2 shown]
	v_add_co_u32 v78, vcc_lo, v78, s10
	s_add_nc_u64 s[16:17], s[16:17], s[18:19]
	s_wait_alu 0xfffd
	v_add_co_ci_u32_e64 v79, null, s11, v79, vcc_lo
	v_add_co_u32 v80, vcc_lo, v80, s10
	s_wait_alu 0xfffe
	v_cmp_ge_i64_e64 s2, s[16:17], s[4:5]
	s_wait_alu 0xfffd
	v_add_co_ci_u32_e64 v81, null, s11, v81, vcc_lo
	v_add_co_u32 v82, vcc_lo, v82, s10
	s_wait_alu 0xfffd
	v_add_co_ci_u32_e64 v83, null, s11, v83, vcc_lo
	s_and_b32 vcc_lo, exec_lo, s2
	s_add_nc_u64 s[20:21], s[20:21], s[18:19]
	s_wait_alu 0xfffe
	s_cbranch_vccnz .LBB80_83
; %bb.82:                               ;   in Loop: Header=BB80_53 Depth=1
	v_dual_mov_b32 v85, v55 :: v_dual_mov_b32 v84, v10
	s_branch .LBB80_53
.LBB80_83:
	v_and_b32_e32 v8, 0x3ff, v0
	v_bfe_u32 v0, v0, 10, 10
	s_mov_b32 s2, exec_lo
	s_delay_alu instid0(VALU_DEP_1) | instskip(NEXT) | instid1(VALU_DEP_1)
	v_mad_u32_u24 v1, 0x41, v0, v8
	v_lshl_add_u32 v2, v1, 2, 0
	v_sub_nc_u32_e32 v3, v1, v0
	ds_store_b32 v2, v10
	ds_store_b32 v2, v55 offset:4160
	s_wait_dscnt 0x0
	s_barrier_signal -1
	s_barrier_wait -1
	global_inv scope:SCOPE_SE
	v_cmpx_gt_u32_e32 0x800, v3
	s_cbranch_execz .LBB80_99
; %bb.84:
	s_load_b128 s[8:11], s[0:1], 0x30
	v_and_b32_e32 v0, 31, v8
	v_lshrrev_b32_e32 v2, 5, v3
                                        ; implicit-def: $vgpr1
	s_delay_alu instid0(VALU_DEP_2)
	v_cmp_gt_u32_e64 s0, 16, v0
	v_mul_u32_u24_e32 v4, 0x41, v0
                                        ; implicit-def: $vgpr0
	s_and_saveexec_b32 s1, s0
	s_cbranch_execz .LBB80_86
; %bb.85:
	s_delay_alu instid0(VALU_DEP_1) | instskip(NEXT) | instid1(VALU_DEP_1)
	v_add_nc_u32_e32 v0, v2, v4
	v_lshl_add_u32 v0, v0, 2, 0
	ds_load_b32 v1, v0
	ds_load_b32 v0, v0 offset:4160
.LBB80_86:
	s_or_b32 exec_lo, exec_lo, s1
	v_mbcnt_lo_u32_b32 v9, -1, 0
	s_mov_b32 s2, ttmp9
	s_mov_b32 s3, 0
	v_cmp_eq_u32_e64 s1, 0, v8
	s_wait_alu 0xfffe
	s_lshl_b64 s[2:3], s[2:3], 6
	v_xor_b32_e32 v5, 8, v9
	v_xor_b32_e32 v6, 4, v9
	v_xor_b32_e32 v12, 1, v9
	s_wait_kmcnt 0x0
	s_cmp_lg_u64 s[8:9], 0
	s_cselect_b32 s5, -1, 0
	v_cmp_gt_i32_e32 vcc_lo, 32, v5
	s_cmp_lg_u64 s[10:11], 0
	s_cselect_b32 s4, -1, 0
	s_wait_alu 0xfffd
	v_cndmask_b32_e32 v5, v9, v5, vcc_lo
	v_cmp_gt_i32_e32 vcc_lo, 32, v6
	s_wait_alu 0xfffd
	v_cndmask_b32_e32 v6, v9, v6, vcc_lo
	s_delay_alu instid0(VALU_DEP_1)
	v_lshlrev_b32_e32 v6, 2, v6
	v_lshlrev_b32_e32 v5, 2, v5
	s_wait_dscnt 0x0
	ds_bpermute_b32 v10, v5, v0
	s_wait_dscnt 0x0
	v_add_f32_e32 v0, v0, v10
	ds_bpermute_b32 v7, v5, v1
	ds_bpermute_b32 v11, v6, v0
	s_wait_dscnt 0x1
	v_add_f32_e32 v1, v1, v7
	v_xor_b32_e32 v7, 2, v9
	s_wait_dscnt 0x0
	v_add_f32_e32 v0, v0, v11
	ds_bpermute_b32 v10, v6, v1
	v_cmp_gt_i32_e32 vcc_lo, 32, v7
	s_wait_alu 0xfffd
	v_cndmask_b32_e32 v7, v9, v7, vcc_lo
	v_cmp_gt_i32_e32 vcc_lo, 32, v12
	s_delay_alu instid0(VALU_DEP_2)
	v_lshlrev_b32_e32 v7, 2, v7
	s_wait_alu 0xfffd
	v_cndmask_b32_e32 v9, v9, v12, vcc_lo
	ds_bpermute_b32 v11, v7, v0
	s_wait_dscnt 0x1
	v_add_f32_e32 v1, v1, v10
	ds_bpermute_b32 v10, v7, v1
	v_lshlrev_b32_e32 v9, 2, v9
	s_wait_dscnt 0x1
	v_add_f32_e32 v11, v0, v11
	s_wait_alu 0xfffe
	v_or_b32_e32 v0, s2, v2
	s_wait_dscnt 0x0
	v_add_f32_e32 v10, v1, v10
	ds_bpermute_b32 v13, v9, v11
	v_mov_b32_e32 v1, s3
	ds_bpermute_b32 v12, v9, v10
	v_cmp_gt_i64_e32 vcc_lo, s[6:7], v[0:1]
	s_and_b32 s13, s1, vcc_lo
	s_wait_dscnt 0x0
	v_add_f32_e32 v8, v10, v12
	v_add_f32_e32 v10, v11, v13
	s_wait_alu 0xfffe
	s_and_saveexec_b32 s12, s13
	s_cbranch_execz .LBB80_91
; %bb.87:
	v_lshlrev_b64_e32 v[0:1], 1, v[0:1]
	s_and_not1_b32 vcc_lo, exec_lo, s5
	s_wait_alu 0xfffe
	s_cbranch_vccnz .LBB80_89
; %bb.88:
	s_delay_alu instid0(VALU_DEP_1)
	v_add_co_u32 v11, vcc_lo, s8, v0
	s_wait_alu 0xfffd
	v_add_co_ci_u32_e64 v12, null, s9, v1, vcc_lo
	v_cvt_f16_f32_e32 v13, v8
	global_store_b16 v[11:12], v13, off
.LBB80_89:
	s_and_not1_b32 vcc_lo, exec_lo, s4
	s_wait_alu 0xfffe
	s_cbranch_vccnz .LBB80_91
; %bb.90:
	v_add_co_u32 v0, vcc_lo, s10, v0
	s_wait_alu 0xfffd
	v_add_co_ci_u32_e64 v1, null, s11, v1, vcc_lo
	v_cvt_f16_f32_e32 v11, v10
	global_store_b16 v[0:1], v11, off
.LBB80_91:
	s_wait_alu 0xfffe
	s_or_b32 exec_lo, exec_lo, s12
	v_cmp_gt_u32_e32 vcc_lo, 0x400, v3
	s_and_b32 exec_lo, exec_lo, vcc_lo
	s_cbranch_execz .LBB80_99
; %bb.92:
	s_and_saveexec_b32 s12, s0
	s_cbranch_execz .LBB80_94
; %bb.93:
	v_add_nc_u32_e32 v0, v2, v4
	s_delay_alu instid0(VALU_DEP_1)
	v_lshl_add_u32 v0, v0, 2, 0
	ds_load_b32 v8, v0 offset:128
	ds_load_b32 v10, v0 offset:4288
.LBB80_94:
	s_wait_alu 0xfffe
	s_or_b32 exec_lo, exec_lo, s12
	s_wait_dscnt 0x1
	ds_bpermute_b32 v0, v5, v8
	s_wait_dscnt 0x1
	ds_bpermute_b32 v1, v5, v10
	s_wait_dscnt 0x1
	v_dual_add_f32 v0, v8, v0 :: v_dual_add_nc_u32 v5, 32, v2
	s_wait_dscnt 0x0
	v_add_f32_e32 v1, v10, v1
	ds_bpermute_b32 v3, v6, v0
	ds_bpermute_b32 v4, v6, v1
	v_mov_b32_e32 v6, s3
	v_or_b32_e32 v5, s2, v5
	s_delay_alu instid0(VALU_DEP_1)
	v_cmp_gt_i64_e32 vcc_lo, s[6:7], v[5:6]
	s_and_b32 s0, s1, vcc_lo
	s_wait_dscnt 0x0
	v_dual_add_f32 v0, v0, v3 :: v_dual_add_f32 v1, v1, v4
	ds_bpermute_b32 v3, v7, v0
	ds_bpermute_b32 v4, v7, v1
	s_wait_dscnt 0x0
	v_dual_add_f32 v3, v0, v3 :: v_dual_add_f32 v0, v1, v4
	ds_bpermute_b32 v4, v9, v3
	ds_bpermute_b32 v1, v9, v0
	s_and_b32 exec_lo, exec_lo, s0
	s_cbranch_execz .LBB80_99
; %bb.95:
	s_and_not1_b32 vcc_lo, exec_lo, s5
	s_wait_alu 0xfffe
	s_cbranch_vccnz .LBB80_97
; %bb.96:
	v_add_co_u32 v5, s0, s2, v2
	s_delay_alu instid0(VALU_DEP_1) | instskip(SKIP_2) | instid1(VALU_DEP_2)
	v_add_co_ci_u32_e64 v6, null, s3, 0, s0
	s_wait_dscnt 0x1
	v_add_f32_e32 v7, v3, v4
	v_lshlrev_b64_e32 v[5:6], 1, v[5:6]
	s_delay_alu instid0(VALU_DEP_1) | instskip(SKIP_1) | instid1(VALU_DEP_2)
	v_add_co_u32 v3, vcc_lo, s8, v5
	s_wait_alu 0xfffd
	v_add_co_ci_u32_e64 v4, null, s9, v6, vcc_lo
	v_cvt_f16_f32_e32 v5, v7
	global_store_b16 v[3:4], v5, off offset:64
.LBB80_97:
	s_and_not1_b32 vcc_lo, exec_lo, s4
	s_wait_alu 0xfffe
	s_cbranch_vccnz .LBB80_99
; %bb.98:
	v_add_co_u32 v2, s0, s2, v2
	s_wait_alu 0xf1ff
	v_add_co_ci_u32_e64 v3, null, s3, 0, s0
	s_wait_dscnt 0x0
	v_add_f32_e32 v4, v0, v1
	s_delay_alu instid0(VALU_DEP_2) | instskip(NEXT) | instid1(VALU_DEP_1)
	v_lshlrev_b64_e32 v[2:3], 1, v[2:3]
	v_add_co_u32 v0, vcc_lo, s10, v2
	s_wait_alu 0xfffd
	s_delay_alu instid0(VALU_DEP_2)
	v_add_co_ci_u32_e64 v1, null, s11, v3, vcc_lo
	v_cvt_f16_f32_e32 v2, v4
	global_store_b16 v[0:1], v2, off offset:64
.LBB80_99:
	s_endpgm
	.section	.rodata,"a",@progbits
	.p2align	6, 0x0
	.amdhsa_kernel _ZN2at6native12_GLOBAL__N_135GammaBetaBackwardCUDAKernelTemplateIN3c104HalfEfLj64ELj16ELj128ELb0ELb0ELb0EEEvllPKT_S7_PKT0_SA_PS5_SB_
		.amdhsa_group_segment_fixed_size 0
		.amdhsa_private_segment_fixed_size 0
		.amdhsa_kernarg_size 320
		.amdhsa_user_sgpr_count 2
		.amdhsa_user_sgpr_dispatch_ptr 0
		.amdhsa_user_sgpr_queue_ptr 0
		.amdhsa_user_sgpr_kernarg_segment_ptr 1
		.amdhsa_user_sgpr_dispatch_id 0
		.amdhsa_user_sgpr_private_segment_size 0
		.amdhsa_wavefront_size32 1
		.amdhsa_uses_dynamic_stack 0
		.amdhsa_enable_private_segment 0
		.amdhsa_system_sgpr_workgroup_id_x 1
		.amdhsa_system_sgpr_workgroup_id_y 1
		.amdhsa_system_sgpr_workgroup_id_z 0
		.amdhsa_system_sgpr_workgroup_info 0
		.amdhsa_system_vgpr_workitem_id 1
		.amdhsa_next_free_vgpr 93
		.amdhsa_next_free_sgpr 36
		.amdhsa_reserve_vcc 1
		.amdhsa_float_round_mode_32 0
		.amdhsa_float_round_mode_16_64 0
		.amdhsa_float_denorm_mode_32 3
		.amdhsa_float_denorm_mode_16_64 3
		.amdhsa_fp16_overflow 0
		.amdhsa_workgroup_processor_mode 1
		.amdhsa_memory_ordered 1
		.amdhsa_forward_progress 1
		.amdhsa_inst_pref_size 85
		.amdhsa_round_robin_scheduling 0
		.amdhsa_exception_fp_ieee_invalid_op 0
		.amdhsa_exception_fp_denorm_src 0
		.amdhsa_exception_fp_ieee_div_zero 0
		.amdhsa_exception_fp_ieee_overflow 0
		.amdhsa_exception_fp_ieee_underflow 0
		.amdhsa_exception_fp_ieee_inexact 0
		.amdhsa_exception_int_div_zero 0
	.end_amdhsa_kernel
	.section	.text._ZN2at6native12_GLOBAL__N_135GammaBetaBackwardCUDAKernelTemplateIN3c104HalfEfLj64ELj16ELj128ELb0ELb0ELb0EEEvllPKT_S7_PKT0_SA_PS5_SB_,"axG",@progbits,_ZN2at6native12_GLOBAL__N_135GammaBetaBackwardCUDAKernelTemplateIN3c104HalfEfLj64ELj16ELj128ELb0ELb0ELb0EEEvllPKT_S7_PKT0_SA_PS5_SB_,comdat
.Lfunc_end80:
	.size	_ZN2at6native12_GLOBAL__N_135GammaBetaBackwardCUDAKernelTemplateIN3c104HalfEfLj64ELj16ELj128ELb0ELb0ELb0EEEvllPKT_S7_PKT0_SA_PS5_SB_, .Lfunc_end80-_ZN2at6native12_GLOBAL__N_135GammaBetaBackwardCUDAKernelTemplateIN3c104HalfEfLj64ELj16ELj128ELb0ELb0ELb0EEEvllPKT_S7_PKT0_SA_PS5_SB_
                                        ; -- End function
	.set _ZN2at6native12_GLOBAL__N_135GammaBetaBackwardCUDAKernelTemplateIN3c104HalfEfLj64ELj16ELj128ELb0ELb0ELb0EEEvllPKT_S7_PKT0_SA_PS5_SB_.num_vgpr, 93
	.set _ZN2at6native12_GLOBAL__N_135GammaBetaBackwardCUDAKernelTemplateIN3c104HalfEfLj64ELj16ELj128ELb0ELb0ELb0EEEvllPKT_S7_PKT0_SA_PS5_SB_.num_agpr, 0
	.set _ZN2at6native12_GLOBAL__N_135GammaBetaBackwardCUDAKernelTemplateIN3c104HalfEfLj64ELj16ELj128ELb0ELb0ELb0EEEvllPKT_S7_PKT0_SA_PS5_SB_.numbered_sgpr, 36
	.set _ZN2at6native12_GLOBAL__N_135GammaBetaBackwardCUDAKernelTemplateIN3c104HalfEfLj64ELj16ELj128ELb0ELb0ELb0EEEvllPKT_S7_PKT0_SA_PS5_SB_.num_named_barrier, 0
	.set _ZN2at6native12_GLOBAL__N_135GammaBetaBackwardCUDAKernelTemplateIN3c104HalfEfLj64ELj16ELj128ELb0ELb0ELb0EEEvllPKT_S7_PKT0_SA_PS5_SB_.private_seg_size, 0
	.set _ZN2at6native12_GLOBAL__N_135GammaBetaBackwardCUDAKernelTemplateIN3c104HalfEfLj64ELj16ELj128ELb0ELb0ELb0EEEvllPKT_S7_PKT0_SA_PS5_SB_.uses_vcc, 1
	.set _ZN2at6native12_GLOBAL__N_135GammaBetaBackwardCUDAKernelTemplateIN3c104HalfEfLj64ELj16ELj128ELb0ELb0ELb0EEEvllPKT_S7_PKT0_SA_PS5_SB_.uses_flat_scratch, 0
	.set _ZN2at6native12_GLOBAL__N_135GammaBetaBackwardCUDAKernelTemplateIN3c104HalfEfLj64ELj16ELj128ELb0ELb0ELb0EEEvllPKT_S7_PKT0_SA_PS5_SB_.has_dyn_sized_stack, 0
	.set _ZN2at6native12_GLOBAL__N_135GammaBetaBackwardCUDAKernelTemplateIN3c104HalfEfLj64ELj16ELj128ELb0ELb0ELb0EEEvllPKT_S7_PKT0_SA_PS5_SB_.has_recursion, 0
	.set _ZN2at6native12_GLOBAL__N_135GammaBetaBackwardCUDAKernelTemplateIN3c104HalfEfLj64ELj16ELj128ELb0ELb0ELb0EEEvllPKT_S7_PKT0_SA_PS5_SB_.has_indirect_call, 0
	.section	.AMDGPU.csdata,"",@progbits
; Kernel info:
; codeLenInByte = 10848
; TotalNumSgprs: 38
; NumVgprs: 93
; ScratchSize: 0
; MemoryBound: 0
; FloatMode: 240
; IeeeMode: 1
; LDSByteSize: 0 bytes/workgroup (compile time only)
; SGPRBlocks: 0
; VGPRBlocks: 11
; NumSGPRsForWavesPerEU: 38
; NumVGPRsForWavesPerEU: 93
; Occupancy: 16
; WaveLimiterHint : 0
; COMPUTE_PGM_RSRC2:SCRATCH_EN: 0
; COMPUTE_PGM_RSRC2:USER_SGPR: 2
; COMPUTE_PGM_RSRC2:TRAP_HANDLER: 0
; COMPUTE_PGM_RSRC2:TGID_X_EN: 1
; COMPUTE_PGM_RSRC2:TGID_Y_EN: 1
; COMPUTE_PGM_RSRC2:TGID_Z_EN: 0
; COMPUTE_PGM_RSRC2:TIDIG_COMP_CNT: 1
	.section	.text._ZN2at6native12_GLOBAL__N_135GammaBetaBackwardCUDAKernelTemplateIN3c104HalfEfLj64ELj16ELj256ELb0ELb1ELb0EEEvllPKT_S7_PKT0_SA_PS5_SB_,"axG",@progbits,_ZN2at6native12_GLOBAL__N_135GammaBetaBackwardCUDAKernelTemplateIN3c104HalfEfLj64ELj16ELj256ELb0ELb1ELb0EEEvllPKT_S7_PKT0_SA_PS5_SB_,comdat
	.globl	_ZN2at6native12_GLOBAL__N_135GammaBetaBackwardCUDAKernelTemplateIN3c104HalfEfLj64ELj16ELj256ELb0ELb1ELb0EEEvllPKT_S7_PKT0_SA_PS5_SB_ ; -- Begin function _ZN2at6native12_GLOBAL__N_135GammaBetaBackwardCUDAKernelTemplateIN3c104HalfEfLj64ELj16ELj256ELb0ELb1ELb0EEEvllPKT_S7_PKT0_SA_PS5_SB_
	.p2align	8
	.type	_ZN2at6native12_GLOBAL__N_135GammaBetaBackwardCUDAKernelTemplateIN3c104HalfEfLj64ELj16ELj256ELb0ELb1ELb0EEEvllPKT_S7_PKT0_SA_PS5_SB_,@function
_ZN2at6native12_GLOBAL__N_135GammaBetaBackwardCUDAKernelTemplateIN3c104HalfEfLj64ELj16ELj256ELb0ELb1ELb0EEEvllPKT_S7_PKT0_SA_PS5_SB_: ; @_ZN2at6native12_GLOBAL__N_135GammaBetaBackwardCUDAKernelTemplateIN3c104HalfEfLj64ELj16ELj256ELb0ELb1ELb0EEEvllPKT_S7_PKT0_SA_PS5_SB_
; %bb.0:
	s_load_b128 s[16:19], s[0:1], 0x0
	s_lshl_b32 s2, ttmp7, 8
	s_mov_b32 s3, 0
	v_bfe_u32 v7, v0, 10, 10
	s_wait_kmcnt 0x0
	v_cmp_gt_i64_e64 s4, s[16:17], s[2:3]
	s_and_b32 vcc_lo, exec_lo, s4
	s_cbranch_vccnz .LBB81_2
; %bb.1:
	v_bfe_u32 v1, v0, 10, 10
	s_mov_b32 s4, s3
	s_branch .LBB81_3
.LBB81_2:
	s_mov_b32 s4, -1
                                        ; implicit-def: $vgpr1
.LBB81_3:
	s_load_b128 s[12:15], s[0:1], 0x30
	v_dual_mov_b32 v25, 0 :: v_dual_and_b32 v6, 0x3ff, v0
	v_mov_b32_e32 v0, 0
	s_and_not1_b32 vcc_lo, exec_lo, s4
	s_cbranch_vccnz .LBB81_11
; %bb.4:
	s_clause 0x2
	s_load_b32 s20, s[0:1], 0x4c
	s_load_b32 s22, s[0:1], 0x44
	s_load_b256 s[4:11], s[0:1], 0x10
	v_dual_mov_b32 v1, 0 :: v_dual_lshlrev_b32 v2, 4, v7
	v_lshl_add_u32 v0, ttmp9, 6, v6
	s_mov_b32 s21, 0
	v_dual_mov_b32 v8, 16 :: v_dual_mov_b32 v9, 4
	s_delay_alu instid0(VALU_DEP_3) | instskip(SKIP_3) | instid1(VALU_DEP_3)
	v_add_co_u32 v2, s0, v2, s2
	s_wait_alu 0xf1ff
	v_add_co_ci_u32_e64 v3, null, 0, 0, s0
	v_lshlrev_b64_e32 v[25:26], 1, v[0:1]
	v_mul_lo_u32 v21, s19, v2
	v_mad_co_u64_u32 v[4:5], null, s18, v2, 0
	s_delay_alu instid0(VALU_DEP_4)
	v_mul_lo_u32 v22, s18, v3
	v_dual_mov_b32 v10, 8 :: v_dual_mov_b32 v11, 12
	s_wait_kmcnt 0x0
	s_and_b32 s0, s20, 0xffff
	s_lshl_b32 s20, s22, 8
	s_wait_alu 0xfffe
	v_mad_u32_u24 v18, v7, s0, v6
	v_dual_mov_b32 v12, 20 :: v_dual_mov_b32 v13, 24
	v_add3_u32 v5, v5, v22, v21
	v_dual_mov_b32 v14, 28 :: v_dual_mov_b32 v15, 32
	s_delay_alu instid0(VALU_DEP_4) | instskip(SKIP_2) | instid1(VALU_DEP_3)
	v_dual_mov_b32 v18, 44 :: v_dual_and_b32 v23, 31, v18
	v_dual_mov_b32 v16, 36 :: v_dual_mov_b32 v17, 40
	v_dual_mov_b32 v19, 48 :: v_dual_mov_b32 v20, 52
	v_cmp_gt_u32_e64 s0, 16, v23
	v_add_co_u32 v2, vcc_lo, v2, v23
	v_lshlrev_b64_e32 v[23:24], 1, v[4:5]
	v_add_co_ci_u32_e64 v3, null, 0, v3, vcc_lo
	v_dual_mov_b32 v21, 56 :: v_dual_mov_b32 v22, 60
	v_mov_b32_e32 v0, 0
	s_delay_alu instid0(VALU_DEP_4) | instskip(NEXT) | instid1(VALU_DEP_4)
	v_add_co_u32 v23, vcc_lo, v23, v25
	v_lshlrev_b64_e32 v[4:5], 2, v[2:3]
	s_wait_alu 0xfffd
	v_add_co_ci_u32_e64 v24, null, v24, v26, vcc_lo
	v_mov_b32_e32 v25, 0
	s_mul_u64 s[24:25], s[18:19], s[20:21]
	s_lshl_b64 s[22:23], s[20:21], 2
	s_lshl_b64 s[24:25], s[24:25], 1
	;; [unrolled: 1-line block ×3, first 2 shown]
	s_branch .LBB81_7
.LBB81_5:                               ;   in Loop: Header=BB81_7 Depth=1
	s_or_b32 exec_lo, exec_lo, s26
.LBB81_6:                               ;   in Loop: Header=BB81_7 Depth=1
	s_wait_alu 0xfffe
	s_or_b32 exec_lo, exec_lo, s1
	v_add_co_u32 v28, vcc_lo, s4, v23
	s_wait_alu 0xfffd
	v_add_co_ci_u32_e64 v29, null, s5, v24, vcc_lo
	v_add_co_u32 v30, vcc_lo, s6, v23
	s_wait_alu 0xfffd
	v_add_co_ci_u32_e64 v31, null, s7, v24, vcc_lo
	global_load_u16 v38, v[28:29], off
	v_add_co_u32 v28, vcc_lo, v28, s18
	s_wait_alu 0xfffd
	v_add_co_ci_u32_e64 v29, null, s19, v29, vcc_lo
	v_add_co_u32 v32, vcc_lo, v30, s18
	s_wait_alu 0xfffd
	v_add_co_ci_u32_e64 v33, null, s19, v31, vcc_lo
	v_add_co_u32 v34, vcc_lo, v28, s18
	s_wait_alu 0xfffd
	v_add_co_ci_u32_e64 v35, null, s19, v29, vcc_lo
	v_add_co_u32 v36, vcc_lo, v32, s18
	s_wait_alu 0xfffd
	v_add_co_ci_u32_e64 v37, null, s19, v33, vcc_lo
	global_load_u16 v39, v[30:31], off
	global_load_u16 v40, v[28:29], off
	global_load_u16 v41, v[32:33], off
	global_load_u16 v42, v[34:35], off
	global_load_u16 v43, v[36:37], off
	v_add_co_u32 v28, vcc_lo, v34, s18
	s_wait_alu 0xfffd
	v_add_co_ci_u32_e64 v29, null, s19, v35, vcc_lo
	v_add_co_u32 v30, vcc_lo, v36, s18
	s_wait_alu 0xfffd
	v_add_co_ci_u32_e64 v31, null, s19, v37, vcc_lo
	v_add_co_u32 v32, vcc_lo, v28, s18
	s_wait_alu 0xfffd
	v_add_co_ci_u32_e64 v33, null, s19, v29, vcc_lo
	v_add_co_u32 v34, vcc_lo, v30, s18
	s_wait_alu 0xfffd
	v_add_co_ci_u32_e64 v35, null, s19, v31, vcc_lo
	v_add_co_u32 v36, vcc_lo, v32, s18
	s_wait_alu 0xfffd
	v_add_co_ci_u32_e64 v37, null, s19, v33, vcc_lo
	global_load_u16 v44, v[28:29], off
	global_load_u16 v45, v[30:31], off
	global_load_u16 v46, v[32:33], off
	global_load_u16 v47, v[34:35], off
	global_load_u16 v48, v[36:37], off
	v_add_co_u32 v28, vcc_lo, v34, s18
	s_wait_alu 0xfffd
	v_add_co_ci_u32_e64 v29, null, s19, v35, vcc_lo
	;; [unrolled: 20-line block ×5, first 2 shown]
	v_add_co_u32 v30, vcc_lo, v36, s18
	s_wait_alu 0xfffd
	v_add_co_ci_u32_e64 v31, null, s19, v37, vcc_lo
	v_add_co_u32 v32, vcc_lo, v28, s18
	s_wait_alu 0xfffd
	v_add_co_ci_u32_e64 v33, null, s19, v29, vcc_lo
	;; [unrolled: 3-line block ×3, first 2 shown]
	global_load_u16 v36, v[28:29], off
	global_load_u16 v37, v[30:31], off
	;; [unrolled: 1-line block ×4, first 2 shown]
	v_add_co_u32 v28, vcc_lo, v34, s18
	s_wait_alu 0xfffd
	v_add_co_ci_u32_e64 v29, null, s19, v35, vcc_lo
	v_add_co_u32 v30, vcc_lo, v32, s18
	s_wait_alu 0xfffd
	v_add_co_ci_u32_e64 v31, null, s19, v33, vcc_lo
	global_load_u16 v28, v[28:29], off
	global_load_u16 v29, v[30:31], off
	s_wait_loadcnt 0x21
	ds_bpermute_b32 v31, v1, v26
	ds_bpermute_b32 v33, v9, v26
	s_wait_loadcnt 0x20
	ds_bpermute_b32 v30, v1, v27
	ds_bpermute_b32 v32, v9, v27
	ds_bpermute_b32 v35, v10, v26
	ds_bpermute_b32 v67, v11, v26
	ds_bpermute_b32 v34, v10, v27
	ds_bpermute_b32 v66, v11, v27
	ds_bpermute_b32 v69, v8, v26
	ds_bpermute_b32 v68, v8, v27
	ds_bpermute_b32 v71, v12, v26
	ds_bpermute_b32 v70, v12, v27
	ds_bpermute_b32 v73, v13, v26
	ds_bpermute_b32 v72, v13, v27
	ds_bpermute_b32 v75, v14, v26
	ds_bpermute_b32 v74, v14, v27
	ds_bpermute_b32 v77, v15, v26
	ds_bpermute_b32 v76, v15, v27
	ds_bpermute_b32 v79, v16, v26
	ds_bpermute_b32 v78, v16, v27
	ds_bpermute_b32 v81, v17, v26
	ds_bpermute_b32 v80, v17, v27
	ds_bpermute_b32 v83, v18, v26
	ds_bpermute_b32 v82, v18, v27
	ds_bpermute_b32 v85, v19, v26
	ds_bpermute_b32 v84, v19, v27
	ds_bpermute_b32 v87, v20, v26
	ds_bpermute_b32 v86, v20, v27
	ds_bpermute_b32 v89, v21, v26
	ds_bpermute_b32 v26, v22, v26
	ds_bpermute_b32 v88, v21, v27
	ds_bpermute_b32 v27, v22, v27
	v_add_co_u32 v4, vcc_lo, v4, s22
	s_add_nc_u64 s[2:3], s[2:3], s[20:21]
	s_wait_alu 0xfffd
	v_add_co_ci_u32_e64 v5, null, s23, v5, vcc_lo
	v_add_co_u32 v2, vcc_lo, v2, s20
	s_wait_alu 0xfffe
	v_cmp_lt_i64_e64 s1, s[2:3], s[16:17]
	s_wait_alu 0xfffd
	v_add_co_ci_u32_e64 v3, null, 0, v3, vcc_lo
	v_add_co_u32 v23, vcc_lo, v23, s24
	s_wait_alu 0xfffd
	v_add_co_ci_u32_e64 v24, null, s25, v24, vcc_lo
	s_and_b32 vcc_lo, exec_lo, s1
	s_wait_loadcnt 0x1f
	v_cvt_f32_f16_e32 v38, v38
	s_wait_loadcnt 0x1e
	v_cvt_f32_f16_e32 v39, v39
	;; [unrolled: 2-line block ×3, first 2 shown]
	s_wait_dscnt 0x1f
	s_delay_alu instid0(VALU_DEP_2)
	v_sub_f32_e32 v31, v39, v31
	v_cvt_f32_f16_e32 v39, v40
	s_wait_dscnt 0x1e
	v_sub_f32_e32 v33, v41, v33
	s_wait_loadcnt 0x1a
	v_cvt_f32_f16_e32 v40, v43
	v_mul_f32_e32 v31, v31, v38
	s_wait_dscnt 0x1d
	s_delay_alu instid0(VALU_DEP_1) | instskip(SKIP_2) | instid1(VALU_DEP_1)
	v_fmac_f32_e32 v0, v31, v30
	v_mul_f32_e32 v30, v33, v39
	s_wait_dscnt 0x1b
	v_dual_fmac_f32 v0, v30, v32 :: v_dual_sub_f32 v31, v40, v35
	s_wait_loadcnt 0x18
	v_cvt_f32_f16_e32 v33, v45
	v_cvt_f32_f16_e32 v35, v44
	v_add_f32_e32 v25, v25, v38
	v_cvt_f32_f16_e32 v38, v42
	s_wait_loadcnt 0x16
	v_cvt_f32_f16_e32 v32, v47
	s_wait_dscnt 0x1a
	s_delay_alu instid0(VALU_DEP_2) | instskip(SKIP_2) | instid1(VALU_DEP_2)
	v_dual_mul_f32 v30, v31, v38 :: v_dual_sub_f32 v31, v33, v67
	v_cvt_f32_f16_e32 v33, v46
	s_wait_dscnt 0x19
	v_fmac_f32_e32 v0, v30, v34
	s_delay_alu instid0(VALU_DEP_3)
	v_mul_f32_e32 v30, v31, v35
	v_add_f32_e32 v25, v25, v39
	s_wait_loadcnt 0x15
	v_cvt_f32_f16_e32 v34, v48
	s_wait_dscnt 0x17
	v_dual_fmac_f32 v0, v30, v66 :: v_dual_sub_f32 v31, v32, v69
	v_add_f32_e32 v25, v25, v38
	s_wait_loadcnt 0x14
	v_cvt_f32_f16_e32 v32, v49
	s_delay_alu instid0(VALU_DEP_3) | instskip(SKIP_1) | instid1(VALU_DEP_1)
	v_mul_f32_e32 v30, v31, v33
	s_wait_dscnt 0x15
	v_dual_fmac_f32 v0, v30, v68 :: v_dual_sub_f32 v31, v32, v71
	v_add_f32_e32 v25, v25, v35
	s_wait_loadcnt 0x12
	v_cvt_f32_f16_e32 v32, v51
	s_wait_dscnt 0x13
	s_delay_alu instid0(VALU_DEP_1) | instskip(SKIP_2) | instid1(VALU_DEP_2)
	v_dual_mul_f32 v30, v31, v34 :: v_dual_sub_f32 v31, v32, v73
	s_wait_loadcnt 0x10
	v_cvt_f32_f16_e32 v32, v53
	v_dual_fmac_f32 v0, v30, v70 :: v_dual_add_f32 v25, v25, v33
	v_cvt_f32_f16_e32 v33, v50
	s_wait_dscnt 0x11
	s_delay_alu instid0(VALU_DEP_1) | instskip(SKIP_2) | instid1(VALU_DEP_2)
	v_dual_mul_f32 v30, v31, v33 :: v_dual_sub_f32 v31, v32, v75
	s_wait_loadcnt 0xe
	v_cvt_f32_f16_e32 v32, v55
	v_dual_fmac_f32 v0, v30, v72 :: v_dual_add_f32 v25, v25, v34
	v_cvt_f32_f16_e32 v34, v52
	s_delay_alu instid0(VALU_DEP_1) | instskip(SKIP_1) | instid1(VALU_DEP_2)
	v_dual_add_f32 v25, v25, v33 :: v_dual_mul_f32 v30, v31, v34
	v_cvt_f32_f16_e32 v33, v54
	v_add_f32_e32 v25, v25, v34
	s_wait_dscnt 0xf
	s_delay_alu instid0(VALU_DEP_3) | instskip(SKIP_3) | instid1(VALU_DEP_3)
	v_dual_fmac_f32 v0, v30, v74 :: v_dual_sub_f32 v31, v32, v77
	s_wait_loadcnt 0xc
	v_cvt_f32_f16_e32 v32, v57
	v_cvt_f32_f16_e32 v34, v56
	v_mul_f32_e32 v30, v31, v33
	s_wait_dscnt 0xd
	s_delay_alu instid0(VALU_DEP_1)
	v_dual_fmac_f32 v0, v30, v76 :: v_dual_sub_f32 v31, v32, v79
	s_wait_loadcnt 0xa
	v_cvt_f32_f16_e32 v32, v59
	v_add_f32_e32 v25, v25, v33
	v_cvt_f32_f16_e32 v33, v58
	v_mul_f32_e32 v30, v31, v34
	s_delay_alu instid0(VALU_DEP_3)
	v_add_f32_e32 v25, v25, v34
	s_wait_loadcnt 0x9
	v_cvt_f32_f16_e32 v34, v60
	s_wait_dscnt 0xb
	v_dual_fmac_f32 v0, v30, v78 :: v_dual_sub_f32 v31, v32, v81
	s_wait_loadcnt 0x8
	v_cvt_f32_f16_e32 v32, v61
	s_wait_loadcnt 0x1
	v_cvt_f32_f16_e32 v28, v28
	v_mul_f32_e32 v30, v31, v33
	s_wait_loadcnt 0x0
	v_cvt_f32_f16_e32 v29, v29
	s_wait_dscnt 0x9
	s_delay_alu instid0(VALU_DEP_2) | instskip(SKIP_3) | instid1(VALU_DEP_4)
	v_dual_fmac_f32 v0, v30, v80 :: v_dual_sub_f32 v31, v32, v83
	v_cvt_f32_f16_e32 v32, v63
	v_add_f32_e32 v25, v25, v33
	v_cvt_f32_f16_e32 v33, v62
	v_mul_f32_e32 v30, v31, v34
	s_delay_alu instid0(VALU_DEP_3) | instskip(SKIP_2) | instid1(VALU_DEP_3)
	v_add_f32_e32 v25, v25, v34
	v_cvt_f32_f16_e32 v34, v36
	s_wait_dscnt 0x7
	v_dual_fmac_f32 v0, v30, v82 :: v_dual_sub_f32 v31, v32, v85
	v_cvt_f32_f16_e32 v32, v37
	s_delay_alu instid0(VALU_DEP_2) | instskip(SKIP_1) | instid1(VALU_DEP_1)
	v_mul_f32_e32 v30, v31, v33
	s_wait_dscnt 0x5
	v_dual_fmac_f32 v0, v30, v84 :: v_dual_sub_f32 v31, v32, v87
	v_cvt_f32_f16_e32 v32, v65
	v_add_f32_e32 v25, v25, v33
	v_cvt_f32_f16_e32 v33, v64
	s_wait_dscnt 0x2
	v_sub_f32_e32 v26, v28, v26
	v_mul_f32_e32 v30, v31, v34
	s_delay_alu instid0(VALU_DEP_2) | instskip(NEXT) | instid1(VALU_DEP_2)
	v_dual_add_f32 v25, v25, v34 :: v_dual_mul_f32 v26, v26, v29
	v_dual_fmac_f32 v0, v30, v86 :: v_dual_sub_f32 v31, v32, v89
	s_delay_alu instid0(VALU_DEP_2) | instskip(NEXT) | instid1(VALU_DEP_2)
	v_add_f32_e32 v25, v25, v33
	v_mul_f32_e32 v30, v31, v33
	s_wait_dscnt 0x1
	s_delay_alu instid0(VALU_DEP_1) | instskip(SKIP_1) | instid1(VALU_DEP_1)
	v_dual_fmac_f32 v0, v30, v88 :: v_dual_add_f32 v25, v25, v29
	s_wait_dscnt 0x0
	v_fmac_f32_e32 v0, v26, v27
	s_wait_alu 0xfffe
	s_cbranch_vccz .LBB81_10
.LBB81_7:                               ; =>This Inner Loop Header: Depth=1
	v_dual_mov_b32 v27, 0 :: v_dual_mov_b32 v26, 0
	s_and_saveexec_b32 s1, s0
	s_cbranch_execz .LBB81_6
; %bb.8:                                ;   in Loop: Header=BB81_7 Depth=1
	v_dual_mov_b32 v26, 0 :: v_dual_mov_b32 v27, 0
	s_mov_b32 s26, exec_lo
	v_cmpx_gt_i64_e64 s[16:17], v[2:3]
	s_cbranch_execz .LBB81_5
; %bb.9:                                ;   in Loop: Header=BB81_7 Depth=1
	v_add_co_u32 v26, vcc_lo, s8, v4
	s_wait_alu 0xfffd
	v_add_co_ci_u32_e64 v27, null, s9, v5, vcc_lo
	v_add_co_u32 v28, vcc_lo, s10, v4
	s_wait_alu 0xfffd
	v_add_co_ci_u32_e64 v29, null, s11, v5, vcc_lo
	global_load_b32 v26, v[26:27], off
	global_load_b32 v27, v[28:29], off
	s_branch .LBB81_5
.LBB81_10:
	v_mov_b32_e32 v1, v7
.LBB81_11:
	s_delay_alu instid0(VALU_DEP_1) | instskip(SKIP_1) | instid1(VALU_DEP_1)
	v_mad_u32_u24 v2, 0x41, v1, v6
	s_mov_b32 s0, exec_lo
	v_lshl_add_u32 v4, v2, 2, 0
	v_sub_nc_u32_e32 v3, v2, v1
	ds_store_b32 v4, v0
	ds_store_b32 v4, v25 offset:4160
	s_wait_dscnt 0x0
	s_barrier_signal -1
	s_barrier_wait -1
	global_inv scope:SCOPE_SE
	v_cmpx_gt_u32_e32 0x800, v3
	s_cbranch_execz .LBB81_27
; %bb.12:
	v_and_b32_e32 v0, 31, v6
	v_lshrrev_b32_e32 v2, 5, v3
                                        ; implicit-def: $vgpr1
	s_delay_alu instid0(VALU_DEP_2)
	v_cmp_gt_u32_e64 s0, 16, v0
	v_mul_u32_u24_e32 v4, 0x41, v0
                                        ; implicit-def: $vgpr0
	s_wait_alu 0xfffe
	s_and_saveexec_b32 s1, s0
	s_cbranch_execz .LBB81_14
; %bb.13:
	s_delay_alu instid0(VALU_DEP_1) | instskip(NEXT) | instid1(VALU_DEP_1)
	v_add_nc_u32_e32 v0, v2, v4
	v_lshl_add_u32 v0, v0, 2, 0
	ds_load_b32 v1, v0
	ds_load_b32 v0, v0 offset:4160
.LBB81_14:
	s_wait_alu 0xfffe
	s_or_b32 exec_lo, exec_lo, s1
	v_mbcnt_lo_u32_b32 v9, -1, 0
	v_cmp_eq_u32_e64 s1, 0, v6
	s_mov_b32 s2, ttmp9
	s_mov_b32 s3, 0
	s_wait_alu 0xfffe
	s_lshl_b64 s[2:3], s[2:3], 6
	v_xor_b32_e32 v5, 8, v9
	v_xor_b32_e32 v7, 4, v9
	;; [unrolled: 1-line block ×3, first 2 shown]
	s_wait_kmcnt 0x0
	s_cmp_lg_u64 s[12:13], 0
	v_cmp_gt_i32_e32 vcc_lo, 32, v5
	s_cselect_b32 s5, -1, 0
	s_cmp_lg_u64 s[14:15], 0
	s_cselect_b32 s4, -1, 0
	s_wait_alu 0xfffd
	v_cndmask_b32_e32 v5, v9, v5, vcc_lo
	v_cmp_gt_i32_e32 vcc_lo, 32, v7
	s_delay_alu instid0(VALU_DEP_2)
	v_lshlrev_b32_e32 v5, 2, v5
	s_wait_alu 0xfffd
	v_cndmask_b32_e32 v7, v9, v7, vcc_lo
	s_wait_dscnt 0x1
	ds_bpermute_b32 v8, v5, v1
	s_wait_dscnt 0x0
	v_add_f32_e32 v1, v1, v8
	v_xor_b32_e32 v8, 2, v9
	s_delay_alu instid0(VALU_DEP_1)
	v_cmp_gt_i32_e32 vcc_lo, 32, v8
	s_wait_alu 0xfffd
	v_cndmask_b32_e32 v8, v9, v8, vcc_lo
	ds_bpermute_b32 v10, v5, v0
	v_cmp_gt_i32_e32 vcc_lo, 32, v12
	v_lshlrev_b32_e32 v8, 2, v8
	v_lshlrev_b32_e32 v7, 2, v7
	s_wait_alu 0xfffd
	v_cndmask_b32_e32 v9, v9, v12, vcc_lo
	s_wait_dscnt 0x0
	s_delay_alu instid0(VALU_DEP_1)
	v_dual_add_f32 v0, v0, v10 :: v_dual_lshlrev_b32 v9, 2, v9
	ds_bpermute_b32 v10, v7, v1
	s_wait_dscnt 0x0
	v_add_f32_e32 v1, v1, v10
	ds_bpermute_b32 v10, v8, v1
	s_wait_dscnt 0x0
	v_add_f32_e32 v1, v1, v10
	;; [unrolled: 3-line block ×6, first 2 shown]
	s_and_saveexec_b32 s6, s1
	s_cbranch_execz .LBB81_19
; %bb.15:
	s_wait_alu 0xfffe
	v_mov_b32_e32 v1, s3
	v_or_b32_e32 v0, s2, v2
	s_and_not1_b32 vcc_lo, exec_lo, s5
	s_delay_alu instid0(VALU_DEP_1)
	v_lshlrev_b64_e32 v[0:1], 1, v[0:1]
	s_wait_alu 0xfffe
	s_cbranch_vccnz .LBB81_17
; %bb.16:
	s_delay_alu instid0(VALU_DEP_1) | instskip(SKIP_1) | instid1(VALU_DEP_2)
	v_add_co_u32 v11, vcc_lo, s12, v0
	s_wait_alu 0xfffd
	v_add_co_ci_u32_e64 v12, null, s13, v1, vcc_lo
	v_cvt_f16_f32_e32 v13, v6
	global_store_b16 v[11:12], v13, off
.LBB81_17:
	s_and_not1_b32 vcc_lo, exec_lo, s4
	s_wait_alu 0xfffe
	s_cbranch_vccnz .LBB81_19
; %bb.18:
	v_add_co_u32 v0, vcc_lo, s14, v0
	s_wait_alu 0xfffd
	v_add_co_ci_u32_e64 v1, null, s15, v1, vcc_lo
	v_cvt_f16_f32_e32 v11, v10
	global_store_b16 v[0:1], v11, off
.LBB81_19:
	s_wait_alu 0xfffe
	s_or_b32 exec_lo, exec_lo, s6
	v_cmp_gt_u32_e32 vcc_lo, 0x400, v3
	s_and_b32 exec_lo, exec_lo, vcc_lo
	s_cbranch_execz .LBB81_27
; %bb.20:
	s_and_saveexec_b32 s6, s0
	s_cbranch_execz .LBB81_22
; %bb.21:
	v_add_nc_u32_e32 v0, v2, v4
	s_delay_alu instid0(VALU_DEP_1)
	v_lshl_add_u32 v0, v0, 2, 0
	ds_load_b32 v6, v0 offset:128
	ds_load_b32 v10, v0 offset:4288
.LBB81_22:
	s_wait_alu 0xfffe
	s_or_b32 exec_lo, exec_lo, s6
	s_wait_dscnt 0x1
	ds_bpermute_b32 v0, v5, v6
	s_wait_dscnt 0x1
	ds_bpermute_b32 v1, v5, v10
	s_wait_dscnt 0x1
	v_add_f32_e32 v0, v6, v0
	ds_bpermute_b32 v3, v7, v0
	s_wait_dscnt 0x0
	v_dual_add_f32 v1, v10, v1 :: v_dual_add_f32 v0, v0, v3
	ds_bpermute_b32 v4, v7, v1
	ds_bpermute_b32 v3, v8, v0
	s_wait_dscnt 0x1
	v_add_f32_e32 v1, v1, v4
	ds_bpermute_b32 v4, v8, v1
	s_wait_dscnt 0x0
	v_dual_add_f32 v3, v0, v3 :: v_dual_add_f32 v0, v1, v4
	ds_bpermute_b32 v4, v9, v3
	ds_bpermute_b32 v1, v9, v0
	s_and_b32 exec_lo, exec_lo, s1
	s_cbranch_execz .LBB81_27
; %bb.23:
	s_and_not1_b32 vcc_lo, exec_lo, s5
	s_wait_alu 0xfffe
	s_cbranch_vccnz .LBB81_25
; %bb.24:
	v_add_co_u32 v5, s0, s2, v2
	s_wait_alu 0xf1ff
	v_add_co_ci_u32_e64 v6, null, s3, 0, s0
	s_wait_dscnt 0x1
	v_add_f32_e32 v7, v3, v4
	s_delay_alu instid0(VALU_DEP_2) | instskip(NEXT) | instid1(VALU_DEP_1)
	v_lshlrev_b64_e32 v[5:6], 1, v[5:6]
	v_add_co_u32 v3, vcc_lo, s12, v5
	s_wait_alu 0xfffd
	s_delay_alu instid0(VALU_DEP_2)
	v_add_co_ci_u32_e64 v4, null, s13, v6, vcc_lo
	v_cvt_f16_f32_e32 v5, v7
	global_store_b16 v[3:4], v5, off offset:64
.LBB81_25:
	s_and_not1_b32 vcc_lo, exec_lo, s4
	s_wait_alu 0xfffe
	s_cbranch_vccnz .LBB81_27
; %bb.26:
	v_add_co_u32 v2, s0, s2, v2
	s_wait_alu 0xf1ff
	v_add_co_ci_u32_e64 v3, null, s3, 0, s0
	s_wait_dscnt 0x0
	v_add_f32_e32 v4, v0, v1
	s_delay_alu instid0(VALU_DEP_2) | instskip(NEXT) | instid1(VALU_DEP_1)
	v_lshlrev_b64_e32 v[2:3], 1, v[2:3]
	v_add_co_u32 v0, vcc_lo, s14, v2
	s_wait_alu 0xfffd
	s_delay_alu instid0(VALU_DEP_2)
	v_add_co_ci_u32_e64 v1, null, s15, v3, vcc_lo
	v_cvt_f16_f32_e32 v2, v4
	global_store_b16 v[0:1], v2, off offset:64
.LBB81_27:
	s_endpgm
	.section	.rodata,"a",@progbits
	.p2align	6, 0x0
	.amdhsa_kernel _ZN2at6native12_GLOBAL__N_135GammaBetaBackwardCUDAKernelTemplateIN3c104HalfEfLj64ELj16ELj256ELb0ELb1ELb0EEEvllPKT_S7_PKT0_SA_PS5_SB_
		.amdhsa_group_segment_fixed_size 0
		.amdhsa_private_segment_fixed_size 0
		.amdhsa_kernarg_size 320
		.amdhsa_user_sgpr_count 2
		.amdhsa_user_sgpr_dispatch_ptr 0
		.amdhsa_user_sgpr_queue_ptr 0
		.amdhsa_user_sgpr_kernarg_segment_ptr 1
		.amdhsa_user_sgpr_dispatch_id 0
		.amdhsa_user_sgpr_private_segment_size 0
		.amdhsa_wavefront_size32 1
		.amdhsa_uses_dynamic_stack 0
		.amdhsa_enable_private_segment 0
		.amdhsa_system_sgpr_workgroup_id_x 1
		.amdhsa_system_sgpr_workgroup_id_y 1
		.amdhsa_system_sgpr_workgroup_id_z 0
		.amdhsa_system_sgpr_workgroup_info 0
		.amdhsa_system_vgpr_workitem_id 1
		.amdhsa_next_free_vgpr 90
		.amdhsa_next_free_sgpr 27
		.amdhsa_reserve_vcc 1
		.amdhsa_float_round_mode_32 0
		.amdhsa_float_round_mode_16_64 0
		.amdhsa_float_denorm_mode_32 3
		.amdhsa_float_denorm_mode_16_64 3
		.amdhsa_fp16_overflow 0
		.amdhsa_workgroup_processor_mode 1
		.amdhsa_memory_ordered 1
		.amdhsa_forward_progress 1
		.amdhsa_inst_pref_size 27
		.amdhsa_round_robin_scheduling 0
		.amdhsa_exception_fp_ieee_invalid_op 0
		.amdhsa_exception_fp_denorm_src 0
		.amdhsa_exception_fp_ieee_div_zero 0
		.amdhsa_exception_fp_ieee_overflow 0
		.amdhsa_exception_fp_ieee_underflow 0
		.amdhsa_exception_fp_ieee_inexact 0
		.amdhsa_exception_int_div_zero 0
	.end_amdhsa_kernel
	.section	.text._ZN2at6native12_GLOBAL__N_135GammaBetaBackwardCUDAKernelTemplateIN3c104HalfEfLj64ELj16ELj256ELb0ELb1ELb0EEEvllPKT_S7_PKT0_SA_PS5_SB_,"axG",@progbits,_ZN2at6native12_GLOBAL__N_135GammaBetaBackwardCUDAKernelTemplateIN3c104HalfEfLj64ELj16ELj256ELb0ELb1ELb0EEEvllPKT_S7_PKT0_SA_PS5_SB_,comdat
.Lfunc_end81:
	.size	_ZN2at6native12_GLOBAL__N_135GammaBetaBackwardCUDAKernelTemplateIN3c104HalfEfLj64ELj16ELj256ELb0ELb1ELb0EEEvllPKT_S7_PKT0_SA_PS5_SB_, .Lfunc_end81-_ZN2at6native12_GLOBAL__N_135GammaBetaBackwardCUDAKernelTemplateIN3c104HalfEfLj64ELj16ELj256ELb0ELb1ELb0EEEvllPKT_S7_PKT0_SA_PS5_SB_
                                        ; -- End function
	.set _ZN2at6native12_GLOBAL__N_135GammaBetaBackwardCUDAKernelTemplateIN3c104HalfEfLj64ELj16ELj256ELb0ELb1ELb0EEEvllPKT_S7_PKT0_SA_PS5_SB_.num_vgpr, 90
	.set _ZN2at6native12_GLOBAL__N_135GammaBetaBackwardCUDAKernelTemplateIN3c104HalfEfLj64ELj16ELj256ELb0ELb1ELb0EEEvllPKT_S7_PKT0_SA_PS5_SB_.num_agpr, 0
	.set _ZN2at6native12_GLOBAL__N_135GammaBetaBackwardCUDAKernelTemplateIN3c104HalfEfLj64ELj16ELj256ELb0ELb1ELb0EEEvllPKT_S7_PKT0_SA_PS5_SB_.numbered_sgpr, 27
	.set _ZN2at6native12_GLOBAL__N_135GammaBetaBackwardCUDAKernelTemplateIN3c104HalfEfLj64ELj16ELj256ELb0ELb1ELb0EEEvllPKT_S7_PKT0_SA_PS5_SB_.num_named_barrier, 0
	.set _ZN2at6native12_GLOBAL__N_135GammaBetaBackwardCUDAKernelTemplateIN3c104HalfEfLj64ELj16ELj256ELb0ELb1ELb0EEEvllPKT_S7_PKT0_SA_PS5_SB_.private_seg_size, 0
	.set _ZN2at6native12_GLOBAL__N_135GammaBetaBackwardCUDAKernelTemplateIN3c104HalfEfLj64ELj16ELj256ELb0ELb1ELb0EEEvllPKT_S7_PKT0_SA_PS5_SB_.uses_vcc, 1
	.set _ZN2at6native12_GLOBAL__N_135GammaBetaBackwardCUDAKernelTemplateIN3c104HalfEfLj64ELj16ELj256ELb0ELb1ELb0EEEvllPKT_S7_PKT0_SA_PS5_SB_.uses_flat_scratch, 0
	.set _ZN2at6native12_GLOBAL__N_135GammaBetaBackwardCUDAKernelTemplateIN3c104HalfEfLj64ELj16ELj256ELb0ELb1ELb0EEEvllPKT_S7_PKT0_SA_PS5_SB_.has_dyn_sized_stack, 0
	.set _ZN2at6native12_GLOBAL__N_135GammaBetaBackwardCUDAKernelTemplateIN3c104HalfEfLj64ELj16ELj256ELb0ELb1ELb0EEEvllPKT_S7_PKT0_SA_PS5_SB_.has_recursion, 0
	.set _ZN2at6native12_GLOBAL__N_135GammaBetaBackwardCUDAKernelTemplateIN3c104HalfEfLj64ELj16ELj256ELb0ELb1ELb0EEEvllPKT_S7_PKT0_SA_PS5_SB_.has_indirect_call, 0
	.section	.AMDGPU.csdata,"",@progbits
; Kernel info:
; codeLenInByte = 3424
; TotalNumSgprs: 29
; NumVgprs: 90
; ScratchSize: 0
; MemoryBound: 0
; FloatMode: 240
; IeeeMode: 1
; LDSByteSize: 0 bytes/workgroup (compile time only)
; SGPRBlocks: 0
; VGPRBlocks: 11
; NumSGPRsForWavesPerEU: 29
; NumVGPRsForWavesPerEU: 90
; Occupancy: 16
; WaveLimiterHint : 0
; COMPUTE_PGM_RSRC2:SCRATCH_EN: 0
; COMPUTE_PGM_RSRC2:USER_SGPR: 2
; COMPUTE_PGM_RSRC2:TRAP_HANDLER: 0
; COMPUTE_PGM_RSRC2:TGID_X_EN: 1
; COMPUTE_PGM_RSRC2:TGID_Y_EN: 1
; COMPUTE_PGM_RSRC2:TGID_Z_EN: 0
; COMPUTE_PGM_RSRC2:TIDIG_COMP_CNT: 1
	.section	.text._ZN2at6native12_GLOBAL__N_135GammaBetaBackwardCUDAKernelTemplateIN3c104HalfEfLj64ELj16ELj256ELb0ELb0ELb0EEEvllPKT_S7_PKT0_SA_PS5_SB_,"axG",@progbits,_ZN2at6native12_GLOBAL__N_135GammaBetaBackwardCUDAKernelTemplateIN3c104HalfEfLj64ELj16ELj256ELb0ELb0ELb0EEEvllPKT_S7_PKT0_SA_PS5_SB_,comdat
	.globl	_ZN2at6native12_GLOBAL__N_135GammaBetaBackwardCUDAKernelTemplateIN3c104HalfEfLj64ELj16ELj256ELb0ELb0ELb0EEEvllPKT_S7_PKT0_SA_PS5_SB_ ; -- Begin function _ZN2at6native12_GLOBAL__N_135GammaBetaBackwardCUDAKernelTemplateIN3c104HalfEfLj64ELj16ELj256ELb0ELb0ELb0EEEvllPKT_S7_PKT0_SA_PS5_SB_
	.p2align	8
	.type	_ZN2at6native12_GLOBAL__N_135GammaBetaBackwardCUDAKernelTemplateIN3c104HalfEfLj64ELj16ELj256ELb0ELb0ELb0EEEvllPKT_S7_PKT0_SA_PS5_SB_,@function
_ZN2at6native12_GLOBAL__N_135GammaBetaBackwardCUDAKernelTemplateIN3c104HalfEfLj64ELj16ELj256ELb0ELb0ELb0EEEvllPKT_S7_PKT0_SA_PS5_SB_: ; @_ZN2at6native12_GLOBAL__N_135GammaBetaBackwardCUDAKernelTemplateIN3c104HalfEfLj64ELj16ELj256ELb0ELb0ELb0EEEvllPKT_S7_PKT0_SA_PS5_SB_
; %bb.0:
	s_clause 0x1
	s_load_b256 s[4:11], s[0:1], 0x0
	s_load_b128 s[12:15], s[0:1], 0x20
	s_lshl_b32 s30, ttmp9, 6
	s_mov_b32 s17, 0
	s_or_b32 s16, s30, 63
	s_wait_kmcnt 0x0
	v_cmp_le_i64_e64 s2, s[6:7], s[16:17]
	s_lshl_b32 s16, ttmp7, 8
	s_wait_alu 0xfffe
	v_cmp_gt_i64_e64 s31, s[4:5], s[16:17]
	s_and_b32 vcc_lo, exec_lo, s2
	v_cndmask_b32_e64 v1, 0, 1, s31
	s_delay_alu instid0(VALU_DEP_1)
	v_cmp_ne_u32_e64 s2, 1, v1
	s_cbranch_vccz .LBB82_81
; %bb.1:
	v_mov_b32_e32 v2, 0
	v_mov_b32_e32 v100, 0
	s_and_b32 vcc_lo, exec_lo, s2
	s_cbranch_vccnz .LBB82_82
; %bb.2:
	v_bfe_u32 v36, v0, 10, 10
	v_dual_mov_b32 v1, 0 :: v_dual_and_b32 v38, 0x3ff, v0
	s_load_b32 s3, s[0:1], 0x44
	s_mov_b32 s19, 0
	s_delay_alu instid0(VALU_DEP_2) | instskip(NEXT) | instid1(VALU_DEP_2)
	v_dual_mov_b32 v100, 0 :: v_dual_lshlrev_b32 v37, 4, v36
	v_dual_mov_b32 v5, v1 :: v_dual_add_nc_u32 v4, s30, v38
	s_mov_b32 s23, s19
	s_delay_alu instid0(VALU_DEP_2) | instskip(NEXT) | instid1(VALU_DEP_1)
	v_add_co_u32 v10, s2, v37, s16
	v_add_co_ci_u32_e64 v11, null, 0, 0, s2
	s_delay_alu instid0(VALU_DEP_3) | instskip(NEXT) | instid1(VALU_DEP_3)
	v_cmp_gt_i64_e64 s2, s[6:7], v[4:5]
	v_add_co_u32 v6, vcc_lo, v10, 15
	v_mul_lo_u32 v8, s7, v10
	s_delay_alu instid0(VALU_DEP_4) | instskip(SKIP_3) | instid1(VALU_DEP_3)
	v_mul_lo_u32 v9, s6, v11
	v_add_co_ci_u32_e64 v7, null, 0, v11, vcc_lo
	v_mad_co_u64_u32 v[2:3], null, s6, v10, 0
	v_mul_lo_u32 v12, s7, v6
	v_mul_lo_u32 v13, s6, v7
	v_mad_co_u64_u32 v[6:7], null, s6, v6, 0
	v_lshlrev_b64_e32 v[34:35], 1, v[4:5]
	s_wait_kmcnt 0x0
	s_lshl_b32 s22, s3, 8
	v_add3_u32 v3, v3, v9, v8
	v_add_co_u32 v8, vcc_lo, v10, 14
	s_wait_alu 0xfffd
	v_add_co_ci_u32_e64 v9, null, 0, v11, vcc_lo
	v_add3_u32 v7, v7, v13, v12
	v_lshlrev_b64_e32 v[4:5], 1, v[2:3]
	v_mul_lo_u32 v12, s7, v8
	s_delay_alu instid0(VALU_DEP_4)
	v_mul_lo_u32 v13, s6, v9
	v_mad_co_u64_u32 v[8:9], null, s6, v8, 0
	v_lshlrev_b64_e32 v[6:7], 1, v[6:7]
	v_add_co_u32 v39, vcc_lo, s8, v4
	s_wait_alu 0xfffd
	v_add_co_ci_u32_e64 v40, null, s9, v5, vcc_lo
	v_add_co_u32 v41, vcc_lo, s10, v4
	v_add3_u32 v9, v9, v13, v12
	s_wait_alu 0xfffd
	v_add_co_ci_u32_e64 v42, null, s11, v5, vcc_lo
	v_add_co_u32 v43, vcc_lo, s8, v6
	s_wait_alu 0xfffd
	v_add_co_ci_u32_e64 v44, null, s9, v7, vcc_lo
	v_add_co_u32 v12, vcc_lo, v10, 13
	v_add_co_u32 v45, s3, s10, v6
	v_lshlrev_b64_e32 v[4:5], 1, v[8:9]
	s_wait_alu 0xfffd
	v_add_co_ci_u32_e64 v6, null, 0, v11, vcc_lo
	v_add_co_u32 v8, vcc_lo, v10, 12
	s_wait_alu 0xfffd
	v_add_co_ci_u32_e64 v9, null, 0, v11, vcc_lo
	s_wait_alu 0xf1ff
	v_add_co_ci_u32_e64 v46, null, s11, v7, s3
	v_mul_lo_u32 v13, s7, v12
	v_mul_lo_u32 v14, s6, v6
	v_mad_co_u64_u32 v[6:7], null, s6, v12, 0
	v_mul_lo_u32 v12, s7, v8
	v_mul_lo_u32 v15, s6, v9
	v_mad_co_u64_u32 v[8:9], null, s6, v8, 0
	v_add_co_u32 v47, vcc_lo, s8, v4
	s_wait_alu 0xfffd
	v_add_co_ci_u32_e64 v48, null, s9, v5, vcc_lo
	v_add_co_u32 v49, vcc_lo, s10, v4
	s_wait_alu 0xfffd
	v_add_co_ci_u32_e64 v50, null, s11, v5, vcc_lo
	v_add3_u32 v9, v9, v15, v12
	v_add_co_u32 v12, vcc_lo, v10, 11
	v_add3_u32 v7, v7, v14, v13
	s_wait_alu 0xfffd
	v_add_co_ci_u32_e64 v13, null, 0, v11, vcc_lo
	s_delay_alu instid0(VALU_DEP_3)
	v_mul_lo_u32 v14, s7, v12
	v_mov_b32_e32 v104, 0
	v_lshlrev_b64_e32 v[4:5], 1, v[6:7]
	v_lshlrev_b64_e32 v[6:7], 1, v[8:9]
	v_mul_lo_u32 v13, s6, v13
	v_mad_co_u64_u32 v[8:9], null, s6, v12, 0
	s_mul_u64 s[24:25], s[6:7], s[22:23]
	v_add_co_u32 v51, vcc_lo, s8, v4
	s_wait_alu 0xfffd
	v_add_co_ci_u32_e64 v52, null, s9, v5, vcc_lo
	v_add_co_u32 v53, vcc_lo, s10, v4
	v_add3_u32 v9, v9, v13, v14
	s_wait_alu 0xfffd
	v_add_co_ci_u32_e64 v54, null, s11, v5, vcc_lo
	v_add_co_u32 v55, vcc_lo, s8, v6
	s_wait_alu 0xfffd
	v_add_co_ci_u32_e64 v56, null, s9, v7, vcc_lo
	v_add_co_u32 v12, vcc_lo, v10, 10
	v_add_co_u32 v57, s3, s10, v6
	v_lshlrev_b64_e32 v[4:5], 1, v[8:9]
	s_wait_alu 0xfffd
	v_add_co_ci_u32_e64 v6, null, 0, v11, vcc_lo
	v_add_co_u32 v8, vcc_lo, v10, 9
	s_wait_alu 0xfffd
	v_add_co_ci_u32_e64 v9, null, 0, v11, vcc_lo
	s_wait_alu 0xf1ff
	v_add_co_ci_u32_e64 v58, null, s11, v7, s3
	v_mul_lo_u32 v13, s7, v12
	v_mul_lo_u32 v14, s6, v6
	v_mad_co_u64_u32 v[6:7], null, s6, v12, 0
	v_mul_lo_u32 v12, s7, v8
	v_mul_lo_u32 v15, s6, v9
	v_mad_co_u64_u32 v[8:9], null, s6, v8, 0
	v_add_co_u32 v59, vcc_lo, s8, v4
	s_wait_alu 0xfffd
	v_add_co_ci_u32_e64 v60, null, s9, v5, vcc_lo
	v_add_co_u32 v61, vcc_lo, s10, v4
	s_wait_alu 0xfffd
	v_add_co_ci_u32_e64 v62, null, s11, v5, vcc_lo
	v_add3_u32 v9, v9, v15, v12
	v_add_co_u32 v12, vcc_lo, v10, 8
	v_add3_u32 v7, v7, v14, v13
	s_wait_alu 0xfffd
	v_add_co_ci_u32_e64 v13, null, 0, v11, vcc_lo
	s_delay_alu instid0(VALU_DEP_3)
	v_mul_lo_u32 v14, s7, v12
	s_add_nc_u64 s[20:21], s[0:1], 64
	v_lshlrev_b64_e32 v[4:5], 1, v[6:7]
	v_lshlrev_b64_e32 v[6:7], 1, v[8:9]
	v_mul_lo_u32 v13, s6, v13
	v_mad_co_u64_u32 v[8:9], null, s6, v12, 0
	s_lshl_b64 s[24:25], s[24:25], 1
	v_add_co_u32 v63, vcc_lo, s8, v4
	s_wait_alu 0xfffd
	v_add_co_ci_u32_e64 v64, null, s9, v5, vcc_lo
	v_add_co_u32 v65, vcc_lo, s10, v4
	v_add3_u32 v9, v9, v13, v14
	s_wait_alu 0xfffd
	v_add_co_ci_u32_e64 v66, null, s11, v5, vcc_lo
	v_add_co_u32 v67, vcc_lo, s8, v6
	s_wait_alu 0xfffd
	v_add_co_ci_u32_e64 v68, null, s9, v7, vcc_lo
	v_add_co_u32 v12, vcc_lo, v10, 7
	v_add_co_u32 v69, s3, s10, v6
	v_lshlrev_b64_e32 v[4:5], 1, v[8:9]
	s_wait_alu 0xfffd
	v_add_co_ci_u32_e64 v6, null, 0, v11, vcc_lo
	v_add_co_u32 v8, vcc_lo, v10, 6
	s_wait_alu 0xfffd
	v_add_co_ci_u32_e64 v9, null, 0, v11, vcc_lo
	s_wait_alu 0xf1ff
	v_add_co_ci_u32_e64 v70, null, s11, v7, s3
	v_mul_lo_u32 v13, s7, v12
	v_mul_lo_u32 v14, s6, v6
	v_mad_co_u64_u32 v[6:7], null, s6, v12, 0
	v_mul_lo_u32 v12, s7, v8
	v_mul_lo_u32 v15, s6, v9
	v_mad_co_u64_u32 v[8:9], null, s6, v8, 0
	v_add_co_u32 v71, vcc_lo, s8, v4
	s_wait_alu 0xfffd
	v_add_co_ci_u32_e64 v72, null, s9, v5, vcc_lo
	v_add_co_u32 v73, vcc_lo, s10, v4
	v_add3_u32 v7, v7, v14, v13
	s_wait_alu 0xfffd
	v_add_co_ci_u32_e64 v74, null, s11, v5, vcc_lo
	v_add3_u32 v9, v9, v15, v12
	v_add_co_u32 v12, vcc_lo, v10, 5
	s_wait_alu 0xfffd
	v_add_co_ci_u32_e64 v13, null, 0, v11, vcc_lo
	v_lshlrev_b64_e32 v[4:5], 1, v[6:7]
	v_lshlrev_b64_e32 v[6:7], 1, v[8:9]
	v_mul_lo_u32 v14, s7, v12
	s_delay_alu instid0(VALU_DEP_4)
	v_mul_lo_u32 v13, s6, v13
	v_mad_co_u64_u32 v[8:9], null, s6, v12, 0
	v_add_co_u32 v75, vcc_lo, s8, v4
	s_wait_alu 0xfffd
	v_add_co_ci_u32_e64 v76, null, s9, v5, vcc_lo
	v_add_co_u32 v77, vcc_lo, s10, v4
	s_wait_alu 0xfffd
	v_add_co_ci_u32_e64 v78, null, s11, v5, vcc_lo
	v_add_co_u32 v79, vcc_lo, s8, v6
	v_add3_u32 v9, v9, v13, v14
	s_wait_alu 0xfffd
	v_add_co_ci_u32_e64 v80, null, s9, v7, vcc_lo
	v_add_co_u32 v12, vcc_lo, v10, 4
	v_add_co_u32 v81, s3, s10, v6
	s_wait_alu 0xfffd
	v_add_co_ci_u32_e64 v6, null, 0, v11, vcc_lo
	v_lshlrev_b64_e32 v[4:5], 1, v[8:9]
	v_add_co_u32 v8, vcc_lo, v10, 3
	s_wait_alu 0xfffd
	v_add_co_ci_u32_e64 v9, null, 0, v11, vcc_lo
	s_wait_alu 0xf1ff
	v_add_co_ci_u32_e64 v82, null, s11, v7, s3
	v_mul_lo_u32 v13, s7, v12
	v_mul_lo_u32 v14, s6, v6
	v_mad_co_u64_u32 v[6:7], null, s6, v12, 0
	v_mul_lo_u32 v12, s7, v8
	v_mul_lo_u32 v15, s6, v9
	v_mad_co_u64_u32 v[8:9], null, s6, v8, 0
	v_add_co_u32 v83, vcc_lo, s8, v4
	s_wait_alu 0xfffd
	v_add_co_ci_u32_e64 v84, null, s9, v5, vcc_lo
	v_add3_u32 v7, v7, v14, v13
	v_add_co_u32 v85, vcc_lo, s10, v4
	s_wait_alu 0xfffd
	v_add_co_ci_u32_e64 v86, null, s11, v5, vcc_lo
	v_add_co_u32 v10, vcc_lo, v10, 2
	v_add3_u32 v9, v9, v15, v12
	s_wait_alu 0xfffd
	v_add_co_ci_u32_e64 v11, null, 0, v11, vcc_lo
	v_lshlrev_b64_e32 v[4:5], 1, v[6:7]
	v_mul_lo_u32 v12, s7, v10
	v_lshlrev_b64_e32 v[6:7], 1, v[8:9]
	s_delay_alu instid0(VALU_DEP_4)
	v_mul_lo_u32 v11, s6, v11
	v_mad_co_u64_u32 v[8:9], null, s6, v10, 0
	v_add_co_u32 v87, vcc_lo, s8, v4
	s_wait_alu 0xfffd
	v_add_co_ci_u32_e64 v88, null, s9, v5, vcc_lo
	v_add_co_u32 v89, vcc_lo, s10, v4
	s_wait_alu 0xfffd
	v_add_co_ci_u32_e64 v90, null, s11, v5, vcc_lo
	;; [unrolled: 3-line block ×3, first 2 shown]
	v_add3_u32 v9, v9, v11, v12
	v_add_co_u32 v93, vcc_lo, s10, v6
	s_wait_alu 0xfffd
	v_add_co_ci_u32_e64 v94, null, s11, v7, vcc_lo
	v_add_co_u32 v2, vcc_lo, v2, s6
	s_wait_alu 0xfffd
	v_add_co_ci_u32_e64 v3, null, s7, v3, vcc_lo
	v_lshlrev_b64_e32 v[4:5], 1, v[8:9]
	s_add_nc_u64 s[26:27], s[16:17], 0xff
	s_mov_b64 s[28:29], s[16:17]
	s_delay_alu instid0(VALU_DEP_2) | instskip(NEXT) | instid1(VALU_DEP_2)
	v_lshlrev_b64_e32 v[2:3], 1, v[2:3]
	v_add_co_u32 v95, vcc_lo, s8, v4
	s_wait_alu 0xfffd
	v_add_co_ci_u32_e64 v96, null, s9, v5, vcc_lo
	v_add_co_u32 v97, vcc_lo, s10, v4
	s_wait_alu 0xfffd
	v_add_co_ci_u32_e64 v98, null, s11, v5, vcc_lo
	;; [unrolled: 3-line block ×4, first 2 shown]
.LBB82_3:                               ; =>This Inner Loop Header: Depth=1
	v_cmp_ge_i64_e64 s3, s[26:27], s[4:5]
	v_add_co_u32 v105, s18, v37, s26
	s_wait_alu 0xf1ff
	v_add_co_ci_u32_e64 v106, null, 0, s27, s18
                                        ; implicit-def: $vgpr2_vgpr3_vgpr4_vgpr5_vgpr6_vgpr7_vgpr8_vgpr9_vgpr10_vgpr11_vgpr12_vgpr13_vgpr14_vgpr15_vgpr16_vgpr17
                                        ; implicit-def: $vgpr108
                                        ; implicit-def: $vgpr18_vgpr19_vgpr20_vgpr21_vgpr22_vgpr23_vgpr24_vgpr25_vgpr26_vgpr27_vgpr28_vgpr29_vgpr30_vgpr31_vgpr32_vgpr33
                                        ; implicit-def: $vgpr3
	s_and_b32 vcc_lo, exec_lo, s3
	s_mov_b32 s3, -1
                                        ; implicit-def: $vgpr2
                                        ; implicit-def: $vgpr4
	s_wait_alu 0xfffe
	s_cbranch_vccz .LBB82_41
; %bb.4:                                ;   in Loop: Header=BB82_3 Depth=1
	s_load_b32 s3, s[20:21], 0xc
	v_dual_mov_b32 v108, 0 :: v_dual_mov_b32 v107, 0
	s_wait_kmcnt 0x0
	s_and_b32 s3, s3, 0xffff
	s_wait_alu 0xfffe
	v_mad_u32_u24 v2, v36, s3, v38
	s_mov_b32 s3, exec_lo
	s_delay_alu instid0(VALU_DEP_1) | instskip(NEXT) | instid1(VALU_DEP_1)
	v_and_b32_e32 v2, 31, v2
	v_cmpx_gt_u32_e32 16, v2
	s_cbranch_execz .LBB82_8
; %bb.5:                                ;   in Loop: Header=BB82_3 Depth=1
	v_add_co_u32 v2, vcc_lo, v105, v2
	s_wait_alu 0xfffd
	v_add_co_ci_u32_e64 v3, null, 0, v106, vcc_lo
	v_dual_mov_b32 v107, 0 :: v_dual_mov_b32 v108, 0
	s_delay_alu instid0(VALU_DEP_3) | instskip(SKIP_1) | instid1(VALU_DEP_3)
	v_add_co_u32 v2, vcc_lo, 0xffffff01, v2
	s_wait_alu 0xfffd
	v_add_co_ci_u32_e64 v3, null, -1, v3, vcc_lo
	s_mov_b32 s18, exec_lo
	v_cmpx_gt_i64_e64 s[4:5], v[2:3]
	s_cbranch_execz .LBB82_7
; %bb.6:                                ;   in Loop: Header=BB82_3 Depth=1
	v_lshlrev_b64_e32 v[2:3], 2, v[2:3]
	s_delay_alu instid0(VALU_DEP_1) | instskip(SKIP_1) | instid1(VALU_DEP_2)
	v_add_co_u32 v4, vcc_lo, s12, v2
	s_wait_alu 0xfffd
	v_add_co_ci_u32_e64 v5, null, s13, v3, vcc_lo
	v_add_co_u32 v2, vcc_lo, s14, v2
	s_wait_alu 0xfffd
	v_add_co_ci_u32_e64 v3, null, s15, v3, vcc_lo
	global_load_b32 v107, v[4:5], off
	global_load_b32 v108, v[2:3], off
.LBB82_7:                               ;   in Loop: Header=BB82_3 Depth=1
	s_wait_alu 0xfffe
	s_or_b32 exec_lo, exec_lo, s18
.LBB82_8:                               ;   in Loop: Header=BB82_3 Depth=1
	s_wait_alu 0xfffe
	s_or_b32 exec_lo, exec_lo, s3
	v_add_co_u32 v17, vcc_lo, 0xffffff01, v105
	s_wait_alu 0xfffd
	v_add_co_ci_u32_e64 v18, null, -1, v106, vcc_lo
	v_mov_b32_e32 v16, v1
	v_dual_mov_b32 v2, v1 :: v_dual_mov_b32 v3, v1
	v_dual_mov_b32 v4, v1 :: v_dual_mov_b32 v5, v1
	;; [unrolled: 1-line block ×7, first 2 shown]
	v_cmp_gt_i64_e32 vcc_lo, s[4:5], v[17:18]
	s_delay_alu instid0(VALU_DEP_3) | instskip(NEXT) | instid1(VALU_DEP_3)
	v_dual_mov_b32 v33, v16 :: v_dual_mov_b32 v30, v13
	v_dual_mov_b32 v31, v14 :: v_dual_mov_b32 v32, v15
	;; [unrolled: 1-line block ×8, first 2 shown]
	v_mov_b32_e32 v17, v16
	v_mov_b32_e32 v16, v15
	;; [unrolled: 1-line block ×16, first 2 shown]
	s_and_b32 s18, s2, vcc_lo
	s_wait_alu 0xfffe
	s_and_saveexec_b32 s3, s18
	s_cbranch_execz .LBB82_10
; %bb.9:                                ;   in Loop: Header=BB82_3 Depth=1
	v_add_co_u32 v2, vcc_lo, v39, v34
	s_wait_alu 0xfffd
	v_add_co_ci_u32_e64 v3, null, v40, v35, vcc_lo
	v_add_co_u32 v4, vcc_lo, v41, v34
	s_wait_alu 0xfffd
	v_add_co_ci_u32_e64 v5, null, v42, v35, vcc_lo
	global_load_u16 v2, v[2:3], off
	global_load_u16 v18, v[4:5], off
	v_dual_mov_b32 v3, v1 :: v_dual_mov_b32 v4, v1
	v_dual_mov_b32 v5, v1 :: v_dual_mov_b32 v6, v1
	v_dual_mov_b32 v7, v1 :: v_dual_mov_b32 v8, v1
	v_dual_mov_b32 v9, v1 :: v_dual_mov_b32 v10, v1
	v_dual_mov_b32 v11, v1 :: v_dual_mov_b32 v12, v1
	v_dual_mov_b32 v13, v1 :: v_dual_mov_b32 v14, v1
	v_dual_mov_b32 v15, v1 :: v_dual_mov_b32 v16, v1
	v_dual_mov_b32 v17, v1 :: v_dual_mov_b32 v20, v1
	v_dual_mov_b32 v19, v1 :: v_dual_mov_b32 v22, v1
	v_dual_mov_b32 v21, v1 :: v_dual_mov_b32 v24, v1
	v_dual_mov_b32 v23, v1 :: v_dual_mov_b32 v26, v1
	v_dual_mov_b32 v25, v1 :: v_dual_mov_b32 v28, v1
	v_dual_mov_b32 v27, v1 :: v_dual_mov_b32 v30, v1
	v_dual_mov_b32 v29, v1 :: v_dual_mov_b32 v32, v1
	v_mov_b32_e32 v31, v1
	v_mov_b32_e32 v33, v1
	s_wait_loadcnt 0x1
	v_cvt_f32_f16_e32 v2, v2
	s_wait_loadcnt 0x0
	v_cvt_f32_f16_e32 v18, v18
.LBB82_10:                              ;   in Loop: Header=BB82_3 Depth=1
	s_wait_alu 0xfffe
	s_or_b32 exec_lo, exec_lo, s3
	v_add_co_u32 v109, vcc_lo, 0xffffff02, v105
	s_wait_alu 0xfffd
	v_add_co_ci_u32_e64 v110, null, -1, v106, vcc_lo
	s_delay_alu instid0(VALU_DEP_1)
	v_cmp_gt_i64_e32 vcc_lo, s[4:5], v[109:110]
	s_and_b32 s18, s2, vcc_lo
	s_wait_alu 0xfffe
	s_and_saveexec_b32 s3, s18
	s_cbranch_execz .LBB82_12
; %bb.11:                               ;   in Loop: Header=BB82_3 Depth=1
	v_add_co_u32 v109, vcc_lo, v99, v34
	s_wait_alu 0xfffd
	v_add_co_ci_u32_e64 v110, null, v101, v35, vcc_lo
	v_add_co_u32 v111, vcc_lo, v102, v34
	s_wait_alu 0xfffd
	v_add_co_ci_u32_e64 v112, null, v103, v35, vcc_lo
	global_load_u16 v3, v[109:110], off
	global_load_u16 v19, v[111:112], off
	s_wait_loadcnt 0x1
	v_cvt_f32_f16_e32 v3, v3
	s_wait_loadcnt 0x0
	v_cvt_f32_f16_e32 v19, v19
.LBB82_12:                              ;   in Loop: Header=BB82_3 Depth=1
	s_wait_alu 0xfffe
	s_or_b32 exec_lo, exec_lo, s3
	v_add_co_u32 v109, vcc_lo, 0xffffff03, v105
	s_wait_alu 0xfffd
	v_add_co_ci_u32_e64 v110, null, -1, v106, vcc_lo
	s_delay_alu instid0(VALU_DEP_1)
	v_cmp_gt_i64_e32 vcc_lo, s[4:5], v[109:110]
	s_and_b32 s18, s2, vcc_lo
	s_wait_alu 0xfffe
	s_and_saveexec_b32 s3, s18
	s_cbranch_execz .LBB82_14
; %bb.13:                               ;   in Loop: Header=BB82_3 Depth=1
	v_add_co_u32 v109, vcc_lo, v95, v34
	s_wait_alu 0xfffd
	v_add_co_ci_u32_e64 v110, null, v96, v35, vcc_lo
	v_add_co_u32 v111, vcc_lo, v97, v34
	s_wait_alu 0xfffd
	v_add_co_ci_u32_e64 v112, null, v98, v35, vcc_lo
	global_load_u16 v4, v[109:110], off
	global_load_u16 v20, v[111:112], off
	s_wait_loadcnt 0x1
	v_cvt_f32_f16_e32 v4, v4
	s_wait_loadcnt 0x0
	v_cvt_f32_f16_e32 v20, v20
.LBB82_14:                              ;   in Loop: Header=BB82_3 Depth=1
	;; [unrolled: 25-line block ×15, first 2 shown]
	s_wait_alu 0xfffe
	s_or_b32 exec_lo, exec_lo, s3
	s_wait_loadcnt 0x1
	ds_bpermute_b32 v109, v1, v107
	ds_bpermute_b32 v110, v1, v107 offset:4
	s_wait_loadcnt 0x0
	ds_bpermute_b32 v111, v1, v108
	ds_bpermute_b32 v113, v1, v107 offset:8
	ds_bpermute_b32 v117, v1, v107 offset:12
	;; [unrolled: 1-line block ×14, first 2 shown]
	s_mov_b32 s3, 0
	s_wait_dscnt 0xf
	v_dual_sub_f32 v18, v18, v109 :: v_dual_sub_f32 v19, v19, v110
	v_add_f32_e32 v112, v100, v2
	s_wait_dscnt 0xd
	v_sub_f32_e32 v20, v20, v113
	ds_bpermute_b32 v109, v1, v107 offset:28
	s_wait_dscnt 0xd
	v_dual_mul_f32 v2, v2, v18 :: v_dual_sub_f32 v21, v21, v117
	v_mul_f32_e32 v19, v3, v19
	v_add_f32_e32 v3, v3, v112
	v_mul_f32_e32 v20, v4, v20
	s_delay_alu instid0(VALU_DEP_4)
	v_fma_f32 v2, v2, v111, v104
	ds_bpermute_b32 v110, v1, v107 offset:36
	v_mul_f32_e32 v21, v5, v21
	ds_bpermute_b32 v113, v1, v107 offset:40
	ds_bpermute_b32 v18, v1, v108 offset:36
	s_wait_dscnt 0xf
	v_dual_fmac_f32 v2, v19, v114 :: v_dual_add_f32 v3, v4, v3
	ds_bpermute_b32 v4, v1, v107 offset:44
	ds_bpermute_b32 v111, v1, v108 offset:40
	;; [unrolled: 1-line block ×3, first 2 shown]
	s_wait_dscnt 0x11
	v_fmac_f32_e32 v2, v20, v115
	s_wait_dscnt 0x10
	v_dual_sub_f32 v20, v23, v121 :: v_dual_add_f32 v3, v5, v3
	ds_bpermute_b32 v5, v1, v108 offset:48
	s_wait_dscnt 0xe
	v_dual_fmac_f32 v2, v21, v116 :: v_dual_sub_f32 v21, v24, v123
	v_sub_f32_e32 v22, v22, v119
	v_dual_mul_f32 v20, v7, v20 :: v_dual_add_f32 v3, v6, v3
	s_delay_alu instid0(VALU_DEP_2)
	v_dual_mul_f32 v21, v8, v21 :: v_dual_mul_f32 v22, v6, v22
	ds_bpermute_b32 v6, v1, v107 offset:48
	v_add_f32_e32 v3, v7, v3
	ds_bpermute_b32 v7, v1, v108 offset:52
	s_wait_dscnt 0xf
	v_fmac_f32_e32 v2, v22, v118
	s_wait_dscnt 0x5
	v_dual_sub_f32 v4, v29, v4 :: v_dual_add_f32 v3, v8, v3
	ds_bpermute_b32 v8, v1, v107 offset:52
	v_fmac_f32_e32 v2, v20, v120
	v_mul_f32_e32 v4, v13, v4
	v_add_f32_e32 v3, v9, v3
	s_delay_alu instid0(VALU_DEP_1) | instskip(NEXT) | instid1(VALU_DEP_1)
	v_dual_sub_f32 v22, v25, v109 :: v_dual_add_f32 v3, v10, v3
	v_mul_f32_e32 v22, v9, v22
	ds_bpermute_b32 v9, v1, v107 offset:56
	s_wait_dscnt 0x3
	v_dual_sub_f32 v6, v30, v6 :: v_dual_add_f32 v3, v11, v3
	v_fmac_f32_e32 v2, v21, v122
	v_sub_f32_e32 v21, v27, v110
	v_sub_f32_e32 v20, v26, v126
	s_delay_alu instid0(VALU_DEP_4) | instskip(SKIP_2) | instid1(VALU_DEP_3)
	v_mul_f32_e32 v6, v14, v6
	s_wait_dscnt 0x1
	v_sub_f32_e32 v8, v31, v8
	v_dual_mul_f32 v21, v11, v21 :: v_dual_mul_f32 v20, v10, v20
	v_add_f32_e32 v11, v12, v3
	ds_bpermute_b32 v10, v1, v108 offset:56
	ds_bpermute_b32 v108, v1, v108 offset:60
	;; [unrolled: 1-line block ×3, first 2 shown]
	s_wait_dscnt 0x3
	v_dual_mul_f32 v8, v15, v8 :: v_dual_sub_f32 v9, v32, v9
	v_fmac_f32_e32 v2, v22, v124
	v_sub_f32_e32 v22, v28, v113
	s_delay_alu instid0(VALU_DEP_2) | instskip(NEXT) | instid1(VALU_DEP_2)
	v_fmac_f32_e32 v2, v20, v125
	v_mul_f32_e32 v20, v12, v22
	s_delay_alu instid0(VALU_DEP_2) | instskip(NEXT) | instid1(VALU_DEP_1)
	v_fmac_f32_e32 v2, v21, v18
	v_fmac_f32_e32 v2, v20, v111
	s_delay_alu instid0(VALU_DEP_1) | instskip(SKIP_1) | instid1(VALU_DEP_2)
	v_fmac_f32_e32 v2, v4, v19
	v_add_f32_e32 v4, v13, v11
	v_fmac_f32_e32 v2, v6, v5
	s_delay_alu instid0(VALU_DEP_2) | instskip(NEXT) | instid1(VALU_DEP_2)
	v_dual_add_f32 v4, v14, v4 :: v_dual_mul_f32 v5, v16, v9
	v_fmac_f32_e32 v2, v8, v7
	s_delay_alu instid0(VALU_DEP_2) | instskip(SKIP_1) | instid1(VALU_DEP_2)
	v_add_f32_e32 v4, v15, v4
	s_wait_dscnt 0x2
	v_fmac_f32_e32 v2, v5, v10
	s_delay_alu instid0(VALU_DEP_2)
	v_add_f32_e32 v4, v16, v4
.LBB82_41:                              ;   in Loop: Header=BB82_3 Depth=1
	s_wait_alu 0xfffe
	s_and_b32 vcc_lo, exec_lo, s3
	s_wait_alu 0xfffe
	s_cbranch_vccz .LBB82_64
; %bb.42:                               ;   in Loop: Header=BB82_3 Depth=1
	s_load_b32 s3, s[20:21], 0x0
	s_wait_dscnt 0x1
	v_dual_mov_b32 v108, 0 :: v_dual_mov_b32 v107, 0
	s_wait_kmcnt 0x0
	s_cmp_lt_u32 ttmp9, s3
	s_cselect_b32 s18, 12, 18
	s_wait_alu 0xfffe
	s_add_nc_u64 s[34:35], s[20:21], s[18:19]
	s_load_u16 s3, s[34:35], 0x0
	s_wait_kmcnt 0x0
	v_mad_u32_u24 v2, v36, s3, v38
	s_mov_b32 s3, exec_lo
	s_delay_alu instid0(VALU_DEP_1) | instskip(NEXT) | instid1(VALU_DEP_1)
	v_and_b32_e32 v2, 31, v2
	v_cmpx_gt_u32_e32 16, v2
	s_cbranch_execz .LBB82_46
; %bb.43:                               ;   in Loop: Header=BB82_3 Depth=1
	v_add_co_u32 v2, vcc_lo, v105, v2
	s_wait_dscnt 0x0
	s_wait_alu 0xfffd
	v_add_co_ci_u32_e64 v3, null, 0, v106, vcc_lo
	v_dual_mov_b32 v107, 0 :: v_dual_mov_b32 v108, 0
	v_add_co_u32 v2, vcc_lo, 0xffffff01, v2
	s_wait_alu 0xfffd
	s_delay_alu instid0(VALU_DEP_3)
	v_add_co_ci_u32_e64 v3, null, -1, v3, vcc_lo
	s_mov_b32 s18, exec_lo
	v_cmpx_gt_i64_e64 s[4:5], v[2:3]
	s_cbranch_execz .LBB82_45
; %bb.44:                               ;   in Loop: Header=BB82_3 Depth=1
	v_lshlrev_b64_e32 v[2:3], 2, v[2:3]
	s_delay_alu instid0(VALU_DEP_1) | instskip(SKIP_1) | instid1(VALU_DEP_2)
	v_add_co_u32 v4, vcc_lo, s12, v2
	s_wait_alu 0xfffd
	v_add_co_ci_u32_e64 v5, null, s13, v3, vcc_lo
	v_add_co_u32 v2, vcc_lo, s14, v2
	s_wait_alu 0xfffd
	v_add_co_ci_u32_e64 v3, null, s15, v3, vcc_lo
	global_load_b32 v107, v[4:5], off
	global_load_b32 v108, v[2:3], off
.LBB82_45:                              ;   in Loop: Header=BB82_3 Depth=1
	s_wait_alu 0xfffe
	s_or_b32 exec_lo, exec_lo, s18
.LBB82_46:                              ;   in Loop: Header=BB82_3 Depth=1
	s_wait_alu 0xfffe
	s_or_b32 exec_lo, exec_lo, s3
	v_mov_b32_e32 v16, v1
	s_wait_dscnt 0x0
	v_dual_mov_b32 v2, v1 :: v_dual_mov_b32 v3, v1
	v_dual_mov_b32 v4, v1 :: v_dual_mov_b32 v5, v1
	;; [unrolled: 1-line block ×7, first 2 shown]
	v_mov_b32_e32 v33, v16
	s_delay_alu instid0(VALU_DEP_3) | instskip(NEXT) | instid1(VALU_DEP_3)
	v_dual_mov_b32 v29, v12 :: v_dual_mov_b32 v28, v11
	v_dual_mov_b32 v31, v14 :: v_dual_mov_b32 v30, v13
	s_delay_alu instid0(VALU_DEP_4)
	v_dual_mov_b32 v32, v15 :: v_dual_mov_b32 v27, v10
	v_dual_mov_b32 v26, v9 :: v_dual_mov_b32 v25, v8
	;; [unrolled: 1-line block ×6, first 2 shown]
	v_mov_b32_e32 v16, v15
	v_mov_b32_e32 v15, v14
	;; [unrolled: 1-line block ×15, first 2 shown]
	s_and_saveexec_b32 s3, s2
	s_cbranch_execnz .LBB82_66
; %bb.47:                               ;   in Loop: Header=BB82_3 Depth=1
	s_wait_alu 0xfffe
	s_or_b32 exec_lo, exec_lo, s3
	s_and_saveexec_b32 s3, s2
	s_cbranch_execnz .LBB82_67
.LBB82_48:                              ;   in Loop: Header=BB82_3 Depth=1
	s_wait_alu 0xfffe
	s_or_b32 exec_lo, exec_lo, s3
	s_and_saveexec_b32 s3, s2
	s_cbranch_execnz .LBB82_68
.LBB82_49:                              ;   in Loop: Header=BB82_3 Depth=1
	s_wait_alu 0xfffe
	s_or_b32 exec_lo, exec_lo, s3
	s_and_saveexec_b32 s3, s2
	s_cbranch_execnz .LBB82_69
.LBB82_50:                              ;   in Loop: Header=BB82_3 Depth=1
	s_wait_alu 0xfffe
	s_or_b32 exec_lo, exec_lo, s3
	s_and_saveexec_b32 s3, s2
	s_cbranch_execnz .LBB82_70
.LBB82_51:                              ;   in Loop: Header=BB82_3 Depth=1
	s_wait_alu 0xfffe
	s_or_b32 exec_lo, exec_lo, s3
	s_and_saveexec_b32 s3, s2
	s_cbranch_execnz .LBB82_71
.LBB82_52:                              ;   in Loop: Header=BB82_3 Depth=1
	s_wait_alu 0xfffe
	s_or_b32 exec_lo, exec_lo, s3
	s_and_saveexec_b32 s3, s2
	s_cbranch_execnz .LBB82_72
.LBB82_53:                              ;   in Loop: Header=BB82_3 Depth=1
	s_wait_alu 0xfffe
	s_or_b32 exec_lo, exec_lo, s3
	s_and_saveexec_b32 s3, s2
	s_cbranch_execnz .LBB82_73
.LBB82_54:                              ;   in Loop: Header=BB82_3 Depth=1
	s_wait_alu 0xfffe
	s_or_b32 exec_lo, exec_lo, s3
	s_and_saveexec_b32 s3, s2
	s_cbranch_execnz .LBB82_74
.LBB82_55:                              ;   in Loop: Header=BB82_3 Depth=1
	s_wait_alu 0xfffe
	s_or_b32 exec_lo, exec_lo, s3
	s_and_saveexec_b32 s3, s2
	s_cbranch_execnz .LBB82_75
.LBB82_56:                              ;   in Loop: Header=BB82_3 Depth=1
	s_wait_alu 0xfffe
	s_or_b32 exec_lo, exec_lo, s3
	s_and_saveexec_b32 s3, s2
	s_cbranch_execnz .LBB82_76
.LBB82_57:                              ;   in Loop: Header=BB82_3 Depth=1
	s_wait_alu 0xfffe
	s_or_b32 exec_lo, exec_lo, s3
	s_and_saveexec_b32 s3, s2
	s_cbranch_execnz .LBB82_77
.LBB82_58:                              ;   in Loop: Header=BB82_3 Depth=1
	s_wait_alu 0xfffe
	s_or_b32 exec_lo, exec_lo, s3
	s_and_saveexec_b32 s3, s2
	s_cbranch_execnz .LBB82_78
.LBB82_59:                              ;   in Loop: Header=BB82_3 Depth=1
	s_wait_alu 0xfffe
	s_or_b32 exec_lo, exec_lo, s3
	s_and_saveexec_b32 s3, s2
	s_cbranch_execnz .LBB82_79
.LBB82_60:                              ;   in Loop: Header=BB82_3 Depth=1
	s_wait_alu 0xfffe
	s_or_b32 exec_lo, exec_lo, s3
	s_and_saveexec_b32 s3, s2
	s_cbranch_execnz .LBB82_80
.LBB82_61:                              ;   in Loop: Header=BB82_3 Depth=1
	s_wait_alu 0xfffe
	s_or_b32 exec_lo, exec_lo, s3
	s_and_saveexec_b32 s3, s2
	s_cbranch_execz .LBB82_63
.LBB82_62:                              ;   in Loop: Header=BB82_3 Depth=1
	v_add_co_u32 v105, vcc_lo, v43, v34
	s_wait_alu 0xfffd
	v_add_co_ci_u32_e64 v106, null, v44, v35, vcc_lo
	v_add_co_u32 v109, vcc_lo, v45, v34
	s_wait_alu 0xfffd
	v_add_co_ci_u32_e64 v110, null, v46, v35, vcc_lo
	global_load_u16 v17, v[105:106], off
	global_load_u16 v33, v[109:110], off
	s_wait_loadcnt 0x1
	v_cvt_f32_f16_e32 v17, v17
	s_wait_loadcnt 0x0
	v_cvt_f32_f16_e32 v33, v33
.LBB82_63:                              ;   in Loop: Header=BB82_3 Depth=1
	s_wait_alu 0xfffe
	s_or_b32 exec_lo, exec_lo, s3
	s_wait_loadcnt 0x1
	ds_bpermute_b32 v105, v1, v107
	ds_bpermute_b32 v106, v1, v107 offset:4
	s_wait_loadcnt 0x0
	ds_bpermute_b32 v109, v1, v108
	ds_bpermute_b32 v110, v1, v107 offset:8
	ds_bpermute_b32 v114, v1, v107 offset:12
	;; [unrolled: 1-line block ×13, first 2 shown]
	s_wait_dscnt 0xe
	v_dual_sub_f32 v18, v18, v105 :: v_dual_sub_f32 v19, v19, v106
	v_add_f32_e32 v100, v100, v2
	ds_bpermute_b32 v105, v1, v108 offset:28
	ds_bpermute_b32 v106, v1, v108 offset:36
	v_dual_mul_f32 v2, v2, v18 :: v_dual_mul_f32 v19, v3, v19
	v_add_f32_e32 v3, v3, v100
	s_wait_dscnt 0xc
	v_sub_f32_e32 v22, v22, v116
	ds_bpermute_b32 v18, v1, v107 offset:32
	v_dual_fmac_f32 v104, v2, v109 :: v_dual_sub_f32 v21, v21, v114
	v_sub_f32_e32 v20, v20, v110
	v_add_f32_e32 v3, v4, v3
	ds_bpermute_b32 v2, v1, v107 offset:36
	s_wait_dscnt 0xd
	v_dual_fmac_f32 v104, v19, v111 :: v_dual_mul_f32 v21, v5, v21
	v_dual_mul_f32 v20, v4, v20 :: v_dual_add_f32 v3, v5, v3
	s_wait_dscnt 0xa
	v_dual_sub_f32 v5, v24, v120 :: v_dual_sub_f32 v4, v23, v118
	ds_bpermute_b32 v19, v1, v107 offset:40
	v_dual_fmac_f32 v104, v20, v112 :: v_dual_add_f32 v3, v6, v3
	v_dual_mul_f32 v22, v6, v22 :: v_dual_mul_f32 v5, v8, v5
	ds_bpermute_b32 v109, v1, v108 offset:40
	ds_bpermute_b32 v20, v1, v108 offset:44
	v_add_f32_e32 v3, v7, v3
	s_delay_alu instid0(VALU_DEP_1) | instskip(SKIP_1) | instid1(VALU_DEP_1)
	v_dual_mul_f32 v4, v7, v4 :: v_dual_add_f32 v3, v8, v3
	s_wait_dscnt 0x4
	v_dual_sub_f32 v18, v26, v18 :: v_dual_add_f32 v3, v9, v3
	s_delay_alu instid0(VALU_DEP_1)
	v_dual_fmac_f32 v104, v21, v113 :: v_dual_mul_f32 v7, v10, v18
	ds_bpermute_b32 v21, v1, v107 offset:44
	v_dual_sub_f32 v6, v25, v121 :: v_dual_add_f32 v3, v10, v3
	v_fmac_f32_e32 v104, v22, v115
	ds_bpermute_b32 v22, v1, v108 offset:48
	v_dual_mul_f32 v6, v9, v6 :: v_dual_add_f32 v3, v11, v3
	s_wait_dscnt 0x5
	v_sub_f32_e32 v2, v27, v2
	s_wait_dscnt 0x1
	s_delay_alu instid0(VALU_DEP_1)
	v_dual_mul_f32 v2, v11, v2 :: v_dual_sub_f32 v9, v29, v21
	v_fmac_f32_e32 v104, v4, v117
	ds_bpermute_b32 v4, v1, v107 offset:48
	v_fmac_f32_e32 v104, v5, v119
	ds_bpermute_b32 v5, v1, v107 offset:52
	s_wait_dscnt 0x0
	v_sub_f32_e32 v5, v31, v5
	v_fmac_f32_e32 v104, v6, v105
	ds_bpermute_b32 v6, v1, v108 offset:52
	v_fmac_f32_e32 v104, v7, v122
	ds_bpermute_b32 v7, v1, v107 offset:56
	v_fmac_f32_e32 v104, v2, v106
	v_sub_f32_e32 v2, v30, v4
	v_dual_mul_f32 v4, v13, v9 :: v_dual_add_f32 v9, v12, v3
	v_sub_f32_e32 v8, v28, v19
	ds_bpermute_b32 v3, v1, v107 offset:60
	v_mul_f32_e32 v2, v14, v2
	v_mul_f32_e32 v8, v12, v8
	s_delay_alu instid0(VALU_DEP_1) | instskip(SKIP_4) | instid1(VALU_DEP_2)
	v_fmac_f32_e32 v104, v8, v109
	ds_bpermute_b32 v8, v1, v108 offset:56
	ds_bpermute_b32 v108, v1, v108 offset:60
	v_fmac_f32_e32 v104, v4, v20
	v_mul_f32_e32 v4, v15, v5
	v_dual_add_f32 v5, v13, v9 :: v_dual_fmac_f32 v104, v2, v22
	s_wait_dscnt 0x3
	s_delay_alu instid0(VALU_DEP_1) | instskip(NEXT) | instid1(VALU_DEP_2)
	v_dual_sub_f32 v2, v32, v7 :: v_dual_add_f32 v5, v14, v5
	v_fmac_f32_e32 v104, v4, v6
	s_delay_alu instid0(VALU_DEP_2) | instskip(NEXT) | instid1(VALU_DEP_3)
	v_mul_f32_e32 v2, v16, v2
	v_add_f32_e32 v4, v15, v5
	s_wait_dscnt 0x1
	s_delay_alu instid0(VALU_DEP_2) | instskip(NEXT) | instid1(VALU_DEP_2)
	v_fmac_f32_e32 v104, v2, v8
	v_add_f32_e32 v4, v16, v4
	s_delay_alu instid0(VALU_DEP_2)
	v_mov_b32_e32 v2, v104
.LBB82_64:                              ;   in Loop: Header=BB82_3 Depth=1
	v_add_co_u32 v39, vcc_lo, v39, s24
	s_wait_alu 0xfffd
	v_add_co_ci_u32_e64 v40, null, s25, v40, vcc_lo
	v_add_co_u32 v41, vcc_lo, v41, s24
	s_wait_alu 0xfffd
	v_add_co_ci_u32_e64 v42, null, s25, v42, vcc_lo
	;; [unrolled: 3-line block ×26, first 2 shown]
	v_add_co_u32 v91, vcc_lo, v91, s24
	s_wait_dscnt 0x0
	v_dual_sub_f32 v3, v33, v3 :: v_dual_add_f32 v100, v4, v17
	s_wait_alu 0xfffd
	v_add_co_ci_u32_e64 v92, null, s25, v92, vcc_lo
	v_add_co_u32 v93, vcc_lo, v93, s24
	s_wait_alu 0xfffd
	v_add_co_ci_u32_e64 v94, null, s25, v94, vcc_lo
	v_add_co_u32 v95, vcc_lo, v95, s24
	;; [unrolled: 3-line block ×3, first 2 shown]
	s_add_nc_u64 s[28:29], s[28:29], s[22:23]
	v_mul_f32_e32 v3, v17, v3
	s_wait_alu 0xfffd
	v_add_co_ci_u32_e64 v98, null, s25, v98, vcc_lo
	v_add_co_u32 v99, vcc_lo, v99, s24
	s_wait_alu 0xfffe
	v_cmp_lt_i64_e64 s3, s[28:29], s[4:5]
	s_wait_alu 0xfffd
	v_add_co_ci_u32_e64 v101, null, s25, v101, vcc_lo
	v_add_co_u32 v102, vcc_lo, v102, s24
	v_fmac_f32_e32 v2, v3, v108
	s_wait_alu 0xfffd
	v_add_co_ci_u32_e64 v103, null, s25, v103, vcc_lo
	s_and_b32 vcc_lo, exec_lo, s3
	s_add_nc_u64 s[26:27], s[26:27], s[22:23]
	s_wait_alu 0xfffe
	s_cbranch_vccz .LBB82_82
; %bb.65:                               ;   in Loop: Header=BB82_3 Depth=1
	v_mov_b32_e32 v104, v2
	s_branch .LBB82_3
.LBB82_66:                              ;   in Loop: Header=BB82_3 Depth=1
	v_add_co_u32 v2, vcc_lo, v39, v34
	s_wait_alu 0xfffd
	v_add_co_ci_u32_e64 v3, null, v40, v35, vcc_lo
	v_add_co_u32 v4, vcc_lo, v41, v34
	s_wait_alu 0xfffd
	v_add_co_ci_u32_e64 v5, null, v42, v35, vcc_lo
	global_load_u16 v2, v[2:3], off
	global_load_u16 v18, v[4:5], off
	v_dual_mov_b32 v3, v1 :: v_dual_mov_b32 v4, v1
	v_dual_mov_b32 v5, v1 :: v_dual_mov_b32 v6, v1
	;; [unrolled: 1-line block ×14, first 2 shown]
	v_mov_b32_e32 v31, v1
	v_mov_b32_e32 v33, v1
	s_wait_loadcnt 0x1
	v_cvt_f32_f16_e32 v2, v2
	s_wait_loadcnt 0x0
	v_cvt_f32_f16_e32 v18, v18
	s_wait_alu 0xfffe
	s_or_b32 exec_lo, exec_lo, s3
	s_and_saveexec_b32 s3, s2
	s_cbranch_execz .LBB82_48
.LBB82_67:                              ;   in Loop: Header=BB82_3 Depth=1
	v_add_co_u32 v105, vcc_lo, v99, v34
	s_wait_alu 0xfffd
	v_add_co_ci_u32_e64 v106, null, v101, v35, vcc_lo
	v_add_co_u32 v109, vcc_lo, v102, v34
	s_wait_alu 0xfffd
	v_add_co_ci_u32_e64 v110, null, v103, v35, vcc_lo
	global_load_u16 v3, v[105:106], off
	global_load_u16 v19, v[109:110], off
	s_wait_loadcnt 0x1
	v_cvt_f32_f16_e32 v3, v3
	s_wait_loadcnt 0x0
	v_cvt_f32_f16_e32 v19, v19
	s_wait_alu 0xfffe
	s_or_b32 exec_lo, exec_lo, s3
	s_and_saveexec_b32 s3, s2
	s_cbranch_execz .LBB82_49
.LBB82_68:                              ;   in Loop: Header=BB82_3 Depth=1
	v_add_co_u32 v105, vcc_lo, v95, v34
	s_wait_alu 0xfffd
	v_add_co_ci_u32_e64 v106, null, v96, v35, vcc_lo
	v_add_co_u32 v109, vcc_lo, v97, v34
	s_wait_alu 0xfffd
	v_add_co_ci_u32_e64 v110, null, v98, v35, vcc_lo
	global_load_u16 v4, v[105:106], off
	global_load_u16 v20, v[109:110], off
	s_wait_loadcnt 0x1
	v_cvt_f32_f16_e32 v4, v4
	s_wait_loadcnt 0x0
	v_cvt_f32_f16_e32 v20, v20
	s_wait_alu 0xfffe
	s_or_b32 exec_lo, exec_lo, s3
	s_and_saveexec_b32 s3, s2
	s_cbranch_execz .LBB82_50
.LBB82_69:                              ;   in Loop: Header=BB82_3 Depth=1
	v_add_co_u32 v105, vcc_lo, v91, v34
	s_wait_alu 0xfffd
	v_add_co_ci_u32_e64 v106, null, v92, v35, vcc_lo
	v_add_co_u32 v109, vcc_lo, v93, v34
	s_wait_alu 0xfffd
	v_add_co_ci_u32_e64 v110, null, v94, v35, vcc_lo
	global_load_u16 v5, v[105:106], off
	global_load_u16 v21, v[109:110], off
	s_wait_loadcnt 0x1
	v_cvt_f32_f16_e32 v5, v5
	s_wait_loadcnt 0x0
	v_cvt_f32_f16_e32 v21, v21
	s_wait_alu 0xfffe
	s_or_b32 exec_lo, exec_lo, s3
	s_and_saveexec_b32 s3, s2
	s_cbranch_execz .LBB82_51
.LBB82_70:                              ;   in Loop: Header=BB82_3 Depth=1
	v_add_co_u32 v105, vcc_lo, v87, v34
	s_wait_alu 0xfffd
	v_add_co_ci_u32_e64 v106, null, v88, v35, vcc_lo
	v_add_co_u32 v109, vcc_lo, v89, v34
	s_wait_alu 0xfffd
	v_add_co_ci_u32_e64 v110, null, v90, v35, vcc_lo
	global_load_u16 v6, v[105:106], off
	global_load_u16 v22, v[109:110], off
	s_wait_loadcnt 0x1
	v_cvt_f32_f16_e32 v6, v6
	s_wait_loadcnt 0x0
	v_cvt_f32_f16_e32 v22, v22
	s_wait_alu 0xfffe
	s_or_b32 exec_lo, exec_lo, s3
	s_and_saveexec_b32 s3, s2
	s_cbranch_execz .LBB82_52
.LBB82_71:                              ;   in Loop: Header=BB82_3 Depth=1
	v_add_co_u32 v105, vcc_lo, v83, v34
	s_wait_alu 0xfffd
	v_add_co_ci_u32_e64 v106, null, v84, v35, vcc_lo
	v_add_co_u32 v109, vcc_lo, v85, v34
	s_wait_alu 0xfffd
	v_add_co_ci_u32_e64 v110, null, v86, v35, vcc_lo
	global_load_u16 v7, v[105:106], off
	global_load_u16 v23, v[109:110], off
	s_wait_loadcnt 0x1
	v_cvt_f32_f16_e32 v7, v7
	s_wait_loadcnt 0x0
	v_cvt_f32_f16_e32 v23, v23
	s_wait_alu 0xfffe
	s_or_b32 exec_lo, exec_lo, s3
	s_and_saveexec_b32 s3, s2
	s_cbranch_execz .LBB82_53
.LBB82_72:                              ;   in Loop: Header=BB82_3 Depth=1
	v_add_co_u32 v105, vcc_lo, v79, v34
	s_wait_alu 0xfffd
	v_add_co_ci_u32_e64 v106, null, v80, v35, vcc_lo
	v_add_co_u32 v109, vcc_lo, v81, v34
	s_wait_alu 0xfffd
	v_add_co_ci_u32_e64 v110, null, v82, v35, vcc_lo
	global_load_u16 v8, v[105:106], off
	global_load_u16 v24, v[109:110], off
	s_wait_loadcnt 0x1
	v_cvt_f32_f16_e32 v8, v8
	s_wait_loadcnt 0x0
	v_cvt_f32_f16_e32 v24, v24
	s_wait_alu 0xfffe
	s_or_b32 exec_lo, exec_lo, s3
	s_and_saveexec_b32 s3, s2
	s_cbranch_execz .LBB82_54
.LBB82_73:                              ;   in Loop: Header=BB82_3 Depth=1
	v_add_co_u32 v105, vcc_lo, v75, v34
	s_wait_alu 0xfffd
	v_add_co_ci_u32_e64 v106, null, v76, v35, vcc_lo
	v_add_co_u32 v109, vcc_lo, v77, v34
	s_wait_alu 0xfffd
	v_add_co_ci_u32_e64 v110, null, v78, v35, vcc_lo
	global_load_u16 v9, v[105:106], off
	global_load_u16 v25, v[109:110], off
	s_wait_loadcnt 0x1
	v_cvt_f32_f16_e32 v9, v9
	s_wait_loadcnt 0x0
	v_cvt_f32_f16_e32 v25, v25
	s_wait_alu 0xfffe
	s_or_b32 exec_lo, exec_lo, s3
	s_and_saveexec_b32 s3, s2
	s_cbranch_execz .LBB82_55
.LBB82_74:                              ;   in Loop: Header=BB82_3 Depth=1
	v_add_co_u32 v105, vcc_lo, v71, v34
	s_wait_alu 0xfffd
	v_add_co_ci_u32_e64 v106, null, v72, v35, vcc_lo
	v_add_co_u32 v109, vcc_lo, v73, v34
	s_wait_alu 0xfffd
	v_add_co_ci_u32_e64 v110, null, v74, v35, vcc_lo
	global_load_u16 v10, v[105:106], off
	global_load_u16 v26, v[109:110], off
	s_wait_loadcnt 0x1
	v_cvt_f32_f16_e32 v10, v10
	s_wait_loadcnt 0x0
	v_cvt_f32_f16_e32 v26, v26
	s_wait_alu 0xfffe
	s_or_b32 exec_lo, exec_lo, s3
	s_and_saveexec_b32 s3, s2
	s_cbranch_execz .LBB82_56
.LBB82_75:                              ;   in Loop: Header=BB82_3 Depth=1
	v_add_co_u32 v105, vcc_lo, v67, v34
	s_wait_alu 0xfffd
	v_add_co_ci_u32_e64 v106, null, v68, v35, vcc_lo
	v_add_co_u32 v109, vcc_lo, v69, v34
	s_wait_alu 0xfffd
	v_add_co_ci_u32_e64 v110, null, v70, v35, vcc_lo
	global_load_u16 v11, v[105:106], off
	global_load_u16 v27, v[109:110], off
	s_wait_loadcnt 0x1
	v_cvt_f32_f16_e32 v11, v11
	s_wait_loadcnt 0x0
	v_cvt_f32_f16_e32 v27, v27
	s_wait_alu 0xfffe
	s_or_b32 exec_lo, exec_lo, s3
	s_and_saveexec_b32 s3, s2
	s_cbranch_execz .LBB82_57
.LBB82_76:                              ;   in Loop: Header=BB82_3 Depth=1
	v_add_co_u32 v105, vcc_lo, v63, v34
	s_wait_alu 0xfffd
	v_add_co_ci_u32_e64 v106, null, v64, v35, vcc_lo
	v_add_co_u32 v109, vcc_lo, v65, v34
	s_wait_alu 0xfffd
	v_add_co_ci_u32_e64 v110, null, v66, v35, vcc_lo
	global_load_u16 v12, v[105:106], off
	global_load_u16 v28, v[109:110], off
	s_wait_loadcnt 0x1
	v_cvt_f32_f16_e32 v12, v12
	s_wait_loadcnt 0x0
	v_cvt_f32_f16_e32 v28, v28
	s_wait_alu 0xfffe
	s_or_b32 exec_lo, exec_lo, s3
	s_and_saveexec_b32 s3, s2
	s_cbranch_execz .LBB82_58
.LBB82_77:                              ;   in Loop: Header=BB82_3 Depth=1
	v_add_co_u32 v105, vcc_lo, v59, v34
	s_wait_alu 0xfffd
	v_add_co_ci_u32_e64 v106, null, v60, v35, vcc_lo
	v_add_co_u32 v109, vcc_lo, v61, v34
	s_wait_alu 0xfffd
	v_add_co_ci_u32_e64 v110, null, v62, v35, vcc_lo
	global_load_u16 v13, v[105:106], off
	global_load_u16 v29, v[109:110], off
	s_wait_loadcnt 0x1
	v_cvt_f32_f16_e32 v13, v13
	s_wait_loadcnt 0x0
	v_cvt_f32_f16_e32 v29, v29
	s_wait_alu 0xfffe
	s_or_b32 exec_lo, exec_lo, s3
	s_and_saveexec_b32 s3, s2
	s_cbranch_execz .LBB82_59
.LBB82_78:                              ;   in Loop: Header=BB82_3 Depth=1
	v_add_co_u32 v105, vcc_lo, v55, v34
	s_wait_alu 0xfffd
	v_add_co_ci_u32_e64 v106, null, v56, v35, vcc_lo
	v_add_co_u32 v109, vcc_lo, v57, v34
	s_wait_alu 0xfffd
	v_add_co_ci_u32_e64 v110, null, v58, v35, vcc_lo
	global_load_u16 v14, v[105:106], off
	global_load_u16 v30, v[109:110], off
	s_wait_loadcnt 0x1
	v_cvt_f32_f16_e32 v14, v14
	s_wait_loadcnt 0x0
	v_cvt_f32_f16_e32 v30, v30
	s_wait_alu 0xfffe
	s_or_b32 exec_lo, exec_lo, s3
	s_and_saveexec_b32 s3, s2
	s_cbranch_execz .LBB82_60
.LBB82_79:                              ;   in Loop: Header=BB82_3 Depth=1
	v_add_co_u32 v105, vcc_lo, v51, v34
	s_wait_alu 0xfffd
	v_add_co_ci_u32_e64 v106, null, v52, v35, vcc_lo
	v_add_co_u32 v109, vcc_lo, v53, v34
	s_wait_alu 0xfffd
	v_add_co_ci_u32_e64 v110, null, v54, v35, vcc_lo
	global_load_u16 v15, v[105:106], off
	global_load_u16 v31, v[109:110], off
	s_wait_loadcnt 0x1
	v_cvt_f32_f16_e32 v15, v15
	s_wait_loadcnt 0x0
	v_cvt_f32_f16_e32 v31, v31
	s_wait_alu 0xfffe
	s_or_b32 exec_lo, exec_lo, s3
	s_and_saveexec_b32 s3, s2
	s_cbranch_execz .LBB82_61
.LBB82_80:                              ;   in Loop: Header=BB82_3 Depth=1
	v_add_co_u32 v105, vcc_lo, v47, v34
	s_wait_alu 0xfffd
	v_add_co_ci_u32_e64 v106, null, v48, v35, vcc_lo
	v_add_co_u32 v109, vcc_lo, v49, v34
	s_wait_alu 0xfffd
	v_add_co_ci_u32_e64 v110, null, v50, v35, vcc_lo
	global_load_u16 v16, v[105:106], off
	global_load_u16 v32, v[109:110], off
	s_wait_loadcnt 0x1
	v_cvt_f32_f16_e32 v16, v16
	s_wait_loadcnt 0x0
	v_cvt_f32_f16_e32 v32, v32
	s_wait_alu 0xfffe
	s_or_b32 exec_lo, exec_lo, s3
	s_and_saveexec_b32 s3, s2
	s_cbranch_execnz .LBB82_62
	s_branch .LBB82_63
.LBB82_81:
                                        ; implicit-def: $vgpr2
                                        ; implicit-def: $vgpr100
	s_branch .LBB82_83
.LBB82_82:
	s_cbranch_execnz .LBB82_131
.LBB82_83:
	v_mov_b32_e32 v2, 0
	v_mov_b32_e32 v100, 0
	s_and_not1_b32 vcc_lo, exec_lo, s31
	s_wait_alu 0xfffe
	s_cbranch_vccnz .LBB82_131
; %bb.84:
	v_bfe_u32 v96, v0, 10, 10
	s_lshl_b64 s[2:3], s[16:17], 1
	v_and_b32_e32 v159, 0x3ff, v0
	v_mov_b32_e32 v165, 0
	s_add_nc_u64 s[20:21], s[16:17], 0xff
	v_dual_mov_b32 v164, 0 :: v_dual_lshlrev_b32 v97, 4, v96
	v_lshlrev_b32_e32 v1, 5, v96
	s_delay_alu instid0(VALU_DEP_2)
	v_add_co_u32 v3, s18, v97, s16
	s_wait_alu 0xf1ff
	v_add_co_ci_u32_e64 v4, null, 0, 0, s18
	s_wait_alu 0xfffe
	v_add_co_u32 v5, s2, v1, s2
	v_mul_lo_u32 v7, s7, v3
	s_delay_alu instid0(VALU_DEP_3)
	v_mul_lo_u32 v8, s6, v4
	v_mad_co_u64_u32 v[1:2], null, s6, v3, 0
	s_wait_alu 0xf1ff
	v_add_co_ci_u32_e64 v6, null, 0, s3, s2
	v_add_co_u32 v9, vcc_lo, v5, 2
	s_load_b32 s2, s[0:1], 0x44
	v_add_co_ci_u32_e64 v10, null, 0, v6, vcc_lo
	v_add_co_u32 v11, vcc_lo, v5, 4
	s_wait_alu 0xfffd
	v_add_co_ci_u32_e64 v12, null, 0, v6, vcc_lo
	v_add3_u32 v2, v2, v8, v7
	v_add_co_u32 v7, vcc_lo, v5, 6
	s_wait_alu 0xfffd
	v_add_co_ci_u32_e64 v8, null, 0, v6, vcc_lo
	v_add_co_u32 v15, vcc_lo, v5, 8
	s_wait_alu 0xfffd
	v_add_co_ci_u32_e64 v16, null, 0, v6, vcc_lo
	v_add_co_u32 v18, vcc_lo, v5, 10
	s_wait_alu 0xfffd
	v_add_co_ci_u32_e64 v20, null, 0, v6, vcc_lo
	v_add_co_u32 v21, vcc_lo, v5, 12
	s_wait_alu 0xfffd
	v_add_co_ci_u32_e64 v22, null, 0, v6, vcc_lo
	v_add_co_u32 v24, vcc_lo, v5, 14
	s_wait_alu 0xfffd
	v_add_co_ci_u32_e64 v26, null, 0, v6, vcc_lo
	v_add_co_u32 v27, vcc_lo, v5, 16
	s_wait_alu 0xfffd
	v_add_co_ci_u32_e64 v28, null, 0, v6, vcc_lo
	v_add_co_u32 v31, vcc_lo, v5, 18
	s_wait_alu 0xfffd
	v_add_co_ci_u32_e64 v32, null, 0, v6, vcc_lo
	v_add_co_u32 v33, vcc_lo, v5, 20
	s_wait_alu 0xfffd
	v_add_co_ci_u32_e64 v54, null, 0, v6, vcc_lo
	v_add_co_u32 v84, vcc_lo, v5, 22
	s_wait_alu 0xfffd
	v_add_co_ci_u32_e64 v56, null, 0, v6, vcc_lo
	v_add_co_u32 v86, vcc_lo, v5, 24
	s_wait_alu 0xfffd
	v_add_co_ci_u32_e64 v58, null, 0, v6, vcc_lo
	v_add_co_u32 v88, vcc_lo, v5, 26
	s_wait_alu 0xfffd
	v_add_co_ci_u32_e64 v60, null, 0, v6, vcc_lo
	v_add_co_u32 v100, vcc_lo, v5, 28
	s_wait_alu 0xfffd
	v_add_co_ci_u32_e64 v62, null, 0, v6, vcc_lo
	v_add_co_u32 v5, vcc_lo, v5, 30
	v_mad_co_u64_u32 v[52:53], null, s6, v33, s[8:9]
	v_mul_lo_u32 v91, s6, v54
	v_mul_lo_u32 v92, s7, v33
	v_mad_co_u64_u32 v[54:55], null, s6, v84, s[8:9]
	v_mul_lo_u32 v93, s6, v56
	v_mul_lo_u32 v94, s7, v84
	v_mad_co_u64_u32 v[82:83], null, s6, v33, s[10:11]
	v_mad_co_u64_u32 v[84:85], null, s6, v84, s[10:11]
	s_wait_alu 0xfffd
	v_add_co_ci_u32_e64 v6, null, 0, v6, vcc_lo
	v_mad_co_u64_u32 v[38:39], null, s6, v7, s[8:9]
	v_mul_lo_u32 v8, s6, v8
	v_mul_lo_u32 v17, s7, v7
	v_mad_co_u64_u32 v[68:69], null, s6, v7, s[10:11]
	v_mul_lo_u32 v104, s6, v6
	v_add_co_u32 v6, vcc_lo, v3, 15
	v_mad_co_u64_u32 v[36:37], null, s6, v11, s[8:9]
	v_mul_lo_u32 v12, s6, v12
	v_mul_lo_u32 v14, s7, v11
	v_mad_co_u64_u32 v[66:67], null, s6, v11, s[10:11]
	v_add3_u32 v53, v92, v53, v91
	v_add3_u32 v55, v94, v55, v93
	v_mul_lo_u32 v102, s6, v62
	v_mad_co_u64_u32 v[62:63], null, s6, v5, s[8:9]
	v_mul_lo_u32 v105, s7, v5
	v_add3_u32 v83, v92, v83, v91
	v_add3_u32 v85, v94, v85, v93
	v_mad_co_u64_u32 v[92:93], null, s6, v5, s[10:11]
	s_wait_alu 0xfffd
	v_add_co_ci_u32_e64 v5, null, 0, v4, vcc_lo
	v_add_co_u32 v7, vcc_lo, v3, 14
	v_mad_co_u64_u32 v[34:35], null, s6, v9, s[8:9]
	v_mul_lo_u32 v10, s6, v10
	v_mul_lo_u32 v13, s7, v9
	v_mad_co_u64_u32 v[64:65], null, s6, v9, s[10:11]
	v_add3_u32 v39, v17, v39, v8
	v_add3_u32 v69, v17, v69, v8
	s_wait_alu 0xfffd
	v_add_co_ci_u32_e64 v8, null, 0, v4, vcc_lo
	v_add3_u32 v37, v14, v37, v12
	v_add3_u32 v67, v14, v67, v12
	v_mul_lo_u32 v11, s7, v7
	s_delay_alu instid0(VALU_DEP_4)
	v_mul_lo_u32 v12, s6, v8
	v_mad_co_u64_u32 v[7:8], null, s6, v7, 0
	v_add3_u32 v35, v13, v35, v10
	v_mad_co_u64_u32 v[40:41], null, s6, v15, s[8:9]
	v_mul_lo_u32 v16, s6, v16
	v_mul_lo_u32 v19, s7, v15
	v_mad_co_u64_u32 v[70:71], null, s6, v15, s[10:11]
	v_add3_u32 v65, v13, v65, v10
	v_mul_lo_u32 v9, s7, v6
	v_mul_lo_u32 v10, s6, v5
	v_mad_co_u64_u32 v[5:6], null, s6, v6, 0
	v_mad_co_u64_u32 v[42:43], null, s6, v18, s[8:9]
	v_mul_lo_u32 v20, s6, v20
	v_mul_lo_u32 v23, s7, v18
	v_mad_co_u64_u32 v[72:73], null, s6, v18, s[10:11]
	v_add_co_u32 v13, vcc_lo, v3, 13
	v_mad_co_u64_u32 v[44:45], null, s6, v21, s[8:9]
	v_mul_lo_u32 v22, s6, v22
	v_mul_lo_u32 v25, s7, v21
	v_mad_co_u64_u32 v[74:75], null, s6, v21, s[10:11]
	s_wait_alu 0xfffd
	v_add_co_ci_u32_e64 v14, null, 0, v4, vcc_lo
	v_add3_u32 v8, v8, v12, v11
	v_add_co_u32 v11, vcc_lo, v3, 12
	v_add3_u32 v41, v19, v41, v16
	v_add3_u32 v71, v19, v71, v16
	;; [unrolled: 1-line block ×3, first 2 shown]
	v_mul_lo_u32 v19, s7, v13
	v_mad_co_u64_u32 v[9:10], null, s6, v13, 0
	s_wait_alu 0xfffd
	v_add_co_ci_u32_e64 v12, null, 0, v4, vcc_lo
	v_add_co_u32 v13, vcc_lo, v3, 11
	v_mad_co_u64_u32 v[46:47], null, s6, v24, s[8:9]
	v_mul_lo_u32 v26, s6, v26
	v_mul_lo_u32 v29, s7, v24
	v_mad_co_u64_u32 v[76:77], null, s6, v24, s[10:11]
	v_add3_u32 v43, v23, v43, v20
	v_add3_u32 v73, v23, v73, v20
	v_mul_lo_u32 v20, s6, v14
	s_wait_alu 0xfffd
	v_add_co_ci_u32_e64 v14, null, 0, v4, vcc_lo
	v_add_co_u32 v15, vcc_lo, v3, 10
	s_wait_alu 0xfffd
	v_add_co_ci_u32_e64 v16, null, 0, v4, vcc_lo
	v_add3_u32 v45, v25, v45, v22
	v_add3_u32 v75, v25, v75, v22
	v_mul_lo_u32 v21, s7, v11
	v_mul_lo_u32 v22, s6, v12
	v_mad_co_u64_u32 v[11:12], null, s6, v11, 0
	v_mul_lo_u32 v23, s7, v13
	v_mul_lo_u32 v24, s6, v14
	v_mad_co_u64_u32 v[13:14], null, s6, v13, 0
	v_mad_co_u64_u32 v[50:51], null, s6, v31, s[8:9]
	v_mul_lo_u32 v32, s6, v32
	v_mul_lo_u32 v90, s7, v31
	v_mad_co_u64_u32 v[80:81], null, s6, v31, s[10:11]
	v_add3_u32 v47, v29, v47, v26
	v_add3_u32 v77, v29, v77, v26
	v_mul_lo_u32 v25, s7, v15
	v_add_co_u32 v17, vcc_lo, v3, 9
	v_mul_lo_u32 v26, s6, v16
	v_mad_co_u64_u32 v[15:16], null, s6, v15, 0
	s_wait_alu 0xfffd
	v_add_co_ci_u32_e64 v18, null, 0, v4, vcc_lo
	v_add3_u32 v10, v10, v20, v19
	v_add_co_u32 v19, vcc_lo, v3, 8
	v_mad_co_u64_u32 v[48:49], null, s6, v27, s[8:9]
	v_mul_lo_u32 v28, s6, v28
	v_mul_lo_u32 v30, s7, v27
	v_mad_co_u64_u32 v[78:79], null, s6, v27, s[10:11]
	v_add3_u32 v12, v12, v22, v21
	s_wait_alu 0xfffd
	v_add_co_ci_u32_e64 v20, null, 0, v4, vcc_lo
	v_add_co_u32 v21, vcc_lo, v3, 7
	v_mad_co_u64_u32 v[56:57], null, s6, v86, s[8:9]
	v_mul_lo_u32 v95, s6, v58
	v_mul_lo_u32 v98, s7, v86
	v_mad_co_u64_u32 v[86:87], null, s6, v86, s[10:11]
	v_add3_u32 v14, v14, v24, v23
	s_wait_alu 0xfffd
	v_add_co_ci_u32_e64 v22, null, 0, v4, vcc_lo
	v_add_co_u32 v23, vcc_lo, v3, 6
	v_add3_u32 v51, v90, v51, v32
	v_mad_co_u64_u32 v[58:59], null, s6, v88, s[8:9]
	v_mul_lo_u32 v99, s6, v60
	v_mul_lo_u32 v101, s7, v88
	v_mad_co_u64_u32 v[60:61], null, s6, v100, s[8:9]
	v_mul_lo_u32 v103, s7, v100
	v_mad_co_u64_u32 v[88:89], null, s6, v88, s[10:11]
	v_add3_u32 v81, v90, v81, v32
	v_mad_co_u64_u32 v[90:91], null, s6, v100, s[10:11]
	v_mul_lo_u32 v31, s7, v17
	v_mul_lo_u32 v32, s6, v18
	v_mad_co_u64_u32 v[17:18], null, s6, v17, 0
	v_add3_u32 v16, v16, v26, v25
	s_wait_alu 0xfffd
	v_add_co_ci_u32_e64 v24, null, 0, v4, vcc_lo
	v_add_co_u32 v25, vcc_lo, v3, 5
	s_wait_alu 0xfffd
	v_add_co_ci_u32_e64 v26, null, 0, v4, vcc_lo
	v_add_co_u32 v27, vcc_lo, v3, 4
	v_add3_u32 v49, v30, v49, v28
	v_add3_u32 v79, v30, v79, v28
	s_wait_alu 0xfffd
	v_add_co_ci_u32_e64 v28, null, 0, v4, vcc_lo
	v_add_co_u32 v29, vcc_lo, v3, 3
	v_add3_u32 v57, v98, v57, v95
	v_add3_u32 v87, v98, v87, v95
	v_mul_lo_u32 v95, s7, v21
	v_mul_lo_u32 v98, s6, v22
	v_mad_co_u64_u32 v[21:22], null, s6, v21, 0
	v_add3_u32 v63, v105, v63, v104
	v_add3_u32 v93, v105, v93, v104
	s_wait_alu 0xfffd
	v_add_co_ci_u32_e64 v30, null, 0, v4, vcc_lo
	v_add_co_u32 v105, vcc_lo, v3, 2
	v_add3_u32 v59, v101, v59, v99
	v_add3_u32 v61, v103, v61, v102
	;; [unrolled: 1-line block ×4, first 2 shown]
	v_mul_lo_u32 v99, s7, v23
	v_mul_lo_u32 v100, s6, v24
	v_mad_co_u64_u32 v[23:24], null, s6, v23, 0
	v_mul_lo_u32 v101, s7, v25
	v_mul_lo_u32 v102, s6, v26
	v_mad_co_u64_u32 v[25:26], null, s6, v25, 0
	v_add3_u32 v18, v18, v32, v31
	v_lshlrev_b64_e32 v[31:32], 1, v[1:2]
	s_wait_alu 0xfffd
	v_add_co_ci_u32_e64 v106, null, 0, v4, vcc_lo
	v_mul_lo_u32 v103, s7, v27
	v_mul_lo_u32 v104, s6, v28
	v_mad_co_u64_u32 v[27:28], null, s6, v27, 0
	v_add_co_u32 v1, vcc_lo, v1, s6
	v_lshlrev_b64_e32 v[5:6], 1, v[5:6]
	v_mul_lo_u32 v107, s6, v30
	v_mul_lo_u32 v108, s7, v29
	v_mad_co_u64_u32 v[3:4], null, s6, v29, 0
	v_mul_lo_u32 v106, s6, v106
	v_mul_lo_u32 v109, s7, v105
	v_mad_co_u64_u32 v[29:30], null, s6, v105, 0
	v_add3_u32 v22, v22, v98, v95
	s_wait_alu 0xfffd
	v_add_co_ci_u32_e64 v2, null, s7, v2, vcc_lo
	v_add_co_u32 v98, vcc_lo, s8, v31
	v_add3_u32 v24, v24, v100, v99
	v_add3_u32 v26, v26, v102, v101
	s_wait_alu 0xfffd
	v_add_co_ci_u32_e64 v99, null, s9, v32, vcc_lo
	v_add_co_u32 v101, vcc_lo, s10, v31
	v_lshlrev_b64_e32 v[7:8], 1, v[7:8]
	v_add3_u32 v28, v28, v104, v103
	s_wait_alu 0xfffd
	v_add_co_ci_u32_e64 v102, null, s11, v32, vcc_lo
	v_add_co_u32 v103, vcc_lo, s8, v5
	s_wait_alu 0xfffd
	v_add_co_ci_u32_e64 v104, null, s9, v6, vcc_lo
	v_add_co_u32 v105, vcc_lo, s10, v5
	v_add3_u32 v4, v4, v107, v108
	v_add3_u32 v30, v30, v106, v109
	s_wait_alu 0xfffd
	v_add_co_ci_u32_e64 v106, null, s11, v6, vcc_lo
	v_add_co_u32 v107, vcc_lo, s8, v7
	v_lshlrev_b64_e32 v[5:6], 1, v[9:10]
	s_wait_alu 0xfffd
	v_add_co_ci_u32_e64 v108, null, s9, v8, vcc_lo
	v_add_co_u32 v109, vcc_lo, s10, v7
	s_wait_alu 0xfffd
	v_add_co_ci_u32_e64 v110, null, s11, v8, vcc_lo
	v_lshlrev_b64_e32 v[7:8], 1, v[11:12]
	v_add_co_u32 v111, vcc_lo, s8, v5
	s_wait_alu 0xfffd
	v_add_co_ci_u32_e64 v112, null, s9, v6, vcc_lo
	v_add_co_u32 v113, vcc_lo, s10, v5
	s_wait_alu 0xfffd
	v_add_co_ci_u32_e64 v114, null, s11, v6, vcc_lo
	v_add_co_u32 v115, vcc_lo, s8, v7
	v_lshlrev_b64_e32 v[5:6], 1, v[13:14]
	v_mul_lo_u32 v33, s7, v19
	v_mul_lo_u32 v94, s6, v20
	v_mad_co_u64_u32 v[19:20], null, s6, v19, 0
	s_wait_alu 0xfffd
	v_add_co_ci_u32_e64 v116, null, s9, v8, vcc_lo
	v_add_co_u32 v117, vcc_lo, s10, v7
	s_wait_alu 0xfffd
	v_add_co_ci_u32_e64 v118, null, s11, v8, vcc_lo
	v_lshlrev_b64_e32 v[7:8], 1, v[15:16]
	v_add_co_u32 v119, vcc_lo, s8, v5
	s_wait_alu 0xfffd
	v_add_co_ci_u32_e64 v120, null, s9, v6, vcc_lo
	v_add_co_u32 v121, vcc_lo, s10, v5
	v_add3_u32 v20, v20, v94, v33
	s_wait_alu 0xfffd
	v_add_co_ci_u32_e64 v122, null, s11, v6, vcc_lo
	v_add_co_u32 v123, vcc_lo, s8, v7
	v_lshlrev_b64_e32 v[5:6], 1, v[17:18]
	s_wait_alu 0xfffd
	v_add_co_ci_u32_e64 v124, null, s9, v8, vcc_lo
	v_add_co_u32 v125, vcc_lo, s10, v7
	s_wait_alu 0xfffd
	v_add_co_ci_u32_e64 v126, null, s11, v8, vcc_lo
	v_lshlrev_b64_e32 v[7:8], 1, v[19:20]
	v_add_co_u32 v127, vcc_lo, s8, v5
	s_wait_alu 0xfffd
	v_add_co_ci_u32_e64 v128, null, s9, v6, vcc_lo
	v_add_co_u32 v129, vcc_lo, s10, v5
	s_wait_alu 0xfffd
	v_add_co_ci_u32_e64 v130, null, s11, v6, vcc_lo
	v_add_co_u32 v131, vcc_lo, s8, v7
	v_lshlrev_b64_e32 v[5:6], 1, v[21:22]
	s_wait_alu 0xfffd
	v_add_co_ci_u32_e64 v132, null, s9, v8, vcc_lo
	v_add_co_u32 v133, vcc_lo, s10, v7
	s_wait_alu 0xfffd
	v_add_co_ci_u32_e64 v134, null, s11, v8, vcc_lo
	v_lshlrev_b64_e32 v[7:8], 1, v[23:24]
	v_add_co_u32 v135, vcc_lo, s8, v5
	s_wait_alu 0xfffd
	v_add_co_ci_u32_e64 v136, null, s9, v6, vcc_lo
	v_add_co_u32 v137, vcc_lo, s10, v5
	;; [unrolled: 14-line block ×3, first 2 shown]
	v_lshlrev_b64_e32 v[3:4], 1, v[3:4]
	s_wait_alu 0xfffd
	v_add_co_ci_u32_e64 v146, null, s11, v6, vcc_lo
	v_add_co_u32 v147, vcc_lo, s8, v7
	s_wait_alu 0xfffd
	v_add_co_ci_u32_e64 v148, null, s9, v8, vcc_lo
	v_add_co_u32 v149, vcc_lo, s10, v7
	v_lshlrev_b64_e32 v[5:6], 1, v[29:30]
	s_wait_alu 0xfffd
	v_add_co_ci_u32_e64 v150, null, s11, v8, vcc_lo
	v_add_co_u32 v151, vcc_lo, s8, v3
	s_wait_alu 0xfffd
	v_add_co_ci_u32_e64 v152, null, s9, v4, vcc_lo
	v_add_co_u32 v153, vcc_lo, s10, v3
	v_lshlrev_b64_e32 v[2:3], 1, v[1:2]
	v_mov_b32_e32 v1, 0
	s_wait_alu 0xfffd
	v_add_co_ci_u32_e64 v154, null, s11, v4, vcc_lo
	v_add_co_u32 v155, vcc_lo, s8, v5
	s_wait_alu 0xfffd
	v_add_co_ci_u32_e64 v156, null, s9, v6, vcc_lo
	v_add_co_u32 v157, vcc_lo, s10, v5
	v_dual_mov_b32 v5, v1 :: v_dual_add_nc_u32 v4, s30, v159
	s_wait_alu 0xfffd
	v_add_co_ci_u32_e64 v158, null, s11, v6, vcc_lo
	v_add_co_u32 v160, vcc_lo, s8, v2
	s_mov_b32 s3, 0
	s_wait_alu 0xfffd
	v_add_co_ci_u32_e64 v161, null, s9, v3, vcc_lo
	v_add_co_u32 v162, vcc_lo, s10, v2
	s_wait_kmcnt 0x0
	s_lshl_b32 s8, s2, 8
	s_wait_alu 0xfffe
	s_mov_b32 s9, s3
	v_lshlrev_b64_e32 v[94:95], 1, v[4:5]
	s_wait_alu 0xfffd
	v_add_co_ci_u32_e64 v163, null, s11, v3, vcc_lo
	s_wait_alu 0xfffe
	s_mul_u64 s[18:19], s[6:7], s[8:9]
	s_add_nc_u64 s[10:11], s[0:1], 64
	s_wait_alu 0xfffe
	s_lshl_b64 s[18:19], s[18:19], 1
.LBB82_85:                              ; =>This Inner Loop Header: Depth=1
	v_cmp_ge_i64_e64 s2, s[20:21], s[4:5]
	v_add_co_u32 v166, s22, v97, s20
	s_wait_alu 0xf1ff
	v_add_co_ci_u32_e64 v167, null, 0, s21, s22
                                        ; implicit-def: $vgpr100
                                        ; implicit-def: $vgpr2
	s_and_b32 vcc_lo, exec_lo, s2
	s_mov_b32 s2, -1
	s_wait_alu 0xfffe
	s_cbranch_vccz .LBB82_123
; %bb.86:                               ;   in Loop: Header=BB82_85 Depth=1
	s_load_b32 s2, s[10:11], 0xc
	v_mov_b32_e32 v100, 0
	v_mov_b32_e32 v168, 0
	s_wait_kmcnt 0x0
	s_and_b32 s2, s2, 0xffff
	s_wait_alu 0xfffe
	v_mad_u32_u24 v2, v96, s2, v159
	s_mov_b32 s2, exec_lo
	s_delay_alu instid0(VALU_DEP_1) | instskip(NEXT) | instid1(VALU_DEP_1)
	v_and_b32_e32 v2, 31, v2
	v_cmpx_gt_u32_e32 16, v2
	s_cbranch_execz .LBB82_90
; %bb.87:                               ;   in Loop: Header=BB82_85 Depth=1
	v_add_co_u32 v2, vcc_lo, v166, v2
	s_wait_alu 0xfffd
	v_add_co_ci_u32_e64 v3, null, 0, v167, vcc_lo
	v_mov_b32_e32 v168, 0
	s_delay_alu instid0(VALU_DEP_3) | instskip(SKIP_1) | instid1(VALU_DEP_3)
	v_add_co_u32 v2, vcc_lo, 0xffffff01, v2
	s_wait_alu 0xfffd
	v_add_co_ci_u32_e64 v3, null, -1, v3, vcc_lo
	v_mov_b32_e32 v100, 0
	s_mov_b32 s22, exec_lo
	s_delay_alu instid0(VALU_DEP_2)
	v_cmpx_gt_i64_e64 s[4:5], v[2:3]
	s_cbranch_execz .LBB82_89
; %bb.88:                               ;   in Loop: Header=BB82_85 Depth=1
	v_lshlrev_b64_e32 v[2:3], 2, v[2:3]
	s_delay_alu instid0(VALU_DEP_1) | instskip(SKIP_1) | instid1(VALU_DEP_2)
	v_add_co_u32 v4, vcc_lo, s12, v2
	s_wait_alu 0xfffd
	v_add_co_ci_u32_e64 v5, null, s13, v3, vcc_lo
	v_add_co_u32 v2, vcc_lo, s14, v2
	s_wait_alu 0xfffd
	v_add_co_ci_u32_e64 v3, null, s15, v3, vcc_lo
	global_load_b32 v168, v[4:5], off
	global_load_b32 v100, v[2:3], off
.LBB82_89:                              ;   in Loop: Header=BB82_85 Depth=1
	s_wait_alu 0xfffe
	s_or_b32 exec_lo, exec_lo, s22
.LBB82_90:                              ;   in Loop: Header=BB82_85 Depth=1
	s_wait_alu 0xfffe
	s_or_b32 exec_lo, exec_lo, s2
	v_add_co_u32 v17, vcc_lo, 0xffffff01, v166
	s_wait_alu 0xfffd
	v_add_co_ci_u32_e64 v18, null, -1, v167, vcc_lo
	v_mov_b32_e32 v16, v1
	v_dual_mov_b32 v2, v1 :: v_dual_mov_b32 v3, v1
	v_dual_mov_b32 v4, v1 :: v_dual_mov_b32 v5, v1
	;; [unrolled: 1-line block ×7, first 2 shown]
	v_cmp_gt_i64_e32 vcc_lo, s[4:5], v[17:18]
	s_delay_alu instid0(VALU_DEP_3) | instskip(NEXT) | instid1(VALU_DEP_3)
	v_dual_mov_b32 v33, v16 :: v_dual_mov_b32 v30, v13
	v_dual_mov_b32 v31, v14 :: v_dual_mov_b32 v32, v15
	;; [unrolled: 1-line block ×8, first 2 shown]
	v_mov_b32_e32 v17, v16
	v_mov_b32_e32 v16, v15
	;; [unrolled: 1-line block ×16, first 2 shown]
	s_and_saveexec_b32 s2, vcc_lo
	s_cbranch_execz .LBB82_92
; %bb.91:                               ;   in Loop: Header=BB82_85 Depth=1
	v_add_co_u32 v2, vcc_lo, v98, v94
	s_wait_alu 0xfffd
	v_add_co_ci_u32_e64 v3, null, v99, v95, vcc_lo
	v_add_co_u32 v4, vcc_lo, v101, v94
	s_wait_alu 0xfffd
	v_add_co_ci_u32_e64 v5, null, v102, v95, vcc_lo
	global_load_u16 v2, v[2:3], off
	global_load_u16 v18, v[4:5], off
	v_dual_mov_b32 v3, v1 :: v_dual_mov_b32 v4, v1
	v_dual_mov_b32 v5, v1 :: v_dual_mov_b32 v6, v1
	;; [unrolled: 1-line block ×14, first 2 shown]
	v_mov_b32_e32 v31, v1
	v_mov_b32_e32 v33, v1
	s_wait_loadcnt 0x1
	v_cvt_f32_f16_e32 v2, v2
	s_wait_loadcnt 0x0
	v_cvt_f32_f16_e32 v18, v18
.LBB82_92:                              ;   in Loop: Header=BB82_85 Depth=1
	s_wait_alu 0xfffe
	s_or_b32 exec_lo, exec_lo, s2
	v_add_co_u32 v169, vcc_lo, 0xffffff02, v166
	s_wait_alu 0xfffd
	v_add_co_ci_u32_e64 v170, null, -1, v167, vcc_lo
	s_mov_b32 s2, exec_lo
	v_cmpx_gt_i64_e64 s[4:5], v[169:170]
	s_cbranch_execz .LBB82_94
; %bb.93:                               ;   in Loop: Header=BB82_85 Depth=1
	v_add_co_u32 v169, vcc_lo, v160, v94
	s_wait_alu 0xfffd
	v_add_co_ci_u32_e64 v170, null, v161, v95, vcc_lo
	v_add_co_u32 v171, vcc_lo, v162, v94
	s_wait_alu 0xfffd
	v_add_co_ci_u32_e64 v172, null, v163, v95, vcc_lo
	global_load_u16 v3, v[169:170], off
	global_load_u16 v19, v[171:172], off
	s_wait_loadcnt 0x1
	v_cvt_f32_f16_e32 v3, v3
	s_wait_loadcnt 0x0
	v_cvt_f32_f16_e32 v19, v19
.LBB82_94:                              ;   in Loop: Header=BB82_85 Depth=1
	s_wait_alu 0xfffe
	s_or_b32 exec_lo, exec_lo, s2
	v_add_co_u32 v169, vcc_lo, 0xffffff03, v166
	s_wait_alu 0xfffd
	v_add_co_ci_u32_e64 v170, null, -1, v167, vcc_lo
	s_mov_b32 s2, exec_lo
	v_cmpx_gt_i64_e64 s[4:5], v[169:170]
	s_cbranch_execz .LBB82_96
; %bb.95:                               ;   in Loop: Header=BB82_85 Depth=1
	v_add_co_u32 v169, vcc_lo, v155, v94
	s_wait_alu 0xfffd
	v_add_co_ci_u32_e64 v170, null, v156, v95, vcc_lo
	v_add_co_u32 v171, vcc_lo, v157, v94
	s_wait_alu 0xfffd
	v_add_co_ci_u32_e64 v172, null, v158, v95, vcc_lo
	global_load_u16 v4, v[169:170], off
	global_load_u16 v20, v[171:172], off
	s_wait_loadcnt 0x1
	v_cvt_f32_f16_e32 v4, v4
	s_wait_loadcnt 0x0
	v_cvt_f32_f16_e32 v20, v20
.LBB82_96:                              ;   in Loop: Header=BB82_85 Depth=1
	s_wait_alu 0xfffe
	s_or_b32 exec_lo, exec_lo, s2
	v_add_co_u32 v169, vcc_lo, 0xffffff04, v166
	s_wait_alu 0xfffd
	v_add_co_ci_u32_e64 v170, null, -1, v167, vcc_lo
	s_mov_b32 s2, exec_lo
	v_cmpx_gt_i64_e64 s[4:5], v[169:170]
	s_cbranch_execz .LBB82_98
; %bb.97:                               ;   in Loop: Header=BB82_85 Depth=1
	v_add_co_u32 v169, vcc_lo, v151, v94
	s_wait_alu 0xfffd
	v_add_co_ci_u32_e64 v170, null, v152, v95, vcc_lo
	v_add_co_u32 v171, vcc_lo, v153, v94
	s_wait_alu 0xfffd
	v_add_co_ci_u32_e64 v172, null, v154, v95, vcc_lo
	global_load_u16 v5, v[169:170], off
	global_load_u16 v21, v[171:172], off
	s_wait_loadcnt 0x1
	v_cvt_f32_f16_e32 v5, v5
	s_wait_loadcnt 0x0
	v_cvt_f32_f16_e32 v21, v21
.LBB82_98:                              ;   in Loop: Header=BB82_85 Depth=1
	s_wait_alu 0xfffe
	s_or_b32 exec_lo, exec_lo, s2
	v_add_co_u32 v169, vcc_lo, 0xffffff05, v166
	s_wait_alu 0xfffd
	v_add_co_ci_u32_e64 v170, null, -1, v167, vcc_lo
	s_mov_b32 s2, exec_lo
	v_cmpx_gt_i64_e64 s[4:5], v[169:170]
	s_cbranch_execz .LBB82_100
; %bb.99:                               ;   in Loop: Header=BB82_85 Depth=1
	v_add_co_u32 v169, vcc_lo, v147, v94
	s_wait_alu 0xfffd
	v_add_co_ci_u32_e64 v170, null, v148, v95, vcc_lo
	v_add_co_u32 v171, vcc_lo, v149, v94
	s_wait_alu 0xfffd
	v_add_co_ci_u32_e64 v172, null, v150, v95, vcc_lo
	global_load_u16 v6, v[169:170], off
	global_load_u16 v22, v[171:172], off
	s_wait_loadcnt 0x1
	v_cvt_f32_f16_e32 v6, v6
	s_wait_loadcnt 0x0
	v_cvt_f32_f16_e32 v22, v22
.LBB82_100:                             ;   in Loop: Header=BB82_85 Depth=1
	s_wait_alu 0xfffe
	s_or_b32 exec_lo, exec_lo, s2
	v_add_co_u32 v169, vcc_lo, 0xffffff06, v166
	s_wait_alu 0xfffd
	v_add_co_ci_u32_e64 v170, null, -1, v167, vcc_lo
	s_mov_b32 s2, exec_lo
	v_cmpx_gt_i64_e64 s[4:5], v[169:170]
	s_cbranch_execz .LBB82_102
; %bb.101:                              ;   in Loop: Header=BB82_85 Depth=1
	v_add_co_u32 v169, vcc_lo, v143, v94
	s_wait_alu 0xfffd
	v_add_co_ci_u32_e64 v170, null, v144, v95, vcc_lo
	v_add_co_u32 v171, vcc_lo, v145, v94
	s_wait_alu 0xfffd
	v_add_co_ci_u32_e64 v172, null, v146, v95, vcc_lo
	global_load_u16 v7, v[169:170], off
	global_load_u16 v23, v[171:172], off
	s_wait_loadcnt 0x1
	v_cvt_f32_f16_e32 v7, v7
	s_wait_loadcnt 0x0
	v_cvt_f32_f16_e32 v23, v23
.LBB82_102:                             ;   in Loop: Header=BB82_85 Depth=1
	s_wait_alu 0xfffe
	s_or_b32 exec_lo, exec_lo, s2
	v_add_co_u32 v169, vcc_lo, 0xffffff07, v166
	s_wait_alu 0xfffd
	v_add_co_ci_u32_e64 v170, null, -1, v167, vcc_lo
	s_mov_b32 s2, exec_lo
	v_cmpx_gt_i64_e64 s[4:5], v[169:170]
	s_cbranch_execz .LBB82_104
; %bb.103:                              ;   in Loop: Header=BB82_85 Depth=1
	v_add_co_u32 v169, vcc_lo, v139, v94
	s_wait_alu 0xfffd
	v_add_co_ci_u32_e64 v170, null, v140, v95, vcc_lo
	v_add_co_u32 v171, vcc_lo, v141, v94
	s_wait_alu 0xfffd
	v_add_co_ci_u32_e64 v172, null, v142, v95, vcc_lo
	global_load_u16 v8, v[169:170], off
	global_load_u16 v24, v[171:172], off
	s_wait_loadcnt 0x1
	v_cvt_f32_f16_e32 v8, v8
	s_wait_loadcnt 0x0
	v_cvt_f32_f16_e32 v24, v24
.LBB82_104:                             ;   in Loop: Header=BB82_85 Depth=1
	;; [unrolled: 22-line block ×11, first 2 shown]
	s_wait_alu 0xfffe
	s_or_b32 exec_lo, exec_lo, s2
	s_wait_loadcnt 0x1
	ds_bpermute_b32 v169, v1, v168
	ds_bpermute_b32 v170, v1, v168 offset:4
	s_wait_loadcnt 0x0
	ds_bpermute_b32 v171, v1, v100
	ds_bpermute_b32 v173, v1, v168 offset:8
	ds_bpermute_b32 v177, v1, v168 offset:12
	;; [unrolled: 1-line block ×14, first 2 shown]
	s_mov_b32 s2, 0
	s_wait_dscnt 0xf
	v_dual_sub_f32 v18, v18, v169 :: v_dual_sub_f32 v19, v19, v170
	v_add_f32_e32 v172, v165, v2
	s_wait_dscnt 0xd
	v_sub_f32_e32 v20, v20, v173
	ds_bpermute_b32 v170, v1, v168 offset:36
	s_wait_dscnt 0xd
	v_dual_mul_f32 v2, v2, v18 :: v_dual_sub_f32 v21, v21, v177
	v_mul_f32_e32 v19, v3, v19
	v_add_f32_e32 v3, v3, v172
	v_mul_f32_e32 v20, v4, v20
	s_delay_alu instid0(VALU_DEP_4)
	v_fma_f32 v2, v2, v171, v164
	v_mul_f32_e32 v21, v5, v21
	ds_bpermute_b32 v169, v1, v168 offset:28
	ds_bpermute_b32 v173, v1, v168 offset:40
	;; [unrolled: 1-line block ×3, first 2 shown]
	s_wait_dscnt 0xf
	v_dual_fmac_f32 v2, v19, v174 :: v_dual_add_f32 v3, v4, v3
	ds_bpermute_b32 v4, v1, v168 offset:44
	ds_bpermute_b32 v171, v1, v100 offset:40
	;; [unrolled: 1-line block ×3, first 2 shown]
	s_wait_dscnt 0x11
	v_fmac_f32_e32 v2, v20, v175
	s_wait_dscnt 0x10
	v_dual_sub_f32 v20, v23, v181 :: v_dual_add_f32 v3, v5, v3
	ds_bpermute_b32 v5, v1, v100 offset:48
	s_wait_dscnt 0xe
	v_dual_fmac_f32 v2, v21, v176 :: v_dual_sub_f32 v21, v24, v183
	v_sub_f32_e32 v22, v22, v179
	v_dual_mul_f32 v20, v7, v20 :: v_dual_add_f32 v3, v6, v3
	s_delay_alu instid0(VALU_DEP_2)
	v_dual_mul_f32 v21, v8, v21 :: v_dual_mul_f32 v22, v6, v22
	ds_bpermute_b32 v6, v1, v168 offset:48
	v_add_f32_e32 v3, v7, v3
	ds_bpermute_b32 v7, v1, v100 offset:52
	s_wait_dscnt 0xf
	v_dual_fmac_f32 v2, v22, v178 :: v_dual_add_f32 v3, v8, v3
	ds_bpermute_b32 v8, v1, v168 offset:52
	s_wait_dscnt 0xf
	v_dual_fmac_f32 v2, v20, v180 :: v_dual_add_f32 v3, v9, v3
	s_wait_dscnt 0x9
	s_delay_alu instid0(VALU_DEP_1) | instskip(NEXT) | instid1(VALU_DEP_1)
	v_dual_sub_f32 v22, v25, v169 :: v_dual_add_f32 v3, v10, v3
	v_mul_f32_e32 v22, v9, v22
	ds_bpermute_b32 v9, v1, v168 offset:56
	s_wait_dscnt 0x3
	v_dual_sub_f32 v6, v30, v6 :: v_dual_add_f32 v3, v11, v3
	v_fmac_f32_e32 v2, v21, v182
	v_sub_f32_e32 v21, v27, v170
	v_sub_f32_e32 v20, v26, v186
	s_delay_alu instid0(VALU_DEP_4) | instskip(SKIP_2) | instid1(VALU_DEP_3)
	v_dual_mul_f32 v6, v14, v6 :: v_dual_add_f32 v3, v12, v3
	s_wait_dscnt 0x1
	v_sub_f32_e32 v8, v31, v8
	v_dual_mul_f32 v21, v11, v21 :: v_dual_mul_f32 v20, v10, v20
	ds_bpermute_b32 v10, v1, v168 offset:60
	v_dual_fmac_f32 v2, v22, v184 :: v_dual_add_f32 v3, v13, v3
	v_sub_f32_e32 v22, v28, v173
	ds_bpermute_b32 v11, v1, v100 offset:56
	v_dual_mul_f32 v8, v15, v8 :: v_dual_add_f32 v3, v14, v3
	v_fmac_f32_e32 v2, v20, v185
	v_mul_f32_e32 v20, v12, v22
	ds_bpermute_b32 v12, v1, v100 offset:60
	v_dual_add_f32 v3, v15, v3 :: v_dual_sub_f32 v4, v29, v4
	s_delay_alu instid0(VALU_DEP_1) | instskip(NEXT) | instid1(VALU_DEP_2)
	v_dual_fmac_f32 v2, v21, v18 :: v_dual_add_f32 v3, v16, v3
	v_mul_f32_e32 v4, v13, v4
	s_delay_alu instid0(VALU_DEP_2) | instskip(NEXT) | instid1(VALU_DEP_3)
	v_fmac_f32_e32 v2, v20, v171
	v_add_f32_e32 v100, v17, v3
	s_delay_alu instid0(VALU_DEP_2) | instskip(SKIP_3) | instid1(VALU_DEP_2)
	v_fmac_f32_e32 v2, v4, v19
	s_wait_dscnt 0x3
	v_sub_f32_e32 v4, v32, v9
	s_wait_dscnt 0x2
	v_dual_fmac_f32 v2, v6, v5 :: v_dual_sub_f32 v5, v33, v10
	s_delay_alu instid0(VALU_DEP_2) | instskip(NEXT) | instid1(VALU_DEP_2)
	v_mul_f32_e32 v4, v16, v4
	v_dual_fmac_f32 v2, v8, v7 :: v_dual_mul_f32 v5, v17, v5
	s_wait_dscnt 0x1
	s_delay_alu instid0(VALU_DEP_1) | instskip(SKIP_1) | instid1(VALU_DEP_1)
	v_fmac_f32_e32 v2, v4, v11
	s_wait_dscnt 0x0
	v_fmac_f32_e32 v2, v5, v12
.LBB82_123:                             ;   in Loop: Header=BB82_85 Depth=1
	s_wait_alu 0xfffe
	s_and_b32 vcc_lo, exec_lo, s2
	s_wait_alu 0xfffe
	s_cbranch_vccz .LBB82_129
; %bb.124:                              ;   in Loop: Header=BB82_85 Depth=1
	s_load_b32 s2, s[10:11], 0x0
	v_dual_mov_b32 v4, 0 :: v_dual_mov_b32 v5, 0
	s_wait_kmcnt 0x0
	s_cmp_lt_u32 ttmp9, s2
	s_cselect_b32 s2, 12, 18
	s_wait_alu 0xfffe
	s_add_nc_u64 s[22:23], s[10:11], s[2:3]
	s_load_u16 s2, s[22:23], 0x0
	s_wait_kmcnt 0x0
	v_mad_u32_u24 v2, v96, s2, v159
	s_mov_b32 s2, exec_lo
	s_delay_alu instid0(VALU_DEP_1) | instskip(NEXT) | instid1(VALU_DEP_1)
	v_and_b32_e32 v2, 31, v2
	v_cmpx_gt_u32_e32 16, v2
	s_cbranch_execz .LBB82_128
; %bb.125:                              ;   in Loop: Header=BB82_85 Depth=1
	v_add_co_u32 v2, vcc_lo, v166, v2
	s_wait_alu 0xfffd
	v_add_co_ci_u32_e64 v3, null, 0, v167, vcc_lo
	v_dual_mov_b32 v5, 0 :: v_dual_mov_b32 v4, 0
	s_delay_alu instid0(VALU_DEP_3) | instskip(SKIP_1) | instid1(VALU_DEP_3)
	v_add_co_u32 v2, vcc_lo, 0xffffff01, v2
	s_wait_alu 0xfffd
	v_add_co_ci_u32_e64 v3, null, -1, v3, vcc_lo
	s_mov_b32 s22, exec_lo
	v_cmpx_gt_i64_e64 s[4:5], v[2:3]
	s_cbranch_execz .LBB82_127
; %bb.126:                              ;   in Loop: Header=BB82_85 Depth=1
	v_lshlrev_b64_e32 v[2:3], 2, v[2:3]
	s_delay_alu instid0(VALU_DEP_1) | instskip(SKIP_1) | instid1(VALU_DEP_2)
	v_add_co_u32 v4, vcc_lo, s12, v2
	s_wait_alu 0xfffd
	v_add_co_ci_u32_e64 v5, null, s13, v3, vcc_lo
	v_add_co_u32 v2, vcc_lo, s14, v2
	s_wait_alu 0xfffd
	v_add_co_ci_u32_e64 v3, null, s15, v3, vcc_lo
	global_load_b32 v5, v[4:5], off
	global_load_b32 v4, v[2:3], off
.LBB82_127:                             ;   in Loop: Header=BB82_85 Depth=1
	s_wait_alu 0xfffe
	s_or_b32 exec_lo, exec_lo, s22
.LBB82_128:                             ;   in Loop: Header=BB82_85 Depth=1
	s_wait_alu 0xfffe
	s_or_b32 exec_lo, exec_lo, s2
	v_add_co_u32 v2, vcc_lo, v101, v94
	s_wait_alu 0xfffd
	v_add_co_ci_u32_e64 v3, null, v102, v95, vcc_lo
	global_load_u16 v6, v[2:3], off
	v_add_co_u32 v2, vcc_lo, v98, v94
	s_wait_alu 0xfffd
	v_add_co_ci_u32_e64 v3, null, v99, v95, vcc_lo
	global_load_u16 v2, v[2:3], off
	s_wait_loadcnt 0x1
	v_cvt_f32_f16_e32 v3, v6
	ds_bpermute_b32 v6, v1, v5
	s_wait_dscnt 0x0
	v_sub_f32_e32 v3, v3, v6
	s_wait_loadcnt 0x0
	v_cvt_f32_f16_e32 v6, v2
	s_delay_alu instid0(VALU_DEP_1)
	v_mul_f32_e32 v2, v3, v6
	ds_bpermute_b32 v3, v1, v4
	s_wait_dscnt 0x0
	v_fmac_f32_e32 v164, v2, v3
	v_add_co_u32 v2, vcc_lo, v64, v94
	s_wait_alu 0xfffd
	v_add_co_ci_u32_e64 v3, null, v65, v95, vcc_lo
	global_load_u16 v7, v[2:3], off
	v_add_co_u32 v2, vcc_lo, v34, v94
	s_wait_alu 0xfffd
	v_add_co_ci_u32_e64 v3, null, v35, v95, vcc_lo
	global_load_u16 v2, v[2:3], off
	s_wait_loadcnt 0x1
	v_cvt_f32_f16_e32 v3, v7
	ds_bpermute_b32 v7, v1, v5 offset:4
	s_wait_dscnt 0x0
	v_sub_f32_e32 v3, v3, v7
	s_wait_loadcnt 0x0
	v_cvt_f32_f16_e32 v7, v2
	s_delay_alu instid0(VALU_DEP_1)
	v_mul_f32_e32 v2, v3, v7
	ds_bpermute_b32 v3, v1, v4 offset:4
	s_wait_dscnt 0x0
	v_fmac_f32_e32 v164, v2, v3
	v_add_co_u32 v2, vcc_lo, v66, v94
	s_wait_alu 0xfffd
	v_add_co_ci_u32_e64 v3, null, v67, v95, vcc_lo
	global_load_u16 v8, v[2:3], off
	v_add_co_u32 v2, vcc_lo, v36, v94
	s_wait_alu 0xfffd
	v_add_co_ci_u32_e64 v3, null, v37, v95, vcc_lo
	global_load_u16 v2, v[2:3], off
	s_wait_loadcnt 0x1
	v_cvt_f32_f16_e32 v3, v8
	ds_bpermute_b32 v8, v1, v5 offset:8
	s_wait_dscnt 0x0
	v_sub_f32_e32 v3, v3, v8
	s_wait_loadcnt 0x0
	v_cvt_f32_f16_e32 v8, v2
	s_delay_alu instid0(VALU_DEP_1)
	v_mul_f32_e32 v2, v3, v8
	ds_bpermute_b32 v3, v1, v4 offset:8
	;; [unrolled: 20-line block ×14, first 2 shown]
	ds_bpermute_b32 v4, v1, v4 offset:60
	s_wait_dscnt 0x1
	v_fmac_f32_e32 v164, v2, v3
	v_add_co_u32 v2, vcc_lo, v92, v94
	s_wait_alu 0xfffd
	v_add_co_ci_u32_e64 v3, null, v93, v95, vcc_lo
	global_load_u16 v21, v[2:3], off
	v_add_co_u32 v2, vcc_lo, v62, v94
	s_wait_alu 0xfffd
	v_add_co_ci_u32_e64 v3, null, v63, v95, vcc_lo
	global_load_u16 v2, v[2:3], off
	ds_bpermute_b32 v3, v1, v5 offset:60
	s_wait_loadcnt 0x1
	v_cvt_f32_f16_e32 v5, v21
	s_wait_dscnt 0x0
	s_delay_alu instid0(VALU_DEP_1) | instskip(SKIP_2) | instid1(VALU_DEP_1)
	v_sub_f32_e32 v3, v5, v3
	s_wait_loadcnt 0x0
	v_cvt_f32_f16_e32 v2, v2
	v_mul_f32_e32 v3, v3, v2
	s_delay_alu instid0(VALU_DEP_1) | instskip(NEXT) | instid1(VALU_DEP_1)
	v_dual_fmac_f32 v164, v3, v4 :: v_dual_add_f32 v3, v165, v6
	v_add_f32_e32 v3, v3, v7
	s_delay_alu instid0(VALU_DEP_1) | instskip(NEXT) | instid1(VALU_DEP_1)
	v_add_f32_e32 v3, v3, v8
	v_add_f32_e32 v3, v3, v9
	s_delay_alu instid0(VALU_DEP_1) | instskip(NEXT) | instid1(VALU_DEP_1)
	v_add_f32_e32 v3, v3, v10
	;; [unrolled: 3-line block ×7, first 2 shown]
	v_add_f32_e32 v100, v3, v2
	v_mov_b32_e32 v2, v164
.LBB82_129:                             ;   in Loop: Header=BB82_85 Depth=1
	v_add_co_u32 v98, vcc_lo, v98, s18
	s_wait_alu 0xfffd
	v_add_co_ci_u32_e64 v99, null, s19, v99, vcc_lo
	v_add_co_u32 v101, vcc_lo, v101, s18
	s_wait_alu 0xfffd
	v_add_co_ci_u32_e64 v102, null, s19, v102, vcc_lo
	;; [unrolled: 3-line block ×59, first 2 shown]
	v_add_co_u32 v157, vcc_lo, v157, s18
	s_add_nc_u64 s[16:17], s[16:17], s[8:9]
	s_wait_alu 0xfffd
	v_add_co_ci_u32_e64 v158, null, s19, v158, vcc_lo
	v_add_co_u32 v160, vcc_lo, v160, s18
	s_wait_alu 0xfffe
	v_cmp_ge_i64_e64 s2, s[16:17], s[4:5]
	s_wait_alu 0xfffd
	v_add_co_ci_u32_e64 v161, null, s19, v161, vcc_lo
	v_add_co_u32 v162, vcc_lo, v162, s18
	s_wait_alu 0xfffd
	v_add_co_ci_u32_e64 v163, null, s19, v163, vcc_lo
	s_and_b32 vcc_lo, exec_lo, s2
	s_add_nc_u64 s[20:21], s[20:21], s[8:9]
	s_wait_alu 0xfffe
	s_cbranch_vccnz .LBB82_131
; %bb.130:                              ;   in Loop: Header=BB82_85 Depth=1
	v_dual_mov_b32 v165, v100 :: v_dual_mov_b32 v164, v2
	s_branch .LBB82_85
.LBB82_131:
	v_and_b32_e32 v8, 0x3ff, v0
	v_bfe_u32 v0, v0, 10, 10
	s_mov_b32 s2, exec_lo
	s_delay_alu instid0(VALU_DEP_1) | instskip(NEXT) | instid1(VALU_DEP_1)
	v_mad_u32_u24 v1, 0x41, v0, v8
	v_lshl_add_u32 v4, v1, 2, 0
	v_sub_nc_u32_e32 v3, v1, v0
	ds_store_b32 v4, v2
	ds_store_b32 v4, v100 offset:4160
	s_wait_dscnt 0x0
	s_barrier_signal -1
	s_barrier_wait -1
	global_inv scope:SCOPE_SE
	v_cmpx_gt_u32_e32 0x800, v3
	s_cbranch_execz .LBB82_147
; %bb.132:
	s_load_b128 s[8:11], s[0:1], 0x30
	v_and_b32_e32 v0, 31, v8
	v_lshrrev_b32_e32 v2, 5, v3
                                        ; implicit-def: $vgpr1
	s_delay_alu instid0(VALU_DEP_2)
	v_cmp_gt_u32_e64 s0, 16, v0
	v_mul_u32_u24_e32 v4, 0x41, v0
                                        ; implicit-def: $vgpr0
	s_and_saveexec_b32 s1, s0
	s_cbranch_execz .LBB82_134
; %bb.133:
	s_delay_alu instid0(VALU_DEP_1) | instskip(NEXT) | instid1(VALU_DEP_1)
	v_add_nc_u32_e32 v0, v2, v4
	v_lshl_add_u32 v0, v0, 2, 0
	ds_load_b32 v1, v0
	ds_load_b32 v0, v0 offset:4160
.LBB82_134:
	s_or_b32 exec_lo, exec_lo, s1
	v_mbcnt_lo_u32_b32 v9, -1, 0
	s_mov_b32 s2, ttmp9
	s_mov_b32 s3, 0
	v_cmp_eq_u32_e64 s1, 0, v8
	s_wait_alu 0xfffe
	s_lshl_b64 s[2:3], s[2:3], 6
	v_xor_b32_e32 v5, 8, v9
	v_xor_b32_e32 v6, 4, v9
	;; [unrolled: 1-line block ×3, first 2 shown]
	s_wait_kmcnt 0x0
	s_cmp_lg_u64 s[8:9], 0
	s_cselect_b32 s5, -1, 0
	v_cmp_gt_i32_e32 vcc_lo, 32, v5
	s_cmp_lg_u64 s[10:11], 0
	s_cselect_b32 s4, -1, 0
	s_wait_alu 0xfffd
	v_cndmask_b32_e32 v5, v9, v5, vcc_lo
	v_cmp_gt_i32_e32 vcc_lo, 32, v6
	s_wait_alu 0xfffd
	v_cndmask_b32_e32 v6, v9, v6, vcc_lo
	s_delay_alu instid0(VALU_DEP_1)
	v_lshlrev_b32_e32 v6, 2, v6
	v_lshlrev_b32_e32 v5, 2, v5
	s_wait_dscnt 0x0
	ds_bpermute_b32 v10, v5, v0
	s_wait_dscnt 0x0
	v_add_f32_e32 v0, v0, v10
	ds_bpermute_b32 v7, v5, v1
	ds_bpermute_b32 v11, v6, v0
	s_wait_dscnt 0x1
	v_add_f32_e32 v1, v1, v7
	v_xor_b32_e32 v7, 2, v9
	s_wait_dscnt 0x0
	v_add_f32_e32 v0, v0, v11
	ds_bpermute_b32 v10, v6, v1
	v_cmp_gt_i32_e32 vcc_lo, 32, v7
	s_wait_alu 0xfffd
	v_cndmask_b32_e32 v7, v9, v7, vcc_lo
	v_cmp_gt_i32_e32 vcc_lo, 32, v12
	s_delay_alu instid0(VALU_DEP_2)
	v_lshlrev_b32_e32 v7, 2, v7
	s_wait_alu 0xfffd
	v_cndmask_b32_e32 v9, v9, v12, vcc_lo
	ds_bpermute_b32 v11, v7, v0
	s_wait_dscnt 0x1
	v_add_f32_e32 v1, v1, v10
	ds_bpermute_b32 v10, v7, v1
	v_lshlrev_b32_e32 v9, 2, v9
	s_wait_dscnt 0x1
	v_add_f32_e32 v11, v0, v11
	s_wait_alu 0xfffe
	v_or_b32_e32 v0, s2, v2
	s_wait_dscnt 0x0
	v_add_f32_e32 v10, v1, v10
	ds_bpermute_b32 v13, v9, v11
	v_mov_b32_e32 v1, s3
	ds_bpermute_b32 v12, v9, v10
	v_cmp_gt_i64_e32 vcc_lo, s[6:7], v[0:1]
	s_and_b32 s13, s1, vcc_lo
	s_wait_dscnt 0x0
	v_add_f32_e32 v8, v10, v12
	v_add_f32_e32 v10, v11, v13
	s_wait_alu 0xfffe
	s_and_saveexec_b32 s12, s13
	s_cbranch_execz .LBB82_139
; %bb.135:
	v_lshlrev_b64_e32 v[0:1], 1, v[0:1]
	s_and_not1_b32 vcc_lo, exec_lo, s5
	s_wait_alu 0xfffe
	s_cbranch_vccnz .LBB82_137
; %bb.136:
	s_delay_alu instid0(VALU_DEP_1)
	v_add_co_u32 v11, vcc_lo, s8, v0
	s_wait_alu 0xfffd
	v_add_co_ci_u32_e64 v12, null, s9, v1, vcc_lo
	v_cvt_f16_f32_e32 v13, v8
	global_store_b16 v[11:12], v13, off
.LBB82_137:
	s_and_not1_b32 vcc_lo, exec_lo, s4
	s_wait_alu 0xfffe
	s_cbranch_vccnz .LBB82_139
; %bb.138:
	v_add_co_u32 v0, vcc_lo, s10, v0
	s_wait_alu 0xfffd
	v_add_co_ci_u32_e64 v1, null, s11, v1, vcc_lo
	v_cvt_f16_f32_e32 v11, v10
	global_store_b16 v[0:1], v11, off
.LBB82_139:
	s_wait_alu 0xfffe
	s_or_b32 exec_lo, exec_lo, s12
	v_cmp_gt_u32_e32 vcc_lo, 0x400, v3
	s_and_b32 exec_lo, exec_lo, vcc_lo
	s_cbranch_execz .LBB82_147
; %bb.140:
	s_and_saveexec_b32 s12, s0
	s_cbranch_execz .LBB82_142
; %bb.141:
	v_add_nc_u32_e32 v0, v2, v4
	s_delay_alu instid0(VALU_DEP_1)
	v_lshl_add_u32 v0, v0, 2, 0
	ds_load_b32 v8, v0 offset:128
	ds_load_b32 v10, v0 offset:4288
.LBB82_142:
	s_wait_alu 0xfffe
	s_or_b32 exec_lo, exec_lo, s12
	s_wait_dscnt 0x1
	ds_bpermute_b32 v0, v5, v8
	s_wait_dscnt 0x1
	ds_bpermute_b32 v1, v5, v10
	s_wait_dscnt 0x1
	v_dual_add_f32 v0, v8, v0 :: v_dual_add_nc_u32 v5, 32, v2
	s_wait_dscnt 0x0
	v_add_f32_e32 v1, v10, v1
	ds_bpermute_b32 v3, v6, v0
	ds_bpermute_b32 v4, v6, v1
	v_mov_b32_e32 v6, s3
	v_or_b32_e32 v5, s2, v5
	s_delay_alu instid0(VALU_DEP_1)
	v_cmp_gt_i64_e32 vcc_lo, s[6:7], v[5:6]
	s_and_b32 s0, s1, vcc_lo
	s_wait_dscnt 0x0
	v_dual_add_f32 v0, v0, v3 :: v_dual_add_f32 v1, v1, v4
	ds_bpermute_b32 v3, v7, v0
	ds_bpermute_b32 v4, v7, v1
	s_wait_dscnt 0x0
	v_dual_add_f32 v3, v0, v3 :: v_dual_add_f32 v0, v1, v4
	ds_bpermute_b32 v4, v9, v3
	ds_bpermute_b32 v1, v9, v0
	s_and_b32 exec_lo, exec_lo, s0
	s_cbranch_execz .LBB82_147
; %bb.143:
	s_and_not1_b32 vcc_lo, exec_lo, s5
	s_wait_alu 0xfffe
	s_cbranch_vccnz .LBB82_145
; %bb.144:
	v_add_co_u32 v5, s0, s2, v2
	s_delay_alu instid0(VALU_DEP_1) | instskip(SKIP_2) | instid1(VALU_DEP_2)
	v_add_co_ci_u32_e64 v6, null, s3, 0, s0
	s_wait_dscnt 0x1
	v_add_f32_e32 v7, v3, v4
	v_lshlrev_b64_e32 v[5:6], 1, v[5:6]
	s_delay_alu instid0(VALU_DEP_1) | instskip(SKIP_1) | instid1(VALU_DEP_2)
	v_add_co_u32 v3, vcc_lo, s8, v5
	s_wait_alu 0xfffd
	v_add_co_ci_u32_e64 v4, null, s9, v6, vcc_lo
	v_cvt_f16_f32_e32 v5, v7
	global_store_b16 v[3:4], v5, off offset:64
.LBB82_145:
	s_and_not1_b32 vcc_lo, exec_lo, s4
	s_wait_alu 0xfffe
	s_cbranch_vccnz .LBB82_147
; %bb.146:
	v_add_co_u32 v2, s0, s2, v2
	s_wait_alu 0xf1ff
	v_add_co_ci_u32_e64 v3, null, s3, 0, s0
	s_wait_dscnt 0x0
	v_add_f32_e32 v4, v0, v1
	s_delay_alu instid0(VALU_DEP_2) | instskip(NEXT) | instid1(VALU_DEP_1)
	v_lshlrev_b64_e32 v[2:3], 1, v[2:3]
	v_add_co_u32 v0, vcc_lo, s10, v2
	s_wait_alu 0xfffd
	s_delay_alu instid0(VALU_DEP_2)
	v_add_co_ci_u32_e64 v1, null, s11, v3, vcc_lo
	v_cvt_f16_f32_e32 v2, v4
	global_store_b16 v[0:1], v2, off offset:64
.LBB82_147:
	s_nop 0
	s_sendmsg sendmsg(MSG_DEALLOC_VGPRS)
	s_endpgm
	.section	.rodata,"a",@progbits
	.p2align	6, 0x0
	.amdhsa_kernel _ZN2at6native12_GLOBAL__N_135GammaBetaBackwardCUDAKernelTemplateIN3c104HalfEfLj64ELj16ELj256ELb0ELb0ELb0EEEvllPKT_S7_PKT0_SA_PS5_SB_
		.amdhsa_group_segment_fixed_size 0
		.amdhsa_private_segment_fixed_size 0
		.amdhsa_kernarg_size 320
		.amdhsa_user_sgpr_count 2
		.amdhsa_user_sgpr_dispatch_ptr 0
		.amdhsa_user_sgpr_queue_ptr 0
		.amdhsa_user_sgpr_kernarg_segment_ptr 1
		.amdhsa_user_sgpr_dispatch_id 0
		.amdhsa_user_sgpr_private_segment_size 0
		.amdhsa_wavefront_size32 1
		.amdhsa_uses_dynamic_stack 0
		.amdhsa_enable_private_segment 0
		.amdhsa_system_sgpr_workgroup_id_x 1
		.amdhsa_system_sgpr_workgroup_id_y 1
		.amdhsa_system_sgpr_workgroup_id_z 0
		.amdhsa_system_sgpr_workgroup_info 0
		.amdhsa_system_vgpr_workitem_id 1
		.amdhsa_next_free_vgpr 187
		.amdhsa_next_free_sgpr 36
		.amdhsa_reserve_vcc 1
		.amdhsa_float_round_mode_32 0
		.amdhsa_float_round_mode_16_64 0
		.amdhsa_float_denorm_mode_32 3
		.amdhsa_float_denorm_mode_16_64 3
		.amdhsa_fp16_overflow 0
		.amdhsa_workgroup_processor_mode 1
		.amdhsa_memory_ordered 1
		.amdhsa_forward_progress 1
		.amdhsa_inst_pref_size 151
		.amdhsa_round_robin_scheduling 0
		.amdhsa_exception_fp_ieee_invalid_op 0
		.amdhsa_exception_fp_denorm_src 0
		.amdhsa_exception_fp_ieee_div_zero 0
		.amdhsa_exception_fp_ieee_overflow 0
		.amdhsa_exception_fp_ieee_underflow 0
		.amdhsa_exception_fp_ieee_inexact 0
		.amdhsa_exception_int_div_zero 0
	.end_amdhsa_kernel
	.section	.text._ZN2at6native12_GLOBAL__N_135GammaBetaBackwardCUDAKernelTemplateIN3c104HalfEfLj64ELj16ELj256ELb0ELb0ELb0EEEvllPKT_S7_PKT0_SA_PS5_SB_,"axG",@progbits,_ZN2at6native12_GLOBAL__N_135GammaBetaBackwardCUDAKernelTemplateIN3c104HalfEfLj64ELj16ELj256ELb0ELb0ELb0EEEvllPKT_S7_PKT0_SA_PS5_SB_,comdat
.Lfunc_end82:
	.size	_ZN2at6native12_GLOBAL__N_135GammaBetaBackwardCUDAKernelTemplateIN3c104HalfEfLj64ELj16ELj256ELb0ELb0ELb0EEEvllPKT_S7_PKT0_SA_PS5_SB_, .Lfunc_end82-_ZN2at6native12_GLOBAL__N_135GammaBetaBackwardCUDAKernelTemplateIN3c104HalfEfLj64ELj16ELj256ELb0ELb0ELb0EEEvllPKT_S7_PKT0_SA_PS5_SB_
                                        ; -- End function
	.set _ZN2at6native12_GLOBAL__N_135GammaBetaBackwardCUDAKernelTemplateIN3c104HalfEfLj64ELj16ELj256ELb0ELb0ELb0EEEvllPKT_S7_PKT0_SA_PS5_SB_.num_vgpr, 187
	.set _ZN2at6native12_GLOBAL__N_135GammaBetaBackwardCUDAKernelTemplateIN3c104HalfEfLj64ELj16ELj256ELb0ELb0ELb0EEEvllPKT_S7_PKT0_SA_PS5_SB_.num_agpr, 0
	.set _ZN2at6native12_GLOBAL__N_135GammaBetaBackwardCUDAKernelTemplateIN3c104HalfEfLj64ELj16ELj256ELb0ELb0ELb0EEEvllPKT_S7_PKT0_SA_PS5_SB_.numbered_sgpr, 36
	.set _ZN2at6native12_GLOBAL__N_135GammaBetaBackwardCUDAKernelTemplateIN3c104HalfEfLj64ELj16ELj256ELb0ELb0ELb0EEEvllPKT_S7_PKT0_SA_PS5_SB_.num_named_barrier, 0
	.set _ZN2at6native12_GLOBAL__N_135GammaBetaBackwardCUDAKernelTemplateIN3c104HalfEfLj64ELj16ELj256ELb0ELb0ELb0EEEvllPKT_S7_PKT0_SA_PS5_SB_.private_seg_size, 0
	.set _ZN2at6native12_GLOBAL__N_135GammaBetaBackwardCUDAKernelTemplateIN3c104HalfEfLj64ELj16ELj256ELb0ELb0ELb0EEEvllPKT_S7_PKT0_SA_PS5_SB_.uses_vcc, 1
	.set _ZN2at6native12_GLOBAL__N_135GammaBetaBackwardCUDAKernelTemplateIN3c104HalfEfLj64ELj16ELj256ELb0ELb0ELb0EEEvllPKT_S7_PKT0_SA_PS5_SB_.uses_flat_scratch, 0
	.set _ZN2at6native12_GLOBAL__N_135GammaBetaBackwardCUDAKernelTemplateIN3c104HalfEfLj64ELj16ELj256ELb0ELb0ELb0EEEvllPKT_S7_PKT0_SA_PS5_SB_.has_dyn_sized_stack, 0
	.set _ZN2at6native12_GLOBAL__N_135GammaBetaBackwardCUDAKernelTemplateIN3c104HalfEfLj64ELj16ELj256ELb0ELb0ELb0EEEvllPKT_S7_PKT0_SA_PS5_SB_.has_recursion, 0
	.set _ZN2at6native12_GLOBAL__N_135GammaBetaBackwardCUDAKernelTemplateIN3c104HalfEfLj64ELj16ELj256ELb0ELb0ELb0EEEvllPKT_S7_PKT0_SA_PS5_SB_.has_indirect_call, 0
	.section	.AMDGPU.csdata,"",@progbits
; Kernel info:
; codeLenInByte = 19212
; TotalNumSgprs: 38
; NumVgprs: 187
; ScratchSize: 0
; MemoryBound: 0
; FloatMode: 240
; IeeeMode: 1
; LDSByteSize: 0 bytes/workgroup (compile time only)
; SGPRBlocks: 0
; VGPRBlocks: 23
; NumSGPRsForWavesPerEU: 38
; NumVGPRsForWavesPerEU: 187
; Occupancy: 8
; WaveLimiterHint : 0
; COMPUTE_PGM_RSRC2:SCRATCH_EN: 0
; COMPUTE_PGM_RSRC2:USER_SGPR: 2
; COMPUTE_PGM_RSRC2:TRAP_HANDLER: 0
; COMPUTE_PGM_RSRC2:TGID_X_EN: 1
; COMPUTE_PGM_RSRC2:TGID_Y_EN: 1
; COMPUTE_PGM_RSRC2:TGID_Z_EN: 0
; COMPUTE_PGM_RSRC2:TIDIG_COMP_CNT: 1
	.section	.text._ZN2at6native12_GLOBAL__N_135GammaBetaBackwardCUDAKernelTemplateIN3c104HalfEfLj32ELj1ELj32ELb1ELb1ELb0EEEvllPKT_S7_PKT0_SA_PS5_SB_,"axG",@progbits,_ZN2at6native12_GLOBAL__N_135GammaBetaBackwardCUDAKernelTemplateIN3c104HalfEfLj32ELj1ELj32ELb1ELb1ELb0EEEvllPKT_S7_PKT0_SA_PS5_SB_,comdat
	.globl	_ZN2at6native12_GLOBAL__N_135GammaBetaBackwardCUDAKernelTemplateIN3c104HalfEfLj32ELj1ELj32ELb1ELb1ELb0EEEvllPKT_S7_PKT0_SA_PS5_SB_ ; -- Begin function _ZN2at6native12_GLOBAL__N_135GammaBetaBackwardCUDAKernelTemplateIN3c104HalfEfLj32ELj1ELj32ELb1ELb1ELb0EEEvllPKT_S7_PKT0_SA_PS5_SB_
	.p2align	8
	.type	_ZN2at6native12_GLOBAL__N_135GammaBetaBackwardCUDAKernelTemplateIN3c104HalfEfLj32ELj1ELj32ELb1ELb1ELb0EEEvllPKT_S7_PKT0_SA_PS5_SB_,@function
_ZN2at6native12_GLOBAL__N_135GammaBetaBackwardCUDAKernelTemplateIN3c104HalfEfLj32ELj1ELj32ELb1ELb1ELb0EEEvllPKT_S7_PKT0_SA_PS5_SB_: ; @_ZN2at6native12_GLOBAL__N_135GammaBetaBackwardCUDAKernelTemplateIN3c104HalfEfLj32ELj1ELj32ELb1ELb1ELb0EEEvllPKT_S7_PKT0_SA_PS5_SB_
; %bb.0:
	s_load_b128 s[8:11], s[0:1], 0x0
	s_lshl_b32 s16, ttmp7, 5
	s_mov_b32 s17, 0
	v_bfe_u32 v6, v0, 10, 10
	s_add_nc_u64 s[18:19], s[0:1], 64
	s_wait_kmcnt 0x0
	v_cmp_gt_i64_e64 s2, s[8:9], s[16:17]
	s_and_b32 vcc_lo, exec_lo, s2
	s_cbranch_vccnz .LBB83_2
; %bb.1:
	v_bfe_u32 v1, v0, 10, 10
	s_add_nc_u64 s[2:3], s[0:1], 64
	s_mov_b32 s4, s17
	s_branch .LBB83_3
.LBB83_2:
	s_mov_b32 s4, -1
                                        ; implicit-def: $sgpr2_sgpr3
                                        ; implicit-def: $vgpr1
.LBB83_3:
	s_load_b128 s[12:15], s[0:1], 0x30
	v_dual_mov_b32 v4, 0 :: v_dual_and_b32 v7, 0x3ff, v0
	v_mov_b32_e32 v5, 0
	s_and_not1_b32 vcc_lo, exec_lo, s4
	s_cbranch_vccnz .LBB83_9
; %bb.4:
	s_clause 0x2
	s_load_b32 s20, s[0:1], 0x4c
	s_load_b32 s22, s[0:1], 0x44
	s_load_b256 s[0:7], s[0:1], 0x10
	v_dual_mov_b32 v1, 0 :: v_dual_lshlrev_b32 v2, 5, v6
	v_lshl_add_u32 v0, ttmp9, 5, v7
	s_mov_b32 s21, 0
	v_dual_mov_b32 v8, 4 :: v_dual_mov_b32 v9, 8
	v_dual_mov_b32 v10, 12 :: v_dual_mov_b32 v11, 16
	s_delay_alu instid0(VALU_DEP_3)
	v_lshlrev_b64_e32 v[39:40], 1, v[0:1]
	v_dual_mov_b32 v12, 20 :: v_dual_mov_b32 v13, 24
	v_dual_mov_b32 v14, 28 :: v_dual_mov_b32 v15, 32
	;; [unrolled: 1-line block ×4, first 2 shown]
	s_wait_kmcnt 0x0
	s_and_b32 s20, s20, 0xffff
	v_dual_mov_b32 v20, 52 :: v_dual_mov_b32 v21, 56
	v_mad_u32_u24 v3, v6, s20, v7
	v_add_co_u32 v42, s20, v2, s16
	s_wait_alu 0xf1ff
	v_add_co_ci_u32_e64 v43, null, 0, 0, s20
	s_delay_alu instid0(VALU_DEP_3) | instskip(NEXT) | instid1(VALU_DEP_3)
	v_dual_mov_b32 v24, 0x44 :: v_dual_and_b32 v41, 31, v3
	v_mul_lo_u32 v4, s11, v42
	s_delay_alu instid0(VALU_DEP_3)
	v_mul_lo_u32 v5, s10, v43
	v_mad_co_u64_u32 v[2:3], null, s10, v42, 0
	s_lshl_b32 s20, s22, 5
	v_dual_mov_b32 v22, 60 :: v_dual_mov_b32 v23, 64
	v_mov_b32_e32 v25, 0x48
	v_mov_b32_e32 v26, 0x4c
	;; [unrolled: 1-line block ×3, first 2 shown]
	v_add3_u32 v3, v3, v5, v4
	v_mov_b32_e32 v28, 0x54
	v_mov_b32_e32 v29, 0x58
	v_mov_b32_e32 v30, 0x5c
	v_mov_b32_e32 v31, 0x60
	v_lshlrev_b64_e32 v[4:5], 1, v[2:3]
	v_add_co_u32 v2, vcc_lo, v42, v41
	s_delay_alu instid0(VALU_DEP_1) | instskip(SKIP_1) | instid1(VALU_DEP_4)
	v_add_co_ci_u32_e64 v3, null, 0, v43, vcc_lo
	v_mov_b32_e32 v32, 0x64
	v_add_co_u32 v0, vcc_lo, v4, v39
	s_wait_alu 0xfffd
	v_add_co_ci_u32_e64 v39, null, v5, v40, vcc_lo
	v_lshlrev_b64_e32 v[4:5], 2, v[2:3]
	v_mov_b32_e32 v33, 0x68
	v_mov_b32_e32 v34, 0x6c
	;; [unrolled: 1-line block ×5, first 2 shown]
	v_dual_mov_b32 v38, 0x7c :: v_dual_mov_b32 v43, 0
	v_mov_b32_e32 v40, 0
	s_wait_alu 0xfffe
	s_mul_u64 s[22:23], s[10:11], s[20:21]
	s_lshl_b64 s[24:25], s[20:21], 2
	s_lshl_b64 s[22:23], s[22:23], 1
	;; [unrolled: 1-line block ×3, first 2 shown]
	s_branch .LBB83_6
.LBB83_5:                               ;   in Loop: Header=BB83_6 Depth=1
	s_or_b32 exec_lo, exec_lo, s28
	v_add_co_u32 v45, vcc_lo, s2, v0
	s_wait_alu 0xfffd
	v_add_co_ci_u32_e64 v46, null, s3, v39, vcc_lo
	v_add_co_u32 v47, vcc_lo, s0, v0
	s_wait_alu 0xfffd
	v_add_co_ci_u32_e64 v48, null, s1, v39, vcc_lo
	global_load_u16 v44, v[45:46], off
	v_add_co_u32 v45, vcc_lo, v45, s26
	s_wait_alu 0xfffd
	v_add_co_ci_u32_e64 v46, null, s27, v46, vcc_lo
	v_add_co_u32 v50, vcc_lo, v47, s26
	s_wait_alu 0xfffd
	v_add_co_ci_u32_e64 v51, null, s27, v48, vcc_lo
	;; [unrolled: 3-line block ×4, first 2 shown]
	global_load_u16 v49, v[47:48], off
	global_load_u16 v48, v[45:46], off
	;; [unrolled: 1-line block ×5, first 2 shown]
	v_add_co_u32 v51, vcc_lo, v52, s26
	s_wait_alu 0xfffd
	v_add_co_ci_u32_e64 v52, null, s27, v53, vcc_lo
	v_add_co_u32 v53, vcc_lo, v54, s26
	s_wait_alu 0xfffd
	v_add_co_ci_u32_e64 v54, null, s27, v55, vcc_lo
	global_load_u16 v50, v[51:52], off
	v_add_co_u32 v55, vcc_lo, v53, s26
	s_wait_alu 0xfffd
	v_add_co_ci_u32_e64 v56, null, s27, v54, vcc_lo
	v_add_co_u32 v57, vcc_lo, v51, s26
	s_wait_alu 0xfffd
	v_add_co_ci_u32_e64 v58, null, s27, v52, vcc_lo
	;; [unrolled: 3-line block ×4, first 2 shown]
	s_clause 0x1
	global_load_u16 v52, v[53:54], off
	global_load_u16 v51, v[55:56], off
	global_load_u16 v53, v[57:58], off
	global_load_u16 v54, v[59:60], off
	global_load_u16 v55, v[61:62], off
	v_add_co_u32 v57, vcc_lo, v59, s26
	s_wait_alu 0xfffd
	v_add_co_ci_u32_e64 v58, null, s27, v60, vcc_lo
	v_add_co_u32 v59, vcc_lo, v61, s26
	s_wait_alu 0xfffd
	v_add_co_ci_u32_e64 v60, null, s27, v62, vcc_lo
	global_load_u16 v56, v[57:58], off
	v_add_co_u32 v57, vcc_lo, v57, s26
	s_wait_alu 0xfffd
	v_add_co_ci_u32_e64 v58, null, s27, v58, vcc_lo
	v_add_co_u32 v61, vcc_lo, v59, s26
	s_wait_alu 0xfffd
	v_add_co_ci_u32_e64 v62, null, s27, v60, vcc_lo
	v_add_co_u32 v63, vcc_lo, v57, s26
	s_wait_alu 0xfffd
	v_add_co_ci_u32_e64 v64, null, s27, v58, vcc_lo
	v_add_co_u32 v65, vcc_lo, v61, s26
	s_wait_alu 0xfffd
	v_add_co_ci_u32_e64 v66, null, s27, v62, vcc_lo
	global_load_u16 v60, v[59:60], off
	global_load_u16 v57, v[57:58], off
	global_load_u16 v58, v[61:62], off
	global_load_u16 v59, v[63:64], off
	global_load_u16 v61, v[65:66], off
	v_add_co_u32 v63, vcc_lo, v63, s26
	s_wait_alu 0xfffd
	v_add_co_ci_u32_e64 v64, null, s27, v64, vcc_lo
	v_add_co_u32 v65, vcc_lo, v65, s26
	s_wait_alu 0xfffd
	v_add_co_ci_u32_e64 v66, null, s27, v66, vcc_lo
	global_load_u16 v62, v[63:64], off
	v_add_co_u32 v63, vcc_lo, v63, s26
	s_wait_alu 0xfffd
	v_add_co_ci_u32_e64 v64, null, s27, v64, vcc_lo
	v_add_co_u32 v67, vcc_lo, v65, s26
	s_wait_alu 0xfffd
	v_add_co_ci_u32_e64 v68, null, s27, v66, vcc_lo
	v_add_co_u32 v69, vcc_lo, v63, s26
	s_wait_alu 0xfffd
	v_add_co_ci_u32_e64 v70, null, s27, v64, vcc_lo
	v_add_co_u32 v71, vcc_lo, v67, s26
	s_wait_alu 0xfffd
	v_add_co_ci_u32_e64 v72, null, s27, v68, vcc_lo
	;; [unrolled: 24-line block ×3, first 2 shown]
	global_load_u16 v73, v[71:72], off
	global_load_u16 v69, v[69:70], off
	;; [unrolled: 1-line block ×5, first 2 shown]
	v_add_co_u32 v75, vcc_lo, v76, s26
	s_wait_alu 0xfffd
	v_add_co_ci_u32_e64 v76, null, s27, v77, vcc_lo
	v_add_co_u32 v77, vcc_lo, v78, s26
	s_wait_alu 0xfffd
	v_add_co_ci_u32_e64 v78, null, s27, v79, vcc_lo
	;; [unrolled: 3-line block ×5, first 2 shown]
	v_add_co_u32 v85, vcc_lo, v81, s26
	global_load_u16 v74, v[75:76], off
	global_load_u16 v75, v[77:78], off
	s_wait_alu 0xfffd
	v_add_co_ci_u32_e64 v86, null, s27, v82, vcc_lo
	global_load_u16 v76, v[79:80], off
	global_load_u16 v77, v[81:82], off
	v_add_co_u32 v80, vcc_lo, v83, s26
	s_wait_alu 0xfffd
	v_add_co_ci_u32_e64 v81, null, s27, v84, vcc_lo
	v_add_co_u32 v82, vcc_lo, v85, s26
	global_load_u16 v79, v[83:84], off
	global_load_u16 v78, v[85:86], off
	s_wait_alu 0xfffd
	v_add_co_ci_u32_e64 v83, null, s27, v86, vcc_lo
	v_add_co_u32 v84, vcc_lo, v80, s26
	s_wait_alu 0xfffd
	v_add_co_ci_u32_e64 v85, null, s27, v81, vcc_lo
	v_add_co_u32 v86, vcc_lo, v82, s26
	s_wait_alu 0xfffd
	v_add_co_ci_u32_e64 v87, null, s27, v83, vcc_lo
	global_load_u16 v89, v[84:85], off
	global_load_u16 v80, v[80:81], off
	v_add_co_u32 v81, vcc_lo, v84, s26
	global_load_u16 v88, v[82:83], off
	s_wait_alu 0xfffd
	v_add_co_ci_u32_e64 v82, null, s27, v85, vcc_lo
	v_add_co_u32 v83, vcc_lo, v86, s26
	s_wait_alu 0xfffd
	v_add_co_ci_u32_e64 v84, null, s27, v87, vcc_lo
	v_add_co_u32 v85, vcc_lo, v81, s26
	global_load_u16 v87, v[86:87], off
	s_wait_alu 0xfffd
	v_add_co_ci_u32_e64 v86, null, s27, v82, vcc_lo
	global_load_u16 v90, v[81:82], off
	v_add_co_u32 v81, vcc_lo, v83, s26
	s_wait_alu 0xfffd
	v_add_co_ci_u32_e64 v82, null, s27, v84, vcc_lo
	global_load_u16 v91, v[83:84], off
	v_add_co_u32 v83, vcc_lo, v85, s26
	;; [unrolled: 4-line block ×4, first 2 shown]
	s_wait_alu 0xfffd
	v_add_co_ci_u32_e64 v82, null, s27, v84, vcc_lo
	global_load_u16 v94, v[83:84], off
	global_load_u16 v95, v[85:86], off
	v_add_co_u32 v83, vcc_lo, v85, s26
	s_wait_alu 0xfffd
	v_add_co_ci_u32_e64 v84, null, s27, v86, vcc_lo
	v_add_co_u32 v85, vcc_lo, v81, s26
	s_wait_alu 0xfffd
	v_add_co_ci_u32_e64 v86, null, s27, v82, vcc_lo
	global_load_u16 v96, v[81:82], off
	global_load_u16 v97, v[83:84], off
	;; [unrolled: 1-line block ×3, first 2 shown]
	v_add_co_u32 v81, vcc_lo, v83, s26
	s_wait_alu 0xfffd
	v_add_co_ci_u32_e64 v82, null, s27, v84, vcc_lo
	v_add_co_u32 v83, vcc_lo, v85, s26
	s_wait_alu 0xfffd
	v_add_co_ci_u32_e64 v84, null, s27, v86, vcc_lo
	global_load_u16 v99, v[81:82], off
	global_load_u16 v100, v[83:84], off
	v_add_co_u32 v81, vcc_lo, v81, s26
	s_wait_alu 0xfffd
	v_add_co_ci_u32_e64 v82, null, s27, v82, vcc_lo
	v_add_co_u32 v83, vcc_lo, v83, s26
	s_wait_alu 0xfffd
	v_add_co_ci_u32_e64 v84, null, s27, v84, vcc_lo
	global_load_u16 v101, v[81:82], off
	global_load_u16 v102, v[83:84], off
	;; [unrolled: 8-line block ×4, first 2 shown]
	v_add_co_u32 v81, vcc_lo, v81, s26
	s_wait_alu 0xfffd
	v_add_co_ci_u32_e64 v82, null, s27, v82, vcc_lo
	v_add_co_u32 v83, vcc_lo, v83, s26
	s_wait_alu 0xfffd
	v_add_co_ci_u32_e64 v84, null, s27, v84, vcc_lo
	global_load_u16 v107, v[81:82], off
	v_add_co_u32 v81, vcc_lo, v81, s26
	s_wait_alu 0xfffd
	v_add_co_ci_u32_e64 v82, null, s27, v82, vcc_lo
	global_load_u16 v108, v[83:84], off
	global_load_u16 v109, v[81:82], off
	v_add_co_u32 v83, vcc_lo, v83, s26
	s_wait_alu 0xfffd
	v_add_co_ci_u32_e64 v84, null, s27, v84, vcc_lo
	v_add_co_u32 v81, vcc_lo, v81, s26
	s_wait_alu 0xfffd
	v_add_co_ci_u32_e64 v82, null, s27, v82, vcc_lo
	global_load_u16 v110, v[83:84], off
	v_add_co_u32 v85, vcc_lo, v81, s26
	s_wait_alu 0xfffd
	v_add_co_ci_u32_e64 v86, null, s27, v82, vcc_lo
	global_load_u16 v111, v[81:82], off
	;; [unrolled: 4-line block ×3, first 2 shown]
	global_load_u16 v81, v[81:82], off
	s_wait_loadcnt 0x3e
	ds_bpermute_b32 v82, v1, v42
	ds_bpermute_b32 v84, v8, v42
	ds_bpermute_b32 v85, v1, v41
	ds_bpermute_b32 v86, v9, v42
	ds_bpermute_b32 v112, v8, v41
	ds_bpermute_b32 v113, v10, v42
	ds_bpermute_b32 v114, v11, v42
	v_add_co_u32 v0, vcc_lo, v0, s22
	s_add_nc_u64 s[16:17], s[16:17], s[20:21]
	s_wait_alu 0xfffd
	v_add_co_ci_u32_e64 v39, null, s23, v39, vcc_lo
	v_add_co_u32 v4, vcc_lo, v4, s24
	s_wait_alu 0xfffe
	v_cmp_lt_i64_e64 s28, s[16:17], s[8:9]
	s_wait_alu 0xfffd
	v_add_co_ci_u32_e64 v5, null, s25, v5, vcc_lo
	v_add_co_u32 v2, vcc_lo, v2, s20
	s_wait_alu 0xfffd
	v_add_co_ci_u32_e64 v3, null, 0, v3, vcc_lo
	s_and_b32 vcc_lo, exec_lo, s28
	v_cvt_f32_f16_e32 v44, v44
	s_wait_dscnt 0x6
	s_delay_alu instid0(VALU_DEP_1)
	v_sub_f32_e32 v44, v44, v82
	ds_bpermute_b32 v82, v9, v41
	v_cvt_f32_f16_e32 v49, v49
	s_wait_loadcnt 0x3d
	v_cvt_f32_f16_e32 v48, v48
	s_wait_loadcnt 0x3c
	;; [unrolled: 2-line block ×4, first 2 shown]
	v_cvt_f32_f16_e32 v45, v45
	s_wait_dscnt 0x6
	v_dual_add_f32 v43, v43, v49 :: v_dual_sub_f32 v48, v48, v84
	v_mul_f32_e32 v44, v44, v49
	ds_bpermute_b32 v84, v10, v41
	s_wait_dscnt 0x5
	v_dual_add_f32 v43, v43, v47 :: v_dual_sub_f32 v46, v46, v86
	v_fmac_f32_e32 v40, v44, v85
	ds_bpermute_b32 v85, v13, v42
	v_add_f32_e32 v43, v43, v45
	s_wait_loadcnt 0x37
	v_cvt_f32_f16_e32 v51, v51
	s_wait_loadcnt 0x36
	v_cvt_f32_f16_e32 v53, v53
	;; [unrolled: 2-line block ×4, first 2 shown]
	v_mul_f32_e32 v44, v48, v47
	v_cvt_f32_f16_e32 v48, v50
	ds_bpermute_b32 v50, v12, v42
	s_wait_dscnt 0x6
	v_fmac_f32_e32 v40, v44, v112
	v_mul_f32_e32 v44, v46, v45
	s_wait_dscnt 0x5
	v_sub_f32_e32 v46, v48, v113
	v_cvt_f32_f16_e32 v48, v52
	ds_bpermute_b32 v52, v11, v41
	ds_bpermute_b32 v45, v19, v41
	s_wait_dscnt 0x5
	v_dual_add_f32 v43, v43, v48 :: v_dual_fmac_f32 v40, v44, v82
	ds_bpermute_b32 v82, v14, v42
	v_dual_add_f32 v43, v43, v51 :: v_dual_mul_f32 v44, v46, v48
	v_sub_f32_e32 v46, v53, v114
	ds_bpermute_b32 v53, v12, v41
	ds_bpermute_b32 v48, v20, v41
	s_wait_dscnt 0x7
	v_fmac_f32_e32 v40, v44, v84
	v_mul_f32_e32 v44, v46, v51
	s_wait_dscnt 0x5
	v_sub_f32_e32 v46, v55, v50
	v_cvt_f32_f16_e32 v50, v54
	ds_bpermute_b32 v54, v13, v41
	v_cvt_f32_f16_e32 v55, v60
	ds_bpermute_b32 v60, v15, v42
	s_wait_dscnt 0x6
	v_fmac_f32_e32 v40, v44, v52
	v_mul_f32_e32 v44, v46, v50
	v_cvt_f32_f16_e32 v52, v56
	v_sub_f32_e32 v46, v55, v85
	ds_bpermute_b32 v55, v14, v41
	v_cvt_f32_f16_e32 v56, v58
	ds_bpermute_b32 v58, v16, v42
	v_add_f32_e32 v43, v43, v50
	s_wait_loadcnt 0x24
	v_cvt_f32_f16_e32 v51, v70
	s_wait_dscnt 0x5
	v_fmac_f32_e32 v40, v44, v53
	v_mul_f32_e32 v44, v46, v52
	v_sub_f32_e32 v46, v56, v82
	ds_bpermute_b32 v53, v15, v41
	v_cvt_f32_f16_e32 v56, v57
	v_cvt_f32_f16_e32 v57, v61
	ds_bpermute_b32 v61, v17, v42
	s_wait_dscnt 0x5
	v_fmac_f32_e32 v40, v44, v54
	ds_bpermute_b32 v54, v16, v41
	v_add_f32_e32 v43, v43, v52
	v_mul_f32_e32 v44, v46, v56
	s_wait_dscnt 0x5
	v_sub_f32_e32 v46, v57, v60
	v_cvt_f32_f16_e32 v57, v59
	v_cvt_f32_f16_e32 v59, v66
	v_add_f32_e32 v43, v43, v56
	ds_bpermute_b32 v60, v18, v42
	s_wait_dscnt 0x5
	v_fmac_f32_e32 v40, v44, v55
	v_mul_f32_e32 v44, v46, v57
	s_wait_dscnt 0x4
	v_sub_f32_e32 v46, v59, v58
	v_cvt_f32_f16_e32 v55, v62
	v_cvt_f32_f16_e32 v58, v65
	v_add_f32_e32 v43, v43, v57
	ds_bpermute_b32 v59, v17, v41
	s_wait_loadcnt 0x1d
	v_cvt_f32_f16_e32 v56, v79
	s_wait_dscnt 0x4
	v_fmac_f32_e32 v40, v44, v53
	v_mul_f32_e32 v44, v46, v55
	ds_bpermute_b32 v46, v19, v42
	s_wait_dscnt 0x4
	v_sub_f32_e32 v53, v58, v61
	v_add_f32_e32 v43, v43, v55
	ds_bpermute_b32 v61, v18, v41
	v_cvt_f32_f16_e32 v58, v67
	ds_bpermute_b32 v55, v22, v42
	v_mul_f32_e32 v47, v53, v49
	v_add_f32_e32 v43, v43, v49
	s_wait_loadcnt 0x1b
	v_cvt_f32_f16_e32 v49, v89
	s_wait_dscnt 0x5
	v_fmac_f32_e32 v40, v44, v54
	ds_bpermute_b32 v44, v20, v42
	s_wait_dscnt 0x5
	v_sub_f32_e32 v53, v58, v60
	v_cvt_f32_f16_e32 v54, v64
	v_cvt_f32_f16_e32 v58, v73
	;; [unrolled: 1-line block ×5, first 2 shown]
	v_add_f32_e32 v43, v43, v54
	s_wait_loadcnt 0x18
	v_cvt_f32_f16_e32 v60, v87
	s_wait_loadcnt 0x17
	v_cvt_f32_f16_e32 v62, v90
	;; [unrolled: 2-line block ×3, first 2 shown]
	s_wait_dscnt 0x0
	v_sub_f32_e32 v44, v51, v44
	v_cvt_f32_f16_e32 v51, v76
	s_wait_loadcnt 0x15
	v_cvt_f32_f16_e32 v64, v92
	v_dual_fmac_f32 v40, v47, v59 :: v_dual_mul_f32 v47, v53, v54
	v_sub_f32_e32 v46, v58, v46
	v_cvt_f32_f16_e32 v53, v68
	v_cvt_f32_f16_e32 v58, v80
	ds_bpermute_b32 v54, v23, v42
	v_cvt_f32_f16_e32 v59, v88
	s_wait_loadcnt 0x14
	v_cvt_f32_f16_e32 v65, v93
	v_mul_f32_e32 v46, v46, v53
	s_wait_loadcnt 0x13
	v_cvt_f32_f16_e32 v66, v94
	v_fmac_f32_e32 v40, v47, v61
	v_cvt_f32_f16_e32 v47, v69
	v_add_f32_e32 v43, v43, v53
	ds_bpermute_b32 v61, v21, v41
	ds_bpermute_b32 v53, v24, v42
	s_wait_loadcnt 0x12
	v_cvt_f32_f16_e32 v67, v95
	v_mul_f32_e32 v44, v44, v47
	s_wait_loadcnt 0x11
	v_cvt_f32_f16_e32 v68, v96
	v_dual_fmac_f32 v40, v46, v45 :: v_dual_add_f32 v43, v43, v47
	ds_bpermute_b32 v46, v21, v42
	ds_bpermute_b32 v47, v25, v42
	v_cvt_f32_f16_e32 v45, v72
	v_fmac_f32_e32 v40, v44, v48
	v_cvt_f32_f16_e32 v44, v71
	v_cvt_f32_f16_e32 v48, v74
	s_wait_loadcnt 0x10
	v_cvt_f32_f16_e32 v69, v97
	s_delay_alu instid0(VALU_DEP_3) | instskip(NEXT) | instid1(VALU_DEP_1)
	v_add_f32_e32 v43, v43, v44
	v_add_f32_e32 v43, v43, v48
	s_delay_alu instid0(VALU_DEP_1)
	v_add_f32_e32 v43, v43, v51
	s_wait_dscnt 0x1
	v_sub_f32_e32 v45, v45, v46
	ds_bpermute_b32 v46, v22, v41
	s_wait_dscnt 0x1
	v_sub_f32_e32 v47, v59, v47
	v_add_f32_e32 v43, v43, v56
	v_mul_f32_e32 v45, v45, v44
	ds_bpermute_b32 v44, v25, v41
	v_mul_f32_e32 v47, v47, v58
	v_dual_add_f32 v43, v43, v58 :: v_dual_fmac_f32 v40, v45, v61
	ds_bpermute_b32 v45, v24, v41
	s_wait_loadcnt 0xf
	v_cvt_f32_f16_e32 v61, v98
	v_add_f32_e32 v43, v43, v49
	s_delay_alu instid0(VALU_DEP_1) | instskip(SKIP_2) | instid1(VALU_DEP_2)
	v_add_f32_e32 v43, v43, v62
	s_wait_loadcnt 0x8
	v_cvt_f32_f16_e32 v58, v105
	v_dual_sub_f32 v52, v52, v54 :: v_dual_add_f32 v43, v43, v64
	ds_bpermute_b32 v54, v26, v42
	v_dual_add_f32 v43, v43, v66 :: v_dual_sub_f32 v50, v50, v55
	ds_bpermute_b32 v55, v23, v41
	v_add_f32_e32 v43, v43, v68
	s_delay_alu instid0(VALU_DEP_1) | instskip(SKIP_1) | instid1(VALU_DEP_1)
	v_dual_mul_f32 v50, v50, v48 :: v_dual_add_f32 v43, v43, v61
	s_wait_dscnt 0x4
	v_fmac_f32_e32 v40, v50, v46
	v_mul_f32_e32 v46, v52, v51
	ds_bpermute_b32 v52, v27, v42
	v_sub_f32_e32 v50, v57, v53
	ds_bpermute_b32 v51, v29, v42
	v_cvt_f32_f16_e32 v53, v99
	v_cvt_f32_f16_e32 v57, v103
	s_wait_loadcnt 0x4
	v_cvt_f32_f16_e32 v59, v109
	v_mul_f32_e32 v48, v50, v56
	ds_bpermute_b32 v50, v28, v42
	v_cvt_f32_f16_e32 v56, v102
	s_wait_dscnt 0x3
	v_fmac_f32_e32 v40, v46, v55
	ds_bpermute_b32 v46, v26, v41
	v_cvt_f32_f16_e32 v55, v100
	v_fmac_f32_e32 v40, v48, v45
	ds_bpermute_b32 v45, v27, v41
	v_sub_f32_e32 v48, v60, v54
	v_cvt_f32_f16_e32 v54, v101
	v_add_f32_e32 v43, v43, v55
	v_fmac_f32_e32 v40, v47, v44
	ds_bpermute_b32 v44, v28, v41
	s_wait_dscnt 0x5
	v_dual_mul_f32 v47, v48, v49 :: v_dual_sub_f32 v48, v63, v52
	ds_bpermute_b32 v52, v30, v42
	ds_bpermute_b32 v49, v32, v42
	v_add_f32_e32 v43, v43, v56
	s_wait_dscnt 0x4
	v_fmac_f32_e32 v40, v47, v46
	ds_bpermute_b32 v46, v29, v41
	v_mul_f32_e32 v47, v48, v62
	v_sub_f32_e32 v48, v65, v50
	ds_bpermute_b32 v50, v31, v42
	s_wait_dscnt 0x5
	v_fmac_f32_e32 v40, v47, v45
	ds_bpermute_b32 v45, v30, v41
	v_dual_mul_f32 v47, v48, v64 :: v_dual_sub_f32 v48, v67, v51
	v_cvt_f32_f16_e32 v51, v104
	s_wait_dscnt 0x5
	s_delay_alu instid0(VALU_DEP_2)
	v_fmac_f32_e32 v40, v47, v44
	ds_bpermute_b32 v44, v31, v41
	s_wait_dscnt 0x5
	v_dual_mul_f32 v47, v48, v66 :: v_dual_sub_f32 v48, v69, v52
	ds_bpermute_b32 v52, v33, v42
	v_add_f32_e32 v43, v43, v51
	s_wait_dscnt 0x4
	v_fmac_f32_e32 v40, v47, v46
	ds_bpermute_b32 v46, v32, v41
	s_wait_dscnt 0x4
	v_dual_mul_f32 v47, v48, v68 :: v_dual_sub_f32 v48, v53, v50
	ds_bpermute_b32 v53, v34, v42
	v_cvt_f32_f16_e32 v50, v106
	s_wait_dscnt 0x4
	v_fmac_f32_e32 v40, v47, v45
	v_mul_f32_e32 v45, v48, v61
	ds_bpermute_b32 v47, v33, v41
	v_sub_f32_e32 v48, v54, v49
	ds_bpermute_b32 v54, v35, v42
	v_cvt_f32_f16_e32 v49, v107
	s_wait_dscnt 0x5
	v_dual_add_f32 v43, v43, v50 :: v_dual_fmac_f32 v40, v45, v44
	v_mul_f32_e32 v44, v48, v55
	ds_bpermute_b32 v45, v34, v41
	s_wait_dscnt 0x5
	v_sub_f32_e32 v48, v57, v52
	ds_bpermute_b32 v52, v36, v42
	ds_bpermute_b32 v55, v36, v41
	v_cvt_f32_f16_e32 v57, v108
	s_wait_dscnt 0x6
	v_fmac_f32_e32 v40, v44, v46
	ds_bpermute_b32 v44, v35, v41
	v_mul_f32_e32 v46, v48, v56
	ds_bpermute_b32 v48, v37, v42
	s_wait_dscnt 0x7
	v_sub_f32_e32 v53, v58, v53
	ds_bpermute_b32 v42, v38, v42
	s_wait_dscnt 0x7
	v_dual_add_f32 v43, v43, v57 :: v_dual_fmac_f32 v40, v46, v47
	v_mul_f32_e32 v46, v53, v51
	s_wait_dscnt 0x6
	v_sub_f32_e32 v47, v49, v54
	ds_bpermute_b32 v53, v37, v41
	ds_bpermute_b32 v41, v38, v41
	s_wait_loadcnt 0x3
	v_cvt_f32_f16_e32 v49, v110
	s_wait_dscnt 0x7
	v_dual_fmac_f32 v40, v46, v45 :: v_dual_mul_f32 v45, v47, v50
	s_wait_dscnt 0x6
	v_sub_f32_e32 v46, v59, v52
	s_wait_loadcnt 0x2
	v_cvt_f32_f16_e32 v47, v111
	s_wait_dscnt 0x4
	v_dual_add_f32 v43, v43, v49 :: v_dual_fmac_f32 v40, v45, v44
	s_wait_dscnt 0x3
	s_delay_alu instid0(VALU_DEP_2)
	v_dual_mul_f32 v44, v46, v57 :: v_dual_sub_f32 v45, v47, v48
	s_wait_loadcnt 0x1
	v_cvt_f32_f16_e32 v46, v83
	s_wait_loadcnt 0x0
	v_cvt_f32_f16_e32 v47, v81
	v_fmac_f32_e32 v40, v44, v55
	v_mul_f32_e32 v44, v45, v49
	s_wait_dscnt 0x2
	s_delay_alu instid0(VALU_DEP_3) | instskip(SKIP_1) | instid1(VALU_DEP_2)
	v_dual_sub_f32 v42, v46, v42 :: v_dual_add_f32 v43, v43, v47
	s_wait_dscnt 0x1
	v_fmac_f32_e32 v40, v44, v53
	s_delay_alu instid0(VALU_DEP_2) | instskip(SKIP_1) | instid1(VALU_DEP_1)
	v_mul_f32_e32 v42, v42, v47
	s_wait_dscnt 0x0
	v_fmac_f32_e32 v40, v42, v41
	s_wait_alu 0xfffe
	s_cbranch_vccz .LBB83_8
.LBB83_6:                               ; =>This Inner Loop Header: Depth=1
	v_dual_mov_b32 v41, 0 :: v_dual_mov_b32 v42, 0
	s_mov_b32 s28, exec_lo
	v_cmpx_gt_i64_e64 s[8:9], v[2:3]
	s_cbranch_execz .LBB83_5
; %bb.7:                                ;   in Loop: Header=BB83_6 Depth=1
	v_add_co_u32 v41, vcc_lo, s4, v4
	s_wait_alu 0xfffd
	v_add_co_ci_u32_e64 v42, null, s5, v5, vcc_lo
	v_add_co_u32 v44, vcc_lo, s6, v4
	s_wait_alu 0xfffd
	v_add_co_ci_u32_e64 v45, null, s7, v5, vcc_lo
	global_load_b32 v42, v[41:42], off
	global_load_b32 v41, v[44:45], off
	s_branch .LBB83_5
.LBB83_8:
	s_delay_alu instid0(VALU_DEP_1)
	v_cvt_f16_f32_e32 v5, v40
	v_cvt_f16_f32_e32 v4, v43
	v_mov_b32_e32 v1, v6
	s_mov_b64 s[2:3], s[18:19]
.LBB83_9:
	s_load_u16 s2, s[2:3], 0xe
	v_mov_b32_e32 v2, 0
	s_mov_b32 s0, ttmp9
	s_mov_b32 s1, 0
	s_wait_alu 0xfffe
	s_lshl_b64 s[0:1], s[0:1], 5
	s_wait_kmcnt 0x0
	s_cmp_eq_u64 s[12:13], 0
	s_wait_alu 0xfffe
	v_add_co_u32 v0, s0, s0, v7
	s_wait_alu 0xf1ff
	v_mad_co_u64_u32 v[2:3], null, s2, ttmp7, v[1:2]
	v_add_co_ci_u32_e64 v1, null, s1, 0, s0
	s_delay_alu instid0(VALU_DEP_1) | instskip(NEXT) | instid1(VALU_DEP_3)
	v_lshlrev_b64_e32 v[0:1], 1, v[0:1]
	v_mul_lo_u32 v3, v3, s10
	s_delay_alu instid0(VALU_DEP_4)
	v_mul_lo_u32 v6, v2, s11
	s_cbranch_scc1 .LBB83_11
; %bb.10:
	v_mad_co_u64_u32 v[7:8], null, v2, s10, 0
	s_delay_alu instid0(VALU_DEP_1) | instskip(NEXT) | instid1(VALU_DEP_1)
	v_add3_u32 v8, v8, v6, v3
	v_lshlrev_b64_e32 v[7:8], 1, v[7:8]
	s_delay_alu instid0(VALU_DEP_1) | instskip(SKIP_1) | instid1(VALU_DEP_2)
	v_add_co_u32 v7, vcc_lo, s12, v7
	s_wait_alu 0xfffd
	v_add_co_ci_u32_e64 v8, null, s13, v8, vcc_lo
	s_delay_alu instid0(VALU_DEP_2) | instskip(SKIP_1) | instid1(VALU_DEP_2)
	v_add_co_u32 v7, vcc_lo, v7, v0
	s_wait_alu 0xfffd
	v_add_co_ci_u32_e64 v8, null, v8, v1, vcc_lo
	global_store_b16 v[7:8], v5, off
.LBB83_11:
	s_cmp_eq_u64 s[14:15], 0
	s_cbranch_scc1 .LBB83_13
; %bb.12:
	v_mad_co_u64_u32 v[7:8], null, v2, s10, 0
	s_delay_alu instid0(VALU_DEP_1) | instskip(NEXT) | instid1(VALU_DEP_1)
	v_add3_u32 v8, v8, v6, v3
	v_lshlrev_b64_e32 v[2:3], 1, v[7:8]
	s_delay_alu instid0(VALU_DEP_1) | instskip(SKIP_1) | instid1(VALU_DEP_2)
	v_add_co_u32 v2, vcc_lo, s14, v2
	s_wait_alu 0xfffd
	v_add_co_ci_u32_e64 v3, null, s15, v3, vcc_lo
	s_delay_alu instid0(VALU_DEP_2) | instskip(SKIP_1) | instid1(VALU_DEP_2)
	v_add_co_u32 v0, vcc_lo, v2, v0
	s_wait_alu 0xfffd
	v_add_co_ci_u32_e64 v1, null, v3, v1, vcc_lo
	global_store_b16 v[0:1], v4, off
.LBB83_13:
	s_nop 0
	s_sendmsg sendmsg(MSG_DEALLOC_VGPRS)
	s_endpgm
	.section	.rodata,"a",@progbits
	.p2align	6, 0x0
	.amdhsa_kernel _ZN2at6native12_GLOBAL__N_135GammaBetaBackwardCUDAKernelTemplateIN3c104HalfEfLj32ELj1ELj32ELb1ELb1ELb0EEEvllPKT_S7_PKT0_SA_PS5_SB_
		.amdhsa_group_segment_fixed_size 0
		.amdhsa_private_segment_fixed_size 0
		.amdhsa_kernarg_size 320
		.amdhsa_user_sgpr_count 2
		.amdhsa_user_sgpr_dispatch_ptr 0
		.amdhsa_user_sgpr_queue_ptr 0
		.amdhsa_user_sgpr_kernarg_segment_ptr 1
		.amdhsa_user_sgpr_dispatch_id 0
		.amdhsa_user_sgpr_private_segment_size 0
		.amdhsa_wavefront_size32 1
		.amdhsa_uses_dynamic_stack 0
		.amdhsa_enable_private_segment 0
		.amdhsa_system_sgpr_workgroup_id_x 1
		.amdhsa_system_sgpr_workgroup_id_y 1
		.amdhsa_system_sgpr_workgroup_id_z 0
		.amdhsa_system_sgpr_workgroup_info 0
		.amdhsa_system_vgpr_workitem_id 1
		.amdhsa_next_free_vgpr 115
		.amdhsa_next_free_sgpr 29
		.amdhsa_reserve_vcc 1
		.amdhsa_float_round_mode_32 0
		.amdhsa_float_round_mode_16_64 0
		.amdhsa_float_denorm_mode_32 3
		.amdhsa_float_denorm_mode_16_64 3
		.amdhsa_fp16_overflow 0
		.amdhsa_workgroup_processor_mode 1
		.amdhsa_memory_ordered 1
		.amdhsa_forward_progress 1
		.amdhsa_inst_pref_size 37
		.amdhsa_round_robin_scheduling 0
		.amdhsa_exception_fp_ieee_invalid_op 0
		.amdhsa_exception_fp_denorm_src 0
		.amdhsa_exception_fp_ieee_div_zero 0
		.amdhsa_exception_fp_ieee_overflow 0
		.amdhsa_exception_fp_ieee_underflow 0
		.amdhsa_exception_fp_ieee_inexact 0
		.amdhsa_exception_int_div_zero 0
	.end_amdhsa_kernel
	.section	.text._ZN2at6native12_GLOBAL__N_135GammaBetaBackwardCUDAKernelTemplateIN3c104HalfEfLj32ELj1ELj32ELb1ELb1ELb0EEEvllPKT_S7_PKT0_SA_PS5_SB_,"axG",@progbits,_ZN2at6native12_GLOBAL__N_135GammaBetaBackwardCUDAKernelTemplateIN3c104HalfEfLj32ELj1ELj32ELb1ELb1ELb0EEEvllPKT_S7_PKT0_SA_PS5_SB_,comdat
.Lfunc_end83:
	.size	_ZN2at6native12_GLOBAL__N_135GammaBetaBackwardCUDAKernelTemplateIN3c104HalfEfLj32ELj1ELj32ELb1ELb1ELb0EEEvllPKT_S7_PKT0_SA_PS5_SB_, .Lfunc_end83-_ZN2at6native12_GLOBAL__N_135GammaBetaBackwardCUDAKernelTemplateIN3c104HalfEfLj32ELj1ELj32ELb1ELb1ELb0EEEvllPKT_S7_PKT0_SA_PS5_SB_
                                        ; -- End function
	.set _ZN2at6native12_GLOBAL__N_135GammaBetaBackwardCUDAKernelTemplateIN3c104HalfEfLj32ELj1ELj32ELb1ELb1ELb0EEEvllPKT_S7_PKT0_SA_PS5_SB_.num_vgpr, 115
	.set _ZN2at6native12_GLOBAL__N_135GammaBetaBackwardCUDAKernelTemplateIN3c104HalfEfLj32ELj1ELj32ELb1ELb1ELb0EEEvllPKT_S7_PKT0_SA_PS5_SB_.num_agpr, 0
	.set _ZN2at6native12_GLOBAL__N_135GammaBetaBackwardCUDAKernelTemplateIN3c104HalfEfLj32ELj1ELj32ELb1ELb1ELb0EEEvllPKT_S7_PKT0_SA_PS5_SB_.numbered_sgpr, 29
	.set _ZN2at6native12_GLOBAL__N_135GammaBetaBackwardCUDAKernelTemplateIN3c104HalfEfLj32ELj1ELj32ELb1ELb1ELb0EEEvllPKT_S7_PKT0_SA_PS5_SB_.num_named_barrier, 0
	.set _ZN2at6native12_GLOBAL__N_135GammaBetaBackwardCUDAKernelTemplateIN3c104HalfEfLj32ELj1ELj32ELb1ELb1ELb0EEEvllPKT_S7_PKT0_SA_PS5_SB_.private_seg_size, 0
	.set _ZN2at6native12_GLOBAL__N_135GammaBetaBackwardCUDAKernelTemplateIN3c104HalfEfLj32ELj1ELj32ELb1ELb1ELb0EEEvllPKT_S7_PKT0_SA_PS5_SB_.uses_vcc, 1
	.set _ZN2at6native12_GLOBAL__N_135GammaBetaBackwardCUDAKernelTemplateIN3c104HalfEfLj32ELj1ELj32ELb1ELb1ELb0EEEvllPKT_S7_PKT0_SA_PS5_SB_.uses_flat_scratch, 0
	.set _ZN2at6native12_GLOBAL__N_135GammaBetaBackwardCUDAKernelTemplateIN3c104HalfEfLj32ELj1ELj32ELb1ELb1ELb0EEEvllPKT_S7_PKT0_SA_PS5_SB_.has_dyn_sized_stack, 0
	.set _ZN2at6native12_GLOBAL__N_135GammaBetaBackwardCUDAKernelTemplateIN3c104HalfEfLj32ELj1ELj32ELb1ELb1ELb0EEEvllPKT_S7_PKT0_SA_PS5_SB_.has_recursion, 0
	.set _ZN2at6native12_GLOBAL__N_135GammaBetaBackwardCUDAKernelTemplateIN3c104HalfEfLj32ELj1ELj32ELb1ELb1ELb0EEEvllPKT_S7_PKT0_SA_PS5_SB_.has_indirect_call, 0
	.section	.AMDGPU.csdata,"",@progbits
; Kernel info:
; codeLenInByte = 4660
; TotalNumSgprs: 31
; NumVgprs: 115
; ScratchSize: 0
; MemoryBound: 0
; FloatMode: 240
; IeeeMode: 1
; LDSByteSize: 0 bytes/workgroup (compile time only)
; SGPRBlocks: 0
; VGPRBlocks: 14
; NumSGPRsForWavesPerEU: 31
; NumVGPRsForWavesPerEU: 115
; Occupancy: 12
; WaveLimiterHint : 0
; COMPUTE_PGM_RSRC2:SCRATCH_EN: 0
; COMPUTE_PGM_RSRC2:USER_SGPR: 2
; COMPUTE_PGM_RSRC2:TRAP_HANDLER: 0
; COMPUTE_PGM_RSRC2:TGID_X_EN: 1
; COMPUTE_PGM_RSRC2:TGID_Y_EN: 1
; COMPUTE_PGM_RSRC2:TGID_Z_EN: 0
; COMPUTE_PGM_RSRC2:TIDIG_COMP_CNT: 1
	.section	.text._ZN2at6native12_GLOBAL__N_135GammaBetaBackwardCUDAKernelTemplateIN3c104HalfEfLj32ELj1ELj32ELb1ELb0ELb0EEEvllPKT_S7_PKT0_SA_PS5_SB_,"axG",@progbits,_ZN2at6native12_GLOBAL__N_135GammaBetaBackwardCUDAKernelTemplateIN3c104HalfEfLj32ELj1ELj32ELb1ELb0ELb0EEEvllPKT_S7_PKT0_SA_PS5_SB_,comdat
	.globl	_ZN2at6native12_GLOBAL__N_135GammaBetaBackwardCUDAKernelTemplateIN3c104HalfEfLj32ELj1ELj32ELb1ELb0ELb0EEEvllPKT_S7_PKT0_SA_PS5_SB_ ; -- Begin function _ZN2at6native12_GLOBAL__N_135GammaBetaBackwardCUDAKernelTemplateIN3c104HalfEfLj32ELj1ELj32ELb1ELb0ELb0EEEvllPKT_S7_PKT0_SA_PS5_SB_
	.p2align	8
	.type	_ZN2at6native12_GLOBAL__N_135GammaBetaBackwardCUDAKernelTemplateIN3c104HalfEfLj32ELj1ELj32ELb1ELb0ELb0EEEvllPKT_S7_PKT0_SA_PS5_SB_,@function
_ZN2at6native12_GLOBAL__N_135GammaBetaBackwardCUDAKernelTemplateIN3c104HalfEfLj32ELj1ELj32ELb1ELb0ELb0EEEvllPKT_S7_PKT0_SA_PS5_SB_: ; @_ZN2at6native12_GLOBAL__N_135GammaBetaBackwardCUDAKernelTemplateIN3c104HalfEfLj32ELj1ELj32ELb1ELb0ELb0EEEvllPKT_S7_PKT0_SA_PS5_SB_
; %bb.0:
	s_clause 0x1
	s_load_b256 s[4:11], s[0:1], 0x0
	s_load_b128 s[12:15], s[0:1], 0x20
	s_lshl_b32 s30, ttmp9, 5
	s_mov_b32 s17, 0
	s_or_b32 s16, s30, 31
	v_mov_b32_e32 v228, v0
	s_wait_kmcnt 0x0
	v_cmp_le_i64_e64 s2, s[6:7], s[16:17]
	s_lshl_b32 s16, ttmp7, 5
	s_wait_alu 0xfffe
	v_cmp_gt_i64_e64 s31, s[4:5], s[16:17]
	s_and_b32 vcc_lo, exec_lo, s2
	v_cndmask_b32_e64 v0, 0, 1, s31
	s_delay_alu instid0(VALU_DEP_1)
	v_cmp_ne_u32_e64 s2, 1, v0
	s_cbranch_vccz .LBB84_141
; %bb.1:
	v_mov_b32_e32 v203, 0
	v_mov_b32_e32 v201, 0
	s_and_b32 vcc_lo, exec_lo, s2
	s_cbranch_vccnz .LBB84_142
; %bb.2:
	v_bfe_u32 v38, v228, 10, 10
	v_dual_mov_b32 v1, 0 :: v_dual_and_b32 v40, 0x3ff, v228
	s_load_b32 s3, s[0:1], 0x44
	s_mov_b32 s19, 0
	s_delay_alu instid0(VALU_DEP_2) | instskip(NEXT) | instid1(VALU_DEP_2)
	v_lshlrev_b32_e32 v39, 5, v38
	v_dual_mov_b32 v7, v1 :: v_dual_add_nc_u32 v6, s30, v40
	s_mov_b32 s23, s19
	v_mov_b32_e32 v41, v1
	s_delay_alu instid0(VALU_DEP_3) | instskip(NEXT) | instid1(VALU_DEP_1)
	v_add_co_u32 v4, s2, v39, s16
	v_add_co_ci_u32_e64 v5, null, 0, 0, s2
	v_cmp_gt_i64_e64 s2, s[6:7], v[6:7]
	s_delay_alu instid0(VALU_DEP_3) | instskip(SKIP_1) | instid1(VALU_DEP_4)
	v_mul_lo_u32 v0, s7, v4
	v_mad_co_u64_u32 v[2:3], null, s6, v4, 0
	v_mul_lo_u32 v8, s6, v5
	v_lshlrev_b64_e32 v[34:35], 1, v[6:7]
	v_mov_b32_e32 v201, 0
	v_mov_b32_e32 v169, 0
	s_add_nc_u64 s[20:21], s[0:1], 64
	s_wait_kmcnt 0x0
	s_lshl_b32 s22, s3, 5
	s_mov_b64 s[26:27], 31
	s_mul_u64 s[24:25], s[6:7], s[22:23]
	v_add3_u32 v3, v3, v8, v0
	v_add_co_u32 v0, vcc_lo, v4, 31
	s_delay_alu instid0(VALU_DEP_1) | instskip(NEXT) | instid1(VALU_DEP_3)
	v_add_co_ci_u32_e64 v8, null, 0, v5, vcc_lo
	v_lshlrev_b64_e32 v[6:7], 1, v[2:3]
	s_delay_alu instid0(VALU_DEP_3) | instskip(SKIP_1) | instid1(VALU_DEP_3)
	v_mul_lo_u32 v12, s7, v0
	s_lshl_b64 s[24:25], s[24:25], 1
	v_mul_lo_u32 v13, s6, v8
	v_mad_co_u64_u32 v[8:9], null, s6, v0, 0
	v_add_co_u32 v0, vcc_lo, v4, 30
	s_wait_alu 0xfffd
	v_add_co_ci_u32_e64 v10, null, 0, v5, vcc_lo
	v_add_co_u32 v42, vcc_lo, s8, v6
	s_delay_alu instid0(VALU_DEP_3) | instskip(NEXT) | instid1(VALU_DEP_3)
	v_mul_lo_u32 v14, s7, v0
	v_mul_lo_u32 v15, s6, v10
	v_mad_co_u64_u32 v[10:11], null, s6, v0, 0
	s_wait_alu 0xfffd
	v_add_co_ci_u32_e64 v43, null, s9, v7, vcc_lo
	v_add_co_u32 v44, vcc_lo, s10, v6
	s_wait_alu 0xfffd
	v_add_co_ci_u32_e64 v45, null, s11, v7, vcc_lo
	v_add_co_u32 v0, vcc_lo, v4, 29
	v_add3_u32 v9, v9, v13, v12
	v_add3_u32 v11, v11, v15, v14
	s_wait_alu 0xfffd
	v_add_co_ci_u32_e64 v12, null, 0, v5, vcc_lo
	v_mul_lo_u32 v13, s7, v0
	v_lshlrev_b64_e32 v[6:7], 1, v[8:9]
	v_lshlrev_b64_e32 v[8:9], 1, v[10:11]
	s_delay_alu instid0(VALU_DEP_4)
	v_mul_lo_u32 v12, s6, v12
	v_mad_co_u64_u32 v[10:11], null, s6, v0, 0
	s_mov_b64 s[28:29], s[16:17]
	v_add_co_u32 v46, vcc_lo, s8, v6
	s_wait_alu 0xfffd
	v_add_co_ci_u32_e64 v47, null, s9, v7, vcc_lo
	v_add_co_u32 v48, vcc_lo, s10, v6
	v_add3_u32 v11, v11, v12, v13
	s_wait_alu 0xfffd
	v_add_co_ci_u32_e64 v49, null, s11, v7, vcc_lo
	v_add_co_u32 v50, vcc_lo, s8, v8
	s_wait_alu 0xfffd
	v_add_co_ci_u32_e64 v51, null, s9, v9, vcc_lo
	v_add_co_u32 v0, vcc_lo, v4, 28
	v_add_co_u32 v52, s3, s10, v8
	v_lshlrev_b64_e32 v[6:7], 1, v[10:11]
	s_wait_alu 0xfffd
	v_add_co_ci_u32_e64 v8, null, 0, v5, vcc_lo
	v_add_co_u32 v10, vcc_lo, v4, 27
	s_wait_alu 0xfffd
	v_add_co_ci_u32_e64 v11, null, 0, v5, vcc_lo
	s_wait_alu 0xf1ff
	v_add_co_ci_u32_e64 v53, null, s11, v9, s3
	v_mul_lo_u32 v12, s7, v0
	v_mul_lo_u32 v13, s6, v8
	v_mad_co_u64_u32 v[8:9], null, s6, v0, 0
	v_mul_lo_u32 v0, s7, v10
	v_mul_lo_u32 v14, s6, v11
	v_mad_co_u64_u32 v[10:11], null, s6, v10, 0
	v_add_co_u32 v54, vcc_lo, s8, v6
	s_wait_alu 0xfffd
	v_add_co_ci_u32_e64 v55, null, s9, v7, vcc_lo
	v_add_co_u32 v56, vcc_lo, s10, v6
	s_wait_alu 0xfffd
	v_add_co_ci_u32_e64 v57, null, s11, v7, vcc_lo
	v_add3_u32 v11, v11, v14, v0
	v_add_co_u32 v0, vcc_lo, v4, 26
	v_add3_u32 v9, v9, v13, v12
	s_wait_alu 0xfffd
	v_add_co_ci_u32_e64 v12, null, 0, v5, vcc_lo
	s_delay_alu instid0(VALU_DEP_3) | instskip(NEXT) | instid1(VALU_DEP_3)
	v_mul_lo_u32 v13, s7, v0
	v_lshlrev_b64_e32 v[6:7], 1, v[8:9]
	v_lshlrev_b64_e32 v[8:9], 1, v[10:11]
	s_delay_alu instid0(VALU_DEP_4) | instskip(SKIP_1) | instid1(VALU_DEP_4)
	v_mul_lo_u32 v12, s6, v12
	v_mad_co_u64_u32 v[10:11], null, s6, v0, 0
	v_add_co_u32 v58, vcc_lo, s8, v6
	s_wait_alu 0xfffd
	v_add_co_ci_u32_e64 v59, null, s9, v7, vcc_lo
	v_add_co_u32 v60, vcc_lo, s10, v6
	s_delay_alu instid0(VALU_DEP_4)
	v_add3_u32 v11, v11, v12, v13
	s_wait_alu 0xfffd
	v_add_co_ci_u32_e64 v61, null, s11, v7, vcc_lo
	v_add_co_u32 v62, vcc_lo, s8, v8
	s_wait_alu 0xfffd
	v_add_co_ci_u32_e64 v63, null, s9, v9, vcc_lo
	v_add_co_u32 v0, vcc_lo, v4, 25
	v_add_co_u32 v64, s3, s10, v8
	v_lshlrev_b64_e32 v[6:7], 1, v[10:11]
	s_wait_alu 0xfffd
	v_add_co_ci_u32_e64 v8, null, 0, v5, vcc_lo
	v_add_co_u32 v10, vcc_lo, v4, 24
	s_wait_alu 0xfffd
	v_add_co_ci_u32_e64 v11, null, 0, v5, vcc_lo
	s_wait_alu 0xf1ff
	v_add_co_ci_u32_e64 v65, null, s11, v9, s3
	v_mul_lo_u32 v12, s7, v0
	v_mul_lo_u32 v13, s6, v8
	v_mad_co_u64_u32 v[8:9], null, s6, v0, 0
	v_mul_lo_u32 v14, s7, v10
	v_mul_lo_u32 v15, s6, v11
	v_mad_co_u64_u32 v[10:11], null, s6, v10, 0
	v_add_co_u32 v0, vcc_lo, s8, v6
	s_wait_alu 0xfffd
	v_add_co_ci_u32_e64 v66, null, s9, v7, vcc_lo
	v_add_co_u32 v67, vcc_lo, s10, v6
	v_add3_u32 v9, v9, v13, v12
	s_wait_alu 0xfffd
	v_add_co_ci_u32_e64 v68, null, s11, v7, vcc_lo
	v_add_co_u32 v12, vcc_lo, v4, 23
	v_add3_u32 v11, v11, v15, v14
	s_wait_alu 0xfffd
	v_add_co_ci_u32_e64 v13, null, 0, v5, vcc_lo
	v_lshlrev_b64_e32 v[6:7], 1, v[8:9]
	v_mul_lo_u32 v14, s7, v12
	v_lshlrev_b64_e32 v[8:9], 1, v[10:11]
	s_delay_alu instid0(VALU_DEP_4)
	v_mul_lo_u32 v13, s6, v13
	v_mad_co_u64_u32 v[10:11], null, s6, v12, 0
	v_add_co_u32 v69, vcc_lo, s8, v6
	s_wait_alu 0xfffd
	v_add_co_ci_u32_e64 v70, null, s9, v7, vcc_lo
	v_add_co_u32 v71, vcc_lo, s10, v6
	s_delay_alu instid0(VALU_DEP_4)
	v_add3_u32 v11, v11, v13, v14
	s_wait_alu 0xfffd
	v_add_co_ci_u32_e64 v72, null, s11, v7, vcc_lo
	v_add_co_u32 v73, vcc_lo, s8, v8
	s_wait_alu 0xfffd
	v_add_co_ci_u32_e64 v74, null, s9, v9, vcc_lo
	v_add_co_u32 v12, vcc_lo, v4, 22
	v_add_co_u32 v75, s3, s10, v8
	v_lshlrev_b64_e32 v[6:7], 1, v[10:11]
	s_wait_alu 0xfffd
	v_add_co_ci_u32_e64 v8, null, 0, v5, vcc_lo
	v_add_co_u32 v10, vcc_lo, v4, 21
	s_wait_alu 0xfffd
	v_add_co_ci_u32_e64 v11, null, 0, v5, vcc_lo
	s_wait_alu 0xf1ff
	v_add_co_ci_u32_e64 v76, null, s11, v9, s3
	v_mul_lo_u32 v13, s7, v12
	v_mul_lo_u32 v14, s6, v8
	v_mad_co_u64_u32 v[8:9], null, s6, v12, 0
	v_mul_lo_u32 v12, s7, v10
	v_mul_lo_u32 v15, s6, v11
	v_mad_co_u64_u32 v[10:11], null, s6, v10, 0
	v_add_co_u32 v77, vcc_lo, s8, v6
	s_wait_alu 0xfffd
	v_add_co_ci_u32_e64 v78, null, s9, v7, vcc_lo
	v_add_co_u32 v79, vcc_lo, s10, v6
	s_wait_alu 0xfffd
	v_add_co_ci_u32_e64 v80, null, s11, v7, vcc_lo
	v_add3_u32 v11, v11, v15, v12
	v_add_co_u32 v12, vcc_lo, v4, 20
	v_add3_u32 v9, v9, v14, v13
	s_wait_alu 0xfffd
	v_add_co_ci_u32_e64 v13, null, 0, v5, vcc_lo
	s_delay_alu instid0(VALU_DEP_3) | instskip(NEXT) | instid1(VALU_DEP_3)
	v_mul_lo_u32 v14, s7, v12
	v_lshlrev_b64_e32 v[6:7], 1, v[8:9]
	v_lshlrev_b64_e32 v[8:9], 1, v[10:11]
	s_delay_alu instid0(VALU_DEP_4) | instskip(SKIP_1) | instid1(VALU_DEP_4)
	v_mul_lo_u32 v13, s6, v13
	v_mad_co_u64_u32 v[10:11], null, s6, v12, 0
	v_add_co_u32 v81, vcc_lo, s8, v6
	s_wait_alu 0xfffd
	v_add_co_ci_u32_e64 v82, null, s9, v7, vcc_lo
	v_add_co_u32 v83, vcc_lo, s10, v6
	s_delay_alu instid0(VALU_DEP_4)
	v_add3_u32 v11, v11, v13, v14
	s_wait_alu 0xfffd
	v_add_co_ci_u32_e64 v84, null, s11, v7, vcc_lo
	v_add_co_u32 v85, vcc_lo, s8, v8
	s_wait_alu 0xfffd
	v_add_co_ci_u32_e64 v86, null, s9, v9, vcc_lo
	v_add_co_u32 v12, vcc_lo, v4, 19
	v_add_co_u32 v87, s3, s10, v8
	v_lshlrev_b64_e32 v[6:7], 1, v[10:11]
	s_wait_alu 0xfffd
	v_add_co_ci_u32_e64 v8, null, 0, v5, vcc_lo
	v_add_co_u32 v10, vcc_lo, v4, 18
	s_wait_alu 0xfffd
	v_add_co_ci_u32_e64 v11, null, 0, v5, vcc_lo
	s_wait_alu 0xf1ff
	v_add_co_ci_u32_e64 v88, null, s11, v9, s3
	v_mul_lo_u32 v13, s7, v12
	v_mul_lo_u32 v14, s6, v8
	v_mad_co_u64_u32 v[8:9], null, s6, v12, 0
	v_mul_lo_u32 v12, s7, v10
	v_mul_lo_u32 v15, s6, v11
	v_mad_co_u64_u32 v[10:11], null, s6, v10, 0
	v_add_co_u32 v89, vcc_lo, s8, v6
	s_wait_alu 0xfffd
	v_add_co_ci_u32_e64 v90, null, s9, v7, vcc_lo
	v_add_co_u32 v91, vcc_lo, s10, v6
	s_wait_alu 0xfffd
	v_add_co_ci_u32_e64 v92, null, s11, v7, vcc_lo
	v_add3_u32 v11, v11, v15, v12
	v_add_co_u32 v12, vcc_lo, v4, 17
	v_add3_u32 v9, v9, v14, v13
	s_wait_alu 0xfffd
	v_add_co_ci_u32_e64 v13, null, 0, v5, vcc_lo
	s_delay_alu instid0(VALU_DEP_3) | instskip(NEXT) | instid1(VALU_DEP_3)
	v_mul_lo_u32 v14, s7, v12
	v_lshlrev_b64_e32 v[6:7], 1, v[8:9]
	v_lshlrev_b64_e32 v[8:9], 1, v[10:11]
	s_delay_alu instid0(VALU_DEP_4) | instskip(SKIP_1) | instid1(VALU_DEP_4)
	;; [unrolled: 45-line block ×4, first 2 shown]
	v_mul_lo_u32 v13, s6, v13
	v_mad_co_u64_u32 v[10:11], null, s6, v12, 0
	v_add_co_u32 v117, vcc_lo, s8, v6
	s_wait_alu 0xfffd
	v_add_co_ci_u32_e64 v118, null, s9, v7, vcc_lo
	v_add_co_u32 v119, vcc_lo, s10, v6
	s_delay_alu instid0(VALU_DEP_4)
	v_add3_u32 v11, v11, v13, v14
	s_wait_alu 0xfffd
	v_add_co_ci_u32_e64 v120, null, s11, v7, vcc_lo
	v_add_co_u32 v121, vcc_lo, s8, v8
	s_wait_alu 0xfffd
	v_add_co_ci_u32_e64 v122, null, s9, v9, vcc_lo
	v_add_co_u32 v12, vcc_lo, v4, 10
	v_add_co_u32 v123, s3, s10, v8
	v_lshlrev_b64_e32 v[6:7], 1, v[10:11]
	s_wait_alu 0xfffd
	v_add_co_ci_u32_e64 v8, null, 0, v5, vcc_lo
	v_add_co_u32 v10, vcc_lo, v4, 9
	s_wait_alu 0xfffd
	v_add_co_ci_u32_e64 v11, null, 0, v5, vcc_lo
	s_wait_alu 0xf1ff
	v_add_co_ci_u32_e64 v124, null, s11, v9, s3
	v_mul_lo_u32 v13, s7, v12
	v_mul_lo_u32 v14, s6, v8
	v_mad_co_u64_u32 v[8:9], null, s6, v12, 0
	v_mul_lo_u32 v12, s7, v10
	v_mul_lo_u32 v15, s6, v11
	v_mad_co_u64_u32 v[10:11], null, s6, v10, 0
	v_add_co_u32 v125, vcc_lo, s8, v6
	s_wait_alu 0xfffd
	v_add_co_ci_u32_e64 v126, null, s9, v7, vcc_lo
	v_add_co_u32 v127, vcc_lo, s10, v6
	v_add3_u32 v9, v9, v14, v13
	s_wait_alu 0xfffd
	v_add_co_ci_u32_e64 v128, null, s11, v7, vcc_lo
	v_add3_u32 v11, v11, v15, v12
	v_add_co_u32 v12, vcc_lo, v4, 8
	s_wait_alu 0xfffd
	v_add_co_ci_u32_e64 v13, null, 0, v5, vcc_lo
	v_lshlrev_b64_e32 v[6:7], 1, v[8:9]
	v_lshlrev_b64_e32 v[8:9], 1, v[10:11]
	v_mul_lo_u32 v14, s7, v12
	s_delay_alu instid0(VALU_DEP_4)
	v_mul_lo_u32 v13, s6, v13
	v_mad_co_u64_u32 v[10:11], null, s6, v12, 0
	v_add_co_u32 v129, vcc_lo, s8, v6
	s_wait_alu 0xfffd
	v_add_co_ci_u32_e64 v130, null, s9, v7, vcc_lo
	v_add_co_u32 v131, vcc_lo, s10, v6
	s_wait_alu 0xfffd
	v_add_co_ci_u32_e64 v132, null, s11, v7, vcc_lo
	v_add_co_u32 v133, vcc_lo, s8, v8
	v_add3_u32 v11, v11, v13, v14
	s_wait_alu 0xfffd
	v_add_co_ci_u32_e64 v134, null, s9, v9, vcc_lo
	v_add_co_u32 v12, vcc_lo, v4, 7
	v_add_co_u32 v135, s3, s10, v8
	s_wait_alu 0xfffd
	v_add_co_ci_u32_e64 v8, null, 0, v5, vcc_lo
	v_lshlrev_b64_e32 v[6:7], 1, v[10:11]
	v_add_co_u32 v10, vcc_lo, v4, 6
	s_wait_alu 0xfffd
	v_add_co_ci_u32_e64 v11, null, 0, v5, vcc_lo
	s_wait_alu 0xf1ff
	v_add_co_ci_u32_e64 v136, null, s11, v9, s3
	v_mul_lo_u32 v13, s7, v12
	v_mul_lo_u32 v14, s6, v8
	v_mad_co_u64_u32 v[8:9], null, s6, v12, 0
	v_mul_lo_u32 v12, s7, v10
	v_mul_lo_u32 v15, s6, v11
	v_mad_co_u64_u32 v[10:11], null, s6, v10, 0
	v_add_co_u32 v137, vcc_lo, s8, v6
	v_add3_u32 v9, v9, v14, v13
	s_wait_alu 0xfffd
	v_add_co_ci_u32_e64 v138, null, s9, v7, vcc_lo
	v_add_co_u32 v139, vcc_lo, s10, v6
	s_wait_alu 0xfffd
	v_add_co_ci_u32_e64 v140, null, s11, v7, vcc_lo
	v_add3_u32 v11, v11, v15, v12
	v_add_co_u32 v12, vcc_lo, v4, 5
	v_lshlrev_b64_e32 v[6:7], 1, v[8:9]
	s_wait_alu 0xfffd
	v_add_co_ci_u32_e64 v13, null, 0, v5, vcc_lo
	v_lshlrev_b64_e32 v[8:9], 1, v[10:11]
	v_mul_lo_u32 v14, s7, v12
	v_mad_co_u64_u32 v[10:11], null, s6, v12, 0
	v_add_co_u32 v141, vcc_lo, s8, v6
	v_mul_lo_u32 v13, s6, v13
	s_wait_alu 0xfffd
	v_add_co_ci_u32_e64 v142, null, s9, v7, vcc_lo
	v_add_co_u32 v143, vcc_lo, s10, v6
	s_wait_alu 0xfffd
	v_add_co_ci_u32_e64 v144, null, s11, v7, vcc_lo
	v_add_co_u32 v145, vcc_lo, s8, v8
	;; [unrolled: 3-line block ×3, first 2 shown]
	v_add3_u32 v11, v11, v13, v14
	v_add_co_u32 v147, s3, s10, v8
	s_wait_alu 0xfffd
	v_add_co_ci_u32_e64 v8, null, 0, v5, vcc_lo
	s_wait_alu 0xf1ff
	v_add_co_ci_u32_e64 v148, null, s11, v9, s3
	v_lshlrev_b64_e32 v[6:7], 1, v[10:11]
	v_mul_lo_u32 v13, s7, v12
	v_add_co_u32 v10, vcc_lo, v4, 3
	v_mul_lo_u32 v14, s6, v8
	v_mad_co_u64_u32 v[8:9], null, s6, v12, 0
	s_wait_alu 0xfffd
	v_add_co_ci_u32_e64 v11, null, 0, v5, vcc_lo
	v_mul_lo_u32 v12, s7, v10
	v_add_co_u32 v149, vcc_lo, s8, v6
	s_delay_alu instid0(VALU_DEP_3)
	v_mul_lo_u32 v15, s6, v11
	v_mad_co_u64_u32 v[10:11], null, s6, v10, 0
	v_add3_u32 v9, v9, v14, v13
	s_wait_alu 0xfffd
	v_add_co_ci_u32_e64 v150, null, s9, v7, vcc_lo
	v_add_co_u32 v151, vcc_lo, s10, v6
	s_wait_alu 0xfffd
	v_add_co_ci_u32_e64 v152, null, s11, v7, vcc_lo
	v_lshlrev_b64_e32 v[6:7], 1, v[8:9]
	v_add_co_u32 v8, vcc_lo, v4, 2
	v_add3_u32 v11, v11, v15, v12
	s_wait_alu 0xfffd
	v_add_co_ci_u32_e64 v9, null, 0, v5, vcc_lo
	s_delay_alu instid0(VALU_DEP_4) | instskip(NEXT) | instid1(VALU_DEP_3)
	v_add_co_u32 v153, vcc_lo, s8, v6
	v_lshlrev_b64_e32 v[4:5], 1, v[10:11]
	v_mul_lo_u32 v10, s7, v8
	s_delay_alu instid0(VALU_DEP_4)
	v_mul_lo_u32 v11, s6, v9
	v_mad_co_u64_u32 v[8:9], null, s6, v8, 0
	s_wait_alu 0xfffd
	v_add_co_ci_u32_e64 v154, null, s9, v7, vcc_lo
	v_add_co_u32 v155, vcc_lo, s10, v6
	s_wait_alu 0xfffd
	v_add_co_ci_u32_e64 v156, null, s11, v7, vcc_lo
	v_add_co_u32 v157, vcc_lo, s8, v4
	s_wait_alu 0xfffd
	v_add_co_ci_u32_e64 v158, null, s9, v5, vcc_lo
	v_add3_u32 v9, v9, v11, v10
	v_add_co_u32 v159, vcc_lo, s10, v4
	s_wait_alu 0xfffd
	v_add_co_ci_u32_e64 v160, null, s11, v5, vcc_lo
	v_add_co_u32 v2, vcc_lo, v2, s6
	s_wait_alu 0xfffd
	v_add_co_ci_u32_e64 v3, null, s7, v3, vcc_lo
	v_lshlrev_b64_e32 v[4:5], 1, v[8:9]
	s_delay_alu instid0(VALU_DEP_2) | instskip(NEXT) | instid1(VALU_DEP_2)
	v_lshlrev_b64_e32 v[2:3], 1, v[2:3]
	v_add_co_u32 v161, vcc_lo, s8, v4
	s_wait_alu 0xfffd
	s_delay_alu instid0(VALU_DEP_3)
	v_add_co_ci_u32_e64 v162, null, s9, v5, vcc_lo
	v_add_co_u32 v163, vcc_lo, s10, v4
	s_wait_alu 0xfffd
	v_add_co_ci_u32_e64 v164, null, s11, v5, vcc_lo
	v_add_co_u32 v165, vcc_lo, s8, v2
	s_wait_alu 0xfffd
	;; [unrolled: 3-line block ×3, first 2 shown]
	v_add_co_ci_u32_e64 v168, null, s11, v3, vcc_lo
.LBB84_3:                               ; =>This Inner Loop Header: Depth=1
	s_add_nc_u64 s[34:35], s[16:17], s[26:27]
	v_add_co_u32 v36, vcc_lo, s16, v39
	s_wait_alu 0xfffe
	v_cmp_ge_i64_e64 s3, s[34:35], s[4:5]
	s_wait_alu 0xfffd
	v_add_co_ci_u32_e64 v37, null, 0, v41, vcc_lo
                                        ; implicit-def: $vgpr2_vgpr3_vgpr4_vgpr5_vgpr6_vgpr7_vgpr8_vgpr9_vgpr10_vgpr11_vgpr12_vgpr13_vgpr14_vgpr15_vgpr16_vgpr17_vgpr18_vgpr19_vgpr20_vgpr21_vgpr22_vgpr23_vgpr24_vgpr25_vgpr26_vgpr27_vgpr28_vgpr29_vgpr30_vgpr31_vgpr32_vgpr33
                                        ; implicit-def: $vgpr171
                                        ; implicit-def: $vgpr188
                                        ; implicit-def: $vgpr2
                                        ; implicit-def: $vgpr203
                                        ; implicit-def: $vgpr3
	s_and_b32 vcc_lo, exec_lo, s3
	s_mov_b32 s3, -1
	s_wait_alu 0xfffe
	s_cbranch_vccz .LBB84_71
; %bb.4:                                ;   in Loop: Header=BB84_3 Depth=1
	s_load_b32 s3, s[20:21], 0xc
	v_mov_b32_e32 v172, 0
	v_dual_mov_b32 v170, 0 :: v_dual_mov_b32 v171, 0
	s_wait_kmcnt 0x0
	s_and_b32 s3, s3, 0xffff
	s_wait_alu 0xfffe
	v_mad_u32_u24 v2, v38, s3, v40
	s_mov_b32 s3, exec_lo
	s_delay_alu instid0(VALU_DEP_1) | instskip(NEXT) | instid1(VALU_DEP_1)
	v_and_b32_e32 v2, 31, v2
	v_add_co_u32 v2, vcc_lo, v36, v2
	s_wait_alu 0xfffd
	v_add_co_ci_u32_e64 v3, null, 0, v37, vcc_lo
	s_delay_alu instid0(VALU_DEP_1)
	v_cmpx_gt_i64_e64 s[4:5], v[2:3]
	s_cbranch_execz .LBB84_6
; %bb.5:                                ;   in Loop: Header=BB84_3 Depth=1
	v_lshlrev_b64_e32 v[2:3], 2, v[2:3]
	s_delay_alu instid0(VALU_DEP_1) | instskip(SKIP_1) | instid1(VALU_DEP_2)
	v_add_co_u32 v4, vcc_lo, s12, v2
	s_wait_alu 0xfffd
	v_add_co_ci_u32_e64 v5, null, s13, v3, vcc_lo
	v_add_co_u32 v2, vcc_lo, s14, v2
	s_wait_alu 0xfffd
	v_add_co_ci_u32_e64 v3, null, s15, v3, vcc_lo
	global_load_b32 v170, v[4:5], off
	global_load_b32 v171, v[2:3], off
.LBB84_6:                               ;   in Loop: Header=BB84_3 Depth=1
	s_wait_alu 0xfffe
	s_or_b32 exec_lo, exec_lo, s3
	v_mov_b32_e32 v32, v1
	v_cmp_gt_i64_e32 vcc_lo, s[4:5], v[36:37]
	v_dual_mov_b32 v2, v1 :: v_dual_mov_b32 v3, v1
	v_dual_mov_b32 v4, v1 :: v_dual_mov_b32 v5, v1
	v_dual_mov_b32 v6, v1 :: v_dual_mov_b32 v7, v1
	v_dual_mov_b32 v8, v1 :: v_dual_mov_b32 v9, v1
	v_dual_mov_b32 v10, v1 :: v_dual_mov_b32 v11, v1
	v_dual_mov_b32 v12, v1 :: v_dual_mov_b32 v13, v1
	v_dual_mov_b32 v14, v1 :: v_dual_mov_b32 v15, v1
	v_dual_mov_b32 v16, v1 :: v_dual_mov_b32 v17, v1
	v_dual_mov_b32 v18, v1 :: v_dual_mov_b32 v19, v1
	v_dual_mov_b32 v20, v1 :: v_dual_mov_b32 v21, v1
	v_dual_mov_b32 v22, v1 :: v_dual_mov_b32 v23, v1
	v_dual_mov_b32 v24, v1 :: v_dual_mov_b32 v25, v1
	v_dual_mov_b32 v26, v1 :: v_dual_mov_b32 v27, v1
	v_dual_mov_b32 v28, v1 :: v_dual_mov_b32 v29, v1
	v_dual_mov_b32 v30, v1 :: v_dual_mov_b32 v31, v1
	v_mov_b32_e32 v33, v32
	s_delay_alu instid0(VALU_DEP_2) | instskip(NEXT) | instid1(VALU_DEP_3)
	v_mov_b32_e32 v32, v31
	v_mov_b32_e32 v31, v30
	;; [unrolled: 1-line block ×31, first 2 shown]
	s_and_b32 s18, s2, vcc_lo
	s_delay_alu instid0(SALU_CYCLE_1)
	s_and_saveexec_b32 s3, s18
	s_cbranch_execz .LBB84_8
; %bb.7:                                ;   in Loop: Header=BB84_3 Depth=1
	v_add_co_u32 v2, vcc_lo, v42, v34
	s_wait_alu 0xfffd
	v_add_co_ci_u32_e64 v3, null, v43, v35, vcc_lo
	v_add_co_u32 v4, vcc_lo, v44, v34
	s_wait_alu 0xfffd
	v_add_co_ci_u32_e64 v5, null, v45, v35, vcc_lo
	global_load_u16 v2, v[2:3], off
	global_load_u16 v172, v[4:5], off
	v_dual_mov_b32 v3, v1 :: v_dual_mov_b32 v4, v1
	v_dual_mov_b32 v5, v1 :: v_dual_mov_b32 v6, v1
	;; [unrolled: 1-line block ×15, first 2 shown]
	v_mov_b32_e32 v33, v1
	s_wait_loadcnt 0x1
	v_cvt_f32_f16_e32 v2, v2
	s_wait_loadcnt 0x0
	v_cvt_f32_f16_e64 v172, v172
.LBB84_8:                               ;   in Loop: Header=BB84_3 Depth=1
	s_wait_alu 0xfffe
	s_or_b32 exec_lo, exec_lo, s3
	v_add_co_u32 v173, vcc_lo, v36, 1
	s_wait_alu 0xfffd
	v_add_co_ci_u32_e64 v174, null, 0, v37, vcc_lo
	s_delay_alu instid0(VALU_DEP_1) | instskip(SKIP_2) | instid1(SALU_CYCLE_1)
	v_cmp_gt_i64_e32 vcc_lo, s[4:5], v[173:174]
	v_dual_mov_b32 v173, 0 :: v_dual_mov_b32 v174, 0
	s_and_b32 s18, s2, vcc_lo
	s_and_saveexec_b32 s3, s18
	s_cbranch_execz .LBB84_10
; %bb.9:                                ;   in Loop: Header=BB84_3 Depth=1
	v_add_co_u32 v174, vcc_lo, v165, v34
	s_wait_alu 0xfffd
	v_add_co_ci_u32_e64 v175, null, v166, v35, vcc_lo
	v_add_co_u32 v176, vcc_lo, v167, v34
	s_wait_alu 0xfffd
	v_add_co_ci_u32_e64 v177, null, v168, v35, vcc_lo
	global_load_u16 v3, v[174:175], off
	global_load_u16 v174, v[176:177], off
	s_wait_loadcnt 0x1
	v_cvt_f32_f16_e32 v3, v3
	s_wait_loadcnt 0x0
	v_cvt_f32_f16_e64 v174, v174
.LBB84_10:                              ;   in Loop: Header=BB84_3 Depth=1
	s_wait_alu 0xfffe
	s_or_b32 exec_lo, exec_lo, s3
	v_add_co_u32 v175, vcc_lo, v36, 2
	s_wait_alu 0xfffd
	v_add_co_ci_u32_e64 v176, null, 0, v37, vcc_lo
	s_delay_alu instid0(VALU_DEP_1) | instskip(SKIP_1) | instid1(SALU_CYCLE_1)
	v_cmp_gt_i64_e32 vcc_lo, s[4:5], v[175:176]
	s_and_b32 s18, s2, vcc_lo
	s_and_saveexec_b32 s3, s18
	s_cbranch_execz .LBB84_12
; %bb.11:                               ;   in Loop: Header=BB84_3 Depth=1
	v_add_co_u32 v175, vcc_lo, v161, v34
	s_wait_alu 0xfffd
	v_add_co_ci_u32_e64 v176, null, v162, v35, vcc_lo
	v_add_co_u32 v177, vcc_lo, v163, v34
	s_wait_alu 0xfffd
	v_add_co_ci_u32_e64 v178, null, v164, v35, vcc_lo
	global_load_u16 v4, v[175:176], off
	global_load_u16 v173, v[177:178], off
	s_wait_loadcnt 0x1
	v_cvt_f32_f16_e32 v4, v4
	s_wait_loadcnt 0x0
	v_cvt_f32_f16_e64 v173, v173
.LBB84_12:                              ;   in Loop: Header=BB84_3 Depth=1
	s_wait_alu 0xfffe
	s_or_b32 exec_lo, exec_lo, s3
	v_add_co_u32 v175, vcc_lo, v36, 3
	s_wait_alu 0xfffd
	v_add_co_ci_u32_e64 v176, null, 0, v37, vcc_lo
	s_delay_alu instid0(VALU_DEP_1) | instskip(SKIP_2) | instid1(SALU_CYCLE_1)
	v_cmp_gt_i64_e32 vcc_lo, s[4:5], v[175:176]
	v_dual_mov_b32 v175, 0 :: v_dual_mov_b32 v176, 0
	s_and_b32 s18, s2, vcc_lo
	s_and_saveexec_b32 s3, s18
	s_cbranch_execz .LBB84_14
; %bb.13:                               ;   in Loop: Header=BB84_3 Depth=1
	v_add_co_u32 v176, vcc_lo, v157, v34
	s_wait_alu 0xfffd
	v_add_co_ci_u32_e64 v177, null, v158, v35, vcc_lo
	v_add_co_u32 v178, vcc_lo, v159, v34
	s_wait_alu 0xfffd
	v_add_co_ci_u32_e64 v179, null, v160, v35, vcc_lo
	global_load_u16 v5, v[176:177], off
	global_load_u16 v176, v[178:179], off
	s_wait_loadcnt 0x1
	v_cvt_f32_f16_e32 v5, v5
	s_wait_loadcnt 0x0
	v_cvt_f32_f16_e64 v176, v176
.LBB84_14:                              ;   in Loop: Header=BB84_3 Depth=1
	s_wait_alu 0xfffe
	s_or_b32 exec_lo, exec_lo, s3
	v_add_co_u32 v177, vcc_lo, v36, 4
	s_wait_alu 0xfffd
	v_add_co_ci_u32_e64 v178, null, 0, v37, vcc_lo
	s_delay_alu instid0(VALU_DEP_1) | instskip(SKIP_1) | instid1(SALU_CYCLE_1)
	v_cmp_gt_i64_e32 vcc_lo, s[4:5], v[177:178]
	s_and_b32 s18, s2, vcc_lo
	s_and_saveexec_b32 s3, s18
	s_cbranch_execz .LBB84_16
; %bb.15:                               ;   in Loop: Header=BB84_3 Depth=1
	v_add_co_u32 v177, vcc_lo, v153, v34
	s_wait_alu 0xfffd
	v_add_co_ci_u32_e64 v178, null, v154, v35, vcc_lo
	v_add_co_u32 v179, vcc_lo, v155, v34
	s_wait_alu 0xfffd
	v_add_co_ci_u32_e64 v180, null, v156, v35, vcc_lo
	global_load_u16 v6, v[177:178], off
	global_load_u16 v175, v[179:180], off
	s_wait_loadcnt 0x1
	v_cvt_f32_f16_e32 v6, v6
	s_wait_loadcnt 0x0
	v_cvt_f32_f16_e64 v175, v175
.LBB84_16:                              ;   in Loop: Header=BB84_3 Depth=1
	s_wait_alu 0xfffe
	s_or_b32 exec_lo, exec_lo, s3
	v_add_co_u32 v177, vcc_lo, v36, 5
	s_wait_alu 0xfffd
	v_add_co_ci_u32_e64 v178, null, 0, v37, vcc_lo
	s_delay_alu instid0(VALU_DEP_1) | instskip(SKIP_2) | instid1(SALU_CYCLE_1)
	v_cmp_gt_i64_e32 vcc_lo, s[4:5], v[177:178]
	v_dual_mov_b32 v177, 0 :: v_dual_mov_b32 v178, 0
	s_and_b32 s18, s2, vcc_lo
	s_and_saveexec_b32 s3, s18
	s_cbranch_execz .LBB84_18
; %bb.17:                               ;   in Loop: Header=BB84_3 Depth=1
	v_add_co_u32 v178, vcc_lo, v149, v34
	s_wait_alu 0xfffd
	v_add_co_ci_u32_e64 v179, null, v150, v35, vcc_lo
	v_add_co_u32 v180, vcc_lo, v151, v34
	s_wait_alu 0xfffd
	v_add_co_ci_u32_e64 v181, null, v152, v35, vcc_lo
	global_load_u16 v7, v[178:179], off
	global_load_u16 v178, v[180:181], off
	s_wait_loadcnt 0x1
	v_cvt_f32_f16_e32 v7, v7
	s_wait_loadcnt 0x0
	v_cvt_f32_f16_e64 v178, v178
.LBB84_18:                              ;   in Loop: Header=BB84_3 Depth=1
	;; [unrolled: 49-line block ×6, first 2 shown]
	s_wait_alu 0xfffe
	s_or_b32 exec_lo, exec_lo, s3
	v_add_co_u32 v187, vcc_lo, v36, 14
	s_wait_alu 0xfffd
	v_add_co_ci_u32_e64 v188, null, 0, v37, vcc_lo
	s_delay_alu instid0(VALU_DEP_1) | instskip(SKIP_1) | instid1(SALU_CYCLE_1)
	v_cmp_gt_i64_e32 vcc_lo, s[4:5], v[187:188]
	s_and_b32 s18, s2, vcc_lo
	s_and_saveexec_b32 s3, s18
	s_cbranch_execz .LBB84_36
; %bb.35:                               ;   in Loop: Header=BB84_3 Depth=1
	v_add_co_u32 v187, vcc_lo, v113, v34
	s_wait_alu 0xfffd
	v_add_co_ci_u32_e64 v188, null, v114, v35, vcc_lo
	v_add_co_u32 v189, vcc_lo, v115, v34
	s_wait_alu 0xfffd
	v_add_co_ci_u32_e64 v190, null, v116, v35, vcc_lo
	global_load_u16 v16, v[187:188], off
	global_load_u16 v185, v[189:190], off
	s_wait_loadcnt 0x1
	v_cvt_f32_f16_e32 v16, v16
	s_wait_loadcnt 0x0
	v_cvt_f32_f16_e64 v185, v185
.LBB84_36:                              ;   in Loop: Header=BB84_3 Depth=1
	s_wait_alu 0xfffe
	s_or_b32 exec_lo, exec_lo, s3
	v_add_co_u32 v187, vcc_lo, v36, 15
	s_wait_alu 0xfffd
	v_add_co_ci_u32_e64 v188, null, 0, v37, vcc_lo
	v_mov_b32_e32 v189, 0
	s_delay_alu instid0(VALU_DEP_2) | instskip(SKIP_2) | instid1(SALU_CYCLE_1)
	v_cmp_gt_i64_e32 vcc_lo, s[4:5], v[187:188]
	v_mov_b32_e32 v187, 0
	s_and_b32 s18, s2, vcc_lo
	s_and_saveexec_b32 s3, s18
	s_cbranch_execz .LBB84_38
; %bb.37:                               ;   in Loop: Header=BB84_3 Depth=1
	v_add_co_u32 v188, vcc_lo, v109, v34
	s_wait_alu 0xfffd
	v_add_co_ci_u32_e64 v189, null, v110, v35, vcc_lo
	v_add_co_u32 v190, vcc_lo, v111, v34
	s_wait_alu 0xfffd
	v_add_co_ci_u32_e64 v191, null, v112, v35, vcc_lo
	global_load_u16 v17, v[188:189], off
	global_load_u16 v188, v[190:191], off
	s_wait_loadcnt 0x1
	v_cvt_f32_f16_e32 v17, v17
	s_wait_loadcnt 0x0
	v_cvt_f32_f16_e64 v189, v188
.LBB84_38:                              ;   in Loop: Header=BB84_3 Depth=1
	s_wait_alu 0xfffe
	s_or_b32 exec_lo, exec_lo, s3
	v_add_co_u32 v190, vcc_lo, v36, 16
	s_wait_alu 0xfffd
	v_add_co_ci_u32_e64 v191, null, 0, v37, vcc_lo
	s_delay_alu instid0(VALU_DEP_1) | instskip(SKIP_1) | instid1(SALU_CYCLE_1)
	v_cmp_gt_i64_e32 vcc_lo, s[4:5], v[190:191]
	s_and_b32 s18, s2, vcc_lo
	s_and_saveexec_b32 s3, s18
	s_cbranch_execz .LBB84_40
; %bb.39:                               ;   in Loop: Header=BB84_3 Depth=1
	v_add_co_u32 v187, vcc_lo, v105, v34
	s_wait_alu 0xfffd
	v_add_co_ci_u32_e64 v188, null, v106, v35, vcc_lo
	v_add_co_u32 v190, vcc_lo, v107, v34
	s_wait_alu 0xfffd
	v_add_co_ci_u32_e64 v191, null, v108, v35, vcc_lo
	global_load_u16 v18, v[187:188], off
	global_load_u16 v187, v[190:191], off
	s_wait_loadcnt 0x1
	v_cvt_f32_f16_e32 v18, v18
	s_wait_loadcnt 0x0
	v_cvt_f32_f16_e64 v187, v187
.LBB84_40:                              ;   in Loop: Header=BB84_3 Depth=1
	s_wait_alu 0xfffe
	s_or_b32 exec_lo, exec_lo, s3
	v_add_co_u32 v190, vcc_lo, v36, 17
	s_wait_alu 0xfffd
	v_add_co_ci_u32_e64 v191, null, 0, v37, vcc_lo
	s_delay_alu instid0(VALU_DEP_1) | instskip(SKIP_2) | instid1(SALU_CYCLE_1)
	v_cmp_gt_i64_e32 vcc_lo, s[4:5], v[190:191]
	v_dual_mov_b32 v190, 0 :: v_dual_mov_b32 v191, 0
	s_and_b32 s18, s2, vcc_lo
	s_and_saveexec_b32 s3, s18
	s_cbranch_execz .LBB84_42
; %bb.41:                               ;   in Loop: Header=BB84_3 Depth=1
	v_add_co_u32 v191, vcc_lo, v101, v34
	s_wait_alu 0xfffd
	v_add_co_ci_u32_e64 v192, null, v102, v35, vcc_lo
	v_add_co_u32 v193, vcc_lo, v103, v34
	s_wait_alu 0xfffd
	v_add_co_ci_u32_e64 v194, null, v104, v35, vcc_lo
	global_load_u16 v19, v[191:192], off
	global_load_u16 v188, v[193:194], off
	s_wait_loadcnt 0x1
	v_cvt_f32_f16_e32 v19, v19
	s_wait_loadcnt 0x0
	v_cvt_f32_f16_e64 v191, v188
.LBB84_42:                              ;   in Loop: Header=BB84_3 Depth=1
	s_wait_alu 0xfffe
	s_or_b32 exec_lo, exec_lo, s3
	v_add_co_u32 v192, vcc_lo, v36, 18
	s_wait_alu 0xfffd
	v_add_co_ci_u32_e64 v193, null, 0, v37, vcc_lo
	s_delay_alu instid0(VALU_DEP_1) | instskip(SKIP_1) | instid1(SALU_CYCLE_1)
	v_cmp_gt_i64_e32 vcc_lo, s[4:5], v[192:193]
	s_and_b32 s18, s2, vcc_lo
	s_and_saveexec_b32 s3, s18
	s_cbranch_execz .LBB84_44
; %bb.43:                               ;   in Loop: Header=BB84_3 Depth=1
	v_add_co_u32 v192, vcc_lo, v97, v34
	s_wait_alu 0xfffd
	v_add_co_ci_u32_e64 v193, null, v98, v35, vcc_lo
	v_add_co_u32 v194, vcc_lo, v99, v34
	s_wait_alu 0xfffd
	v_add_co_ci_u32_e64 v195, null, v100, v35, vcc_lo
	global_load_u16 v20, v[192:193], off
	global_load_u16 v188, v[194:195], off
	s_wait_loadcnt 0x1
	v_cvt_f32_f16_e32 v20, v20
	s_wait_loadcnt 0x0
	v_cvt_f32_f16_e64 v190, v188
.LBB84_44:                              ;   in Loop: Header=BB84_3 Depth=1
	s_wait_alu 0xfffe
	s_or_b32 exec_lo, exec_lo, s3
	v_add_co_u32 v192, vcc_lo, v36, 19
	s_wait_alu 0xfffd
	v_add_co_ci_u32_e64 v193, null, 0, v37, vcc_lo
	s_delay_alu instid0(VALU_DEP_1) | instskip(SKIP_2) | instid1(SALU_CYCLE_1)
	v_cmp_gt_i64_e32 vcc_lo, s[4:5], v[192:193]
	v_dual_mov_b32 v192, 0 :: v_dual_mov_b32 v193, 0
	;; [unrolled: 49-line block ×5, first 2 shown]
	s_and_b32 s18, s2, vcc_lo
	s_and_saveexec_b32 s3, s18
	s_cbranch_execz .LBB84_58
; %bb.57:                               ;   in Loop: Header=BB84_3 Depth=1
	v_add_co_u32 v199, vcc_lo, v69, v34
	s_wait_alu 0xfffd
	v_add_co_ci_u32_e64 v200, null, v70, v35, vcc_lo
	v_add_co_u32 v202, vcc_lo, v71, v34
	s_wait_alu 0xfffd
	v_add_co_ci_u32_e64 v203, null, v72, v35, vcc_lo
	global_load_u16 v27, v[199:200], off
	global_load_u16 v188, v[202:203], off
	s_wait_loadcnt 0x1
	v_cvt_f32_f16_e32 v27, v27
	s_wait_loadcnt 0x0
	v_cvt_f32_f16_e64 v199, v188
.LBB84_58:                              ;   in Loop: Header=BB84_3 Depth=1
	s_wait_alu 0xfffe
	s_or_b32 exec_lo, exec_lo, s3
	v_add_co_u32 v202, vcc_lo, v36, 26
	s_wait_alu 0xfffd
	v_add_co_ci_u32_e64 v203, null, 0, v37, vcc_lo
	s_delay_alu instid0(VALU_DEP_1) | instskip(SKIP_1) | instid1(SALU_CYCLE_1)
	v_cmp_gt_i64_e32 vcc_lo, s[4:5], v[202:203]
	s_and_b32 s18, s2, vcc_lo
	s_and_saveexec_b32 s3, s18
	s_cbranch_execz .LBB84_60
; %bb.59:                               ;   in Loop: Header=BB84_3 Depth=1
	v_add_co_u32 v202, vcc_lo, v0, v34
	s_wait_alu 0xfffd
	v_add_co_ci_u32_e64 v203, null, v66, v35, vcc_lo
	v_add_co_u32 v204, vcc_lo, v67, v34
	s_wait_alu 0xfffd
	v_add_co_ci_u32_e64 v205, null, v68, v35, vcc_lo
	global_load_u16 v28, v[202:203], off
	global_load_u16 v188, v[204:205], off
	s_wait_loadcnt 0x1
	v_cvt_f32_f16_e32 v28, v28
	s_wait_loadcnt 0x0
	v_cvt_f32_f16_e64 v198, v188
.LBB84_60:                              ;   in Loop: Header=BB84_3 Depth=1
	s_wait_alu 0xfffe
	s_or_b32 exec_lo, exec_lo, s3
	v_add_co_u32 v202, vcc_lo, v36, 27
	s_wait_alu 0xfffd
	v_add_co_ci_u32_e64 v203, null, 0, v37, vcc_lo
	v_mov_b32_e32 v200, 0
	s_delay_alu instid0(VALU_DEP_2) | instskip(SKIP_2) | instid1(SALU_CYCLE_1)
	v_cmp_gt_i64_e32 vcc_lo, s[4:5], v[202:203]
	v_mov_b32_e32 v202, 0
	s_and_b32 s18, s2, vcc_lo
	s_and_saveexec_b32 s3, s18
	s_cbranch_execz .LBB84_62
; %bb.61:                               ;   in Loop: Header=BB84_3 Depth=1
	v_add_co_u32 v202, vcc_lo, v62, v34
	s_wait_alu 0xfffd
	v_add_co_ci_u32_e64 v203, null, v63, v35, vcc_lo
	v_add_co_u32 v204, vcc_lo, v64, v34
	s_wait_alu 0xfffd
	v_add_co_ci_u32_e64 v205, null, v65, v35, vcc_lo
	global_load_u16 v29, v[202:203], off
	global_load_u16 v188, v[204:205], off
	s_wait_loadcnt 0x1
	v_cvt_f32_f16_e32 v29, v29
	s_wait_loadcnt 0x0
	v_cvt_f32_f16_e64 v202, v188
.LBB84_62:                              ;   in Loop: Header=BB84_3 Depth=1
	s_wait_alu 0xfffe
	s_or_b32 exec_lo, exec_lo, s3
	v_add_co_u32 v203, vcc_lo, v36, 28
	s_wait_alu 0xfffd
	v_add_co_ci_u32_e64 v204, null, 0, v37, vcc_lo
	s_delay_alu instid0(VALU_DEP_1) | instskip(SKIP_1) | instid1(SALU_CYCLE_1)
	v_cmp_gt_i64_e32 vcc_lo, s[4:5], v[203:204]
	s_and_b32 s18, s2, vcc_lo
	s_and_saveexec_b32 s3, s18
	s_cbranch_execz .LBB84_64
; %bb.63:                               ;   in Loop: Header=BB84_3 Depth=1
	v_add_co_u32 v203, vcc_lo, v58, v34
	s_wait_alu 0xfffd
	v_add_co_ci_u32_e64 v204, null, v59, v35, vcc_lo
	v_add_co_u32 v205, vcc_lo, v60, v34
	s_wait_alu 0xfffd
	v_add_co_ci_u32_e64 v206, null, v61, v35, vcc_lo
	global_load_u16 v30, v[203:204], off
	global_load_u16 v188, v[205:206], off
	s_wait_loadcnt 0x1
	v_cvt_f32_f16_e32 v30, v30
	s_wait_loadcnt 0x0
	v_cvt_f32_f16_e64 v200, v188
.LBB84_64:                              ;   in Loop: Header=BB84_3 Depth=1
	s_wait_alu 0xfffe
	s_or_b32 exec_lo, exec_lo, s3
	v_add_co_u32 v203, vcc_lo, v36, 29
	s_wait_alu 0xfffd
	v_add_co_ci_u32_e64 v204, null, 0, v37, vcc_lo
	v_mov_b32_e32 v205, 0
	s_delay_alu instid0(VALU_DEP_2) | instskip(SKIP_2) | instid1(SALU_CYCLE_1)
	v_cmp_gt_i64_e32 vcc_lo, s[4:5], v[203:204]
	v_mov_b32_e32 v204, 0
	s_and_b32 s18, s2, vcc_lo
	s_and_saveexec_b32 s3, s18
	s_cbranch_execz .LBB84_66
; %bb.65:                               ;   in Loop: Header=BB84_3 Depth=1
	v_add_co_u32 v205, vcc_lo, v54, v34
	s_wait_alu 0xfffd
	v_add_co_ci_u32_e64 v206, null, v55, v35, vcc_lo
	v_add_co_u32 v207, vcc_lo, v56, v34
	s_wait_alu 0xfffd
	v_add_co_ci_u32_e64 v208, null, v57, v35, vcc_lo
	global_load_u16 v31, v[205:206], off
	global_load_u16 v188, v[207:208], off
	s_wait_loadcnt 0x1
	v_cvt_f32_f16_e32 v31, v31
	s_wait_loadcnt 0x0
	v_cvt_f32_f16_e64 v205, v188
.LBB84_66:                              ;   in Loop: Header=BB84_3 Depth=1
	s_wait_alu 0xfffe
	s_or_b32 exec_lo, exec_lo, s3
	v_add_co_u32 v206, vcc_lo, v36, 30
	s_wait_alu 0xfffd
	v_add_co_ci_u32_e64 v207, null, 0, v37, vcc_lo
	s_delay_alu instid0(VALU_DEP_1) | instskip(SKIP_1) | instid1(SALU_CYCLE_1)
	v_cmp_gt_i64_e32 vcc_lo, s[4:5], v[206:207]
	s_and_b32 s18, s2, vcc_lo
	s_and_saveexec_b32 s3, s18
	s_cbranch_execz .LBB84_68
; %bb.67:                               ;   in Loop: Header=BB84_3 Depth=1
	v_add_co_u32 v203, vcc_lo, v50, v34
	s_wait_alu 0xfffd
	v_add_co_ci_u32_e64 v204, null, v51, v35, vcc_lo
	v_add_co_u32 v206, vcc_lo, v52, v34
	s_wait_alu 0xfffd
	v_add_co_ci_u32_e64 v207, null, v53, v35, vcc_lo
	global_load_u16 v32, v[203:204], off
	global_load_u16 v188, v[206:207], off
	s_wait_loadcnt 0x1
	v_cvt_f32_f16_e32 v32, v32
	s_wait_loadcnt 0x0
	v_cvt_f32_f16_e64 v204, v188
.LBB84_68:                              ;   in Loop: Header=BB84_3 Depth=1
	s_wait_alu 0xfffe
	s_or_b32 exec_lo, exec_lo, s3
	v_add_co_u32 v206, vcc_lo, v36, 31
	s_wait_alu 0xfffd
	v_add_co_ci_u32_e64 v207, null, 0, v37, vcc_lo
	v_mov_b32_e32 v188, 0
	s_delay_alu instid0(VALU_DEP_2) | instskip(SKIP_1) | instid1(SALU_CYCLE_1)
	v_cmp_gt_i64_e32 vcc_lo, s[4:5], v[206:207]
	s_and_b32 s18, s2, vcc_lo
	s_and_saveexec_b32 s3, s18
	s_cbranch_execz .LBB84_70
; %bb.69:                               ;   in Loop: Header=BB84_3 Depth=1
	v_add_co_u32 v206, vcc_lo, v46, v34
	s_wait_alu 0xfffd
	v_add_co_ci_u32_e64 v207, null, v47, v35, vcc_lo
	v_add_co_u32 v208, vcc_lo, v48, v34
	s_wait_alu 0xfffd
	v_add_co_ci_u32_e64 v209, null, v49, v35, vcc_lo
	global_load_u16 v33, v[206:207], off
	global_load_u16 v188, v[208:209], off
	s_wait_loadcnt 0x1
	v_cvt_f32_f16_e32 v33, v33
	s_wait_loadcnt 0x0
	v_cvt_f32_f16_e64 v188, v188
.LBB84_70:                              ;   in Loop: Header=BB84_3 Depth=1
	s_wait_alu 0xfffe
	s_or_b32 exec_lo, exec_lo, s3
	s_wait_loadcnt 0x1
	ds_bpermute_b32 v203, v1, v170
	ds_bpermute_b32 v209, v1, v170 offset:4
	s_wait_loadcnt 0x0
	ds_bpermute_b32 v206, v1, v171
	ds_bpermute_b32 v211, v1, v170 offset:8
	ds_bpermute_b32 v208, v1, v171 offset:4
	;; [unrolled: 1-line block ×4, first 2 shown]
	v_add_f32_e32 v207, v201, v2
	ds_bpermute_b32 v210, v1, v171 offset:8
	ds_bpermute_b32 v221, v1, v170 offset:28
	;; [unrolled: 1-line block ×12, first 2 shown]
	s_wait_dscnt 0x12
	v_sub_f32_e32 v172, v172, v203
	s_wait_dscnt 0x11
	v_sub_f32_e32 v174, v174, v209
	ds_bpermute_b32 v209, v1, v170 offset:44
	s_wait_dscnt 0x10
	v_sub_f32_e32 v173, v173, v211
	ds_bpermute_b32 v222, v1, v171 offset:32
	v_mul_f32_e32 v2, v2, v172
	v_mul_f32_e32 v174, v3, v174
	v_add_f32_e32 v3, v3, v207
	v_mul_f32_e32 v173, v4, v173
	ds_bpermute_b32 v224, v1, v171 offset:36
	v_fma_f32 v203, v2, v206, v169
	s_wait_dscnt 0x10
	v_sub_f32_e32 v176, v176, v213
	v_add_f32_e32 v3, v4, v3
	ds_bpermute_b32 v226, v1, v171 offset:40
	ds_bpermute_b32 v172, v1, v171 offset:44
	s_wait_dscnt 0x11
	v_dual_fmac_f32 v203, v174, v208 :: v_dual_sub_f32 v4, v175, v215
	v_mul_f32_e32 v175, v5, v176
	ds_bpermute_b32 v174, v1, v170 offset:48
	ds_bpermute_b32 v2, v1, v171 offset:48
	s_wait_dscnt 0x11
	v_dual_fmac_f32 v203, v173, v210 :: v_dual_sub_f32 v176, v180, v221
	v_dual_mul_f32 v4, v6, v4 :: v_dual_add_f32 v3, v5, v3
	s_wait_dscnt 0xf
	v_sub_f32_e32 v5, v178, v217
	s_delay_alu instid0(VALU_DEP_3)
	v_fmac_f32_e32 v203, v175, v212
	ds_bpermute_b32 v175, v1, v170 offset:52
	v_dual_mul_f32 v176, v9, v176 :: v_dual_add_f32 v3, v6, v3
	s_wait_dscnt 0xf
	v_dual_sub_f32 v6, v177, v219 :: v_dual_mul_f32 v5, v7, v5
	ds_bpermute_b32 v173, v1, v171 offset:52
	s_mov_b32 s3, 0
	v_dual_add_f32 v3, v7, v3 :: v_dual_mul_f32 v6, v8, v6
	s_wait_dscnt 0xe
	s_delay_alu instid0(VALU_DEP_1)
	v_dual_add_f32 v3, v8, v3 :: v_dual_sub_f32 v8, v182, v225
	v_fmac_f32_e32 v203, v4, v214
	ds_bpermute_b32 v4, v1, v171 offset:56
	v_dual_add_f32 v3, v9, v3 :: v_dual_mul_f32 v8, v11, v8
	s_wait_dscnt 0xe
	v_fmac_f32_e32 v203, v5, v216
	ds_bpermute_b32 v5, v1, v170 offset:56
	ds_bpermute_b32 v9, v1, v170 offset:60
	v_add_f32_e32 v3, v10, v3
	s_delay_alu instid0(VALU_DEP_1)
	v_add_f32_e32 v3, v11, v3
	s_wait_dscnt 0x4
	v_dual_sub_f32 v11, v183, v174 :: v_dual_sub_f32 v174, v186, v175
	v_fmac_f32_e32 v203, v6, v218
	ds_bpermute_b32 v6, v1, v171 offset:60
	v_add_f32_e32 v3, v12, v3
	v_mul_f32_e32 v11, v14, v11
	v_dual_fmac_f32 v203, v176, v220 :: v_dual_sub_f32 v176, v181, v227
	v_sub_f32_e32 v7, v179, v223
	s_delay_alu instid0(VALU_DEP_4) | instskip(SKIP_1) | instid1(VALU_DEP_3)
	v_add_f32_e32 v3, v13, v3
	s_wait_dscnt 0x2
	v_dual_sub_f32 v5, v185, v5 :: v_dual_mul_f32 v176, v12, v176
	ds_bpermute_b32 v12, v1, v170 offset:68
	v_dual_mul_f32 v7, v10, v7 :: v_dual_sub_f32 v10, v184, v209
	s_wait_dscnt 0x2
	v_sub_f32_e32 v9, v189, v9
	v_mul_f32_e32 v5, v16, v5
	s_delay_alu instid0(VALU_DEP_3)
	v_fmac_f32_e32 v203, v7, v222
	v_mul_f32_e32 v10, v13, v10
	ds_bpermute_b32 v7, v1, v171 offset:64
	v_mul_f32_e32 v13, v15, v174
	v_mul_f32_e32 v9, v17, v9
	v_fmac_f32_e32 v203, v8, v224
	ds_bpermute_b32 v8, v1, v170 offset:64
	v_fmac_f32_e32 v203, v176, v226
	s_delay_alu instid0(VALU_DEP_1)
	v_fmac_f32_e32 v203, v10, v172
	ds_bpermute_b32 v10, v1, v170 offset:72
	v_fmac_f32_e32 v203, v11, v2
	ds_bpermute_b32 v2, v1, v171 offset:68
	ds_bpermute_b32 v11, v1, v171 offset:72
	v_fmac_f32_e32 v203, v13, v173
	ds_bpermute_b32 v13, v1, v170 offset:76
	v_fmac_f32_e32 v203, v5, v4
	s_wait_dscnt 0x4
	v_sub_f32_e32 v4, v187, v8
	ds_bpermute_b32 v5, v1, v170 offset:80
	v_dual_sub_f32 v8, v191, v12 :: v_dual_fmac_f32 v203, v9, v6
	v_mul_f32_e32 v4, v18, v4
	ds_bpermute_b32 v6, v1, v171 offset:76
	s_wait_dscnt 0x5
	v_dual_mul_f32 v8, v19, v8 :: v_dual_sub_f32 v9, v190, v10
	ds_bpermute_b32 v10, v1, v170 offset:84
	v_fmac_f32_e32 v203, v4, v7
	ds_bpermute_b32 v4, v1, v171 offset:80
	v_mul_f32_e32 v7, v20, v9
	ds_bpermute_b32 v9, v1, v171 offset:84
	s_wait_dscnt 0x7
	v_fmac_f32_e32 v203, v8, v2
	ds_bpermute_b32 v8, v1, v170 offset:88
	s_wait_dscnt 0x6
	v_dual_sub_f32 v2, v193, v13 :: v_dual_fmac_f32 v203, v7, v11
	ds_bpermute_b32 v7, v1, v170 offset:92
	s_wait_dscnt 0x6
	v_dual_mul_f32 v2, v21, v2 :: v_dual_sub_f32 v5, v192, v5
	ds_bpermute_b32 v11, v1, v171 offset:116
	s_wait_dscnt 0x6
	v_fmac_f32_e32 v203, v2, v6
	ds_bpermute_b32 v2, v1, v171 offset:88
	s_wait_dscnt 0x6
	v_dual_mul_f32 v5, v22, v5 :: v_dual_sub_f32 v6, v195, v10
	ds_bpermute_b32 v10, v1, v170 offset:96
	s_wait_dscnt 0x6
	v_fmac_f32_e32 v203, v5, v4
	ds_bpermute_b32 v4, v1, v171 offset:92
	s_wait_dscnt 0x5
	v_dual_mul_f32 v5, v23, v6 :: v_dual_sub_f32 v6, v194, v8
	ds_bpermute_b32 v8, v1, v170 offset:100
	v_fmac_f32_e32 v203, v5, v9
	ds_bpermute_b32 v5, v1, v171 offset:96
	s_wait_dscnt 0x6
	v_dual_mul_f32 v6, v24, v6 :: v_dual_sub_f32 v7, v197, v7
	ds_bpermute_b32 v9, v1, v170 offset:104
	s_wait_dscnt 0x5
	v_fmac_f32_e32 v203, v6, v2
	ds_bpermute_b32 v2, v1, v171 offset:100
	s_wait_dscnt 0x5
	v_dual_mul_f32 v6, v25, v7 :: v_dual_sub_f32 v7, v196, v10
	ds_bpermute_b32 v10, v1, v170 offset:108
	s_wait_dscnt 0x5
	v_fmac_f32_e32 v203, v6, v4
	v_mul_f32_e32 v4, v26, v7
	ds_bpermute_b32 v6, v1, v171 offset:104
	s_wait_dscnt 0x5
	v_sub_f32_e32 v7, v199, v8
	ds_bpermute_b32 v8, v1, v170 offset:112
	s_wait_dscnt 0x5
	v_fmac_f32_e32 v203, v4, v5
	v_mul_f32_e32 v5, v27, v7
	ds_bpermute_b32 v4, v1, v171 offset:108
	s_wait_dscnt 0x5
	v_sub_f32_e32 v7, v198, v9
	ds_bpermute_b32 v9, v1, v170 offset:116
	s_wait_dscnt 0x5
	v_dual_fmac_f32 v203, v5, v2 :: v_dual_mul_f32 v2, v28, v7
	ds_bpermute_b32 v5, v1, v171 offset:112
	s_wait_dscnt 0x5
	v_sub_f32_e32 v10, v202, v10
	ds_bpermute_b32 v7, v1, v170 offset:120
	s_wait_dscnt 0x5
	v_fmac_f32_e32 v203, v2, v6
	v_mul_f32_e32 v2, v29, v10
	s_wait_dscnt 0x4
	v_dual_sub_f32 v6, v200, v8 :: v_dual_add_f32 v3, v14, v3
	ds_bpermute_b32 v8, v1, v171 offset:120
	ds_bpermute_b32 v171, v1, v171 offset:124
	s_wait_dscnt 0x5
	v_fmac_f32_e32 v203, v2, v4
	v_dual_add_f32 v3, v15, v3 :: v_dual_mul_f32 v4, v30, v6
	s_wait_dscnt 0x4
	v_sub_f32_e32 v6, v205, v9
	ds_bpermute_b32 v2, v1, v170 offset:124
	v_add_f32_e32 v3, v16, v3
	s_wait_dscnt 0x4
	v_dual_fmac_f32 v203, v4, v5 :: v_dual_mul_f32 v4, v31, v6
	s_wait_dscnt 0x3
	v_sub_f32_e32 v5, v204, v7
	v_add_f32_e32 v3, v17, v3
	s_delay_alu instid0(VALU_DEP_3) | instskip(NEXT) | instid1(VALU_DEP_2)
	v_fmac_f32_e32 v203, v4, v11
	v_dual_mul_f32 v4, v32, v5 :: v_dual_add_f32 v3, v18, v3
	s_wait_dscnt 0x2
	s_delay_alu instid0(VALU_DEP_1) | instskip(NEXT) | instid1(VALU_DEP_2)
	v_fmac_f32_e32 v203, v4, v8
	v_add_f32_e32 v3, v19, v3
	s_delay_alu instid0(VALU_DEP_1) | instskip(NEXT) | instid1(VALU_DEP_1)
	v_add_f32_e32 v3, v20, v3
	v_add_f32_e32 v3, v21, v3
	s_delay_alu instid0(VALU_DEP_1) | instskip(NEXT) | instid1(VALU_DEP_1)
	v_add_f32_e32 v3, v22, v3
	;; [unrolled: 3-line block ×6, first 2 shown]
	v_add_f32_e32 v3, v31, v3
	s_delay_alu instid0(VALU_DEP_1)
	v_add_f32_e32 v3, v32, v3
.LBB84_71:                              ;   in Loop: Header=BB84_3 Depth=1
	s_wait_alu 0xfffe
	s_and_b32 vcc_lo, exec_lo, s3
	s_wait_alu 0xfffe
	s_cbranch_vccz .LBB84_137
; %bb.72:                               ;   in Loop: Header=BB84_3 Depth=1
	s_load_b32 s3, s[20:21], 0x0
	v_mov_b32_e32 v170, 0
	s_wait_kmcnt 0x0
	s_cmp_lt_u32 ttmp9, s3
	s_cselect_b32 s18, 12, 18
	s_delay_alu instid0(SALU_CYCLE_1)
	s_add_nc_u64 s[34:35], s[20:21], s[18:19]
	s_load_u16 s3, s[34:35], 0x0
	s_wait_dscnt 0x0
	s_wait_kmcnt 0x0
	v_mad_u32_u24 v2, v38, s3, v40
	s_mov_b32 s3, exec_lo
	s_delay_alu instid0(VALU_DEP_1) | instskip(NEXT) | instid1(VALU_DEP_1)
	v_and_b32_e32 v2, 31, v2
	v_add_co_u32 v2, vcc_lo, v36, v2
	s_wait_alu 0xfffd
	v_add_co_ci_u32_e64 v3, null, 0, v37, vcc_lo
	v_dual_mov_b32 v37, 0 :: v_dual_mov_b32 v36, 0
	s_delay_alu instid0(VALU_DEP_2)
	v_cmpx_gt_i64_e64 s[4:5], v[2:3]
	s_cbranch_execz .LBB84_74
; %bb.73:                               ;   in Loop: Header=BB84_3 Depth=1
	v_lshlrev_b64_e32 v[2:3], 2, v[2:3]
	s_delay_alu instid0(VALU_DEP_1) | instskip(SKIP_1) | instid1(VALU_DEP_2)
	v_add_co_u32 v4, vcc_lo, s12, v2
	s_wait_alu 0xfffd
	v_add_co_ci_u32_e64 v5, null, s13, v3, vcc_lo
	v_add_co_u32 v2, vcc_lo, s14, v2
	s_wait_alu 0xfffd
	v_add_co_ci_u32_e64 v3, null, s15, v3, vcc_lo
	global_load_b32 v36, v[4:5], off
	global_load_b32 v37, v[2:3], off
.LBB84_74:                              ;   in Loop: Header=BB84_3 Depth=1
	s_wait_alu 0xfffe
	s_or_b32 exec_lo, exec_lo, s3
	v_mov_b32_e32 v32, v1
	v_dual_mov_b32 v2, v1 :: v_dual_mov_b32 v3, v1
	v_dual_mov_b32 v4, v1 :: v_dual_mov_b32 v5, v1
	;; [unrolled: 1-line block ×15, first 2 shown]
	v_mov_b32_e32 v33, v32
	s_delay_alu instid0(VALU_DEP_2) | instskip(NEXT) | instid1(VALU_DEP_3)
	v_mov_b32_e32 v32, v31
	v_mov_b32_e32 v31, v30
	;; [unrolled: 1-line block ×31, first 2 shown]
	s_and_saveexec_b32 s3, s2
	s_cbranch_execz .LBB84_76
; %bb.75:                               ;   in Loop: Header=BB84_3 Depth=1
	v_add_co_u32 v2, vcc_lo, v42, v34
	s_wait_alu 0xfffd
	v_add_co_ci_u32_e64 v3, null, v43, v35, vcc_lo
	v_add_co_u32 v4, vcc_lo, v44, v34
	s_wait_alu 0xfffd
	v_add_co_ci_u32_e64 v5, null, v45, v35, vcc_lo
	global_load_u16 v2, v[2:3], off
	global_load_u16 v170, v[4:5], off
	v_dual_mov_b32 v3, v1 :: v_dual_mov_b32 v4, v1
	v_dual_mov_b32 v5, v1 :: v_dual_mov_b32 v6, v1
	;; [unrolled: 1-line block ×15, first 2 shown]
	v_mov_b32_e32 v33, v1
	s_wait_loadcnt 0x1
	v_cvt_f32_f16_e32 v2, v2
	s_wait_loadcnt 0x0
	v_cvt_f32_f16_e64 v170, v170
.LBB84_76:                              ;   in Loop: Header=BB84_3 Depth=1
	s_wait_alu 0xfffe
	s_or_b32 exec_lo, exec_lo, s3
	v_dual_mov_b32 v171, 0 :: v_dual_mov_b32 v172, 0
	s_and_saveexec_b32 s3, s2
	s_cbranch_execz .LBB84_78
; %bb.77:                               ;   in Loop: Header=BB84_3 Depth=1
	v_add_co_u32 v172, vcc_lo, v165, v34
	s_wait_alu 0xfffd
	v_add_co_ci_u32_e64 v173, null, v166, v35, vcc_lo
	v_add_co_u32 v174, vcc_lo, v167, v34
	s_wait_alu 0xfffd
	v_add_co_ci_u32_e64 v175, null, v168, v35, vcc_lo
	global_load_u16 v3, v[172:173], off
	global_load_u16 v172, v[174:175], off
	s_wait_loadcnt 0x1
	v_cvt_f32_f16_e32 v3, v3
	s_wait_loadcnt 0x0
	v_cvt_f32_f16_e64 v172, v172
.LBB84_78:                              ;   in Loop: Header=BB84_3 Depth=1
	s_wait_alu 0xfffe
	s_or_b32 exec_lo, exec_lo, s3
	s_and_saveexec_b32 s3, s2
	s_cbranch_execz .LBB84_80
; %bb.79:                               ;   in Loop: Header=BB84_3 Depth=1
	v_add_co_u32 v173, vcc_lo, v161, v34
	s_wait_alu 0xfffd
	v_add_co_ci_u32_e64 v174, null, v162, v35, vcc_lo
	v_add_co_u32 v175, vcc_lo, v163, v34
	s_wait_alu 0xfffd
	v_add_co_ci_u32_e64 v176, null, v164, v35, vcc_lo
	global_load_u16 v4, v[173:174], off
	global_load_u16 v171, v[175:176], off
	s_wait_loadcnt 0x1
	v_cvt_f32_f16_e32 v4, v4
	s_wait_loadcnt 0x0
	v_cvt_f32_f16_e64 v171, v171
.LBB84_80:                              ;   in Loop: Header=BB84_3 Depth=1
	s_wait_alu 0xfffe
	s_or_b32 exec_lo, exec_lo, s3
	v_dual_mov_b32 v173, 0 :: v_dual_mov_b32 v174, 0
	s_and_saveexec_b32 s3, s2
	s_cbranch_execz .LBB84_82
; %bb.81:                               ;   in Loop: Header=BB84_3 Depth=1
	v_add_co_u32 v174, vcc_lo, v157, v34
	s_wait_alu 0xfffd
	v_add_co_ci_u32_e64 v175, null, v158, v35, vcc_lo
	v_add_co_u32 v176, vcc_lo, v159, v34
	s_wait_alu 0xfffd
	v_add_co_ci_u32_e64 v177, null, v160, v35, vcc_lo
	global_load_u16 v5, v[174:175], off
	global_load_u16 v174, v[176:177], off
	s_wait_loadcnt 0x1
	v_cvt_f32_f16_e32 v5, v5
	s_wait_loadcnt 0x0
	v_cvt_f32_f16_e64 v174, v174
.LBB84_82:                              ;   in Loop: Header=BB84_3 Depth=1
	s_wait_alu 0xfffe
	s_or_b32 exec_lo, exec_lo, s3
	s_and_saveexec_b32 s3, s2
	s_cbranch_execz .LBB84_84
; %bb.83:                               ;   in Loop: Header=BB84_3 Depth=1
	v_add_co_u32 v175, vcc_lo, v153, v34
	s_wait_alu 0xfffd
	v_add_co_ci_u32_e64 v176, null, v154, v35, vcc_lo
	v_add_co_u32 v177, vcc_lo, v155, v34
	s_wait_alu 0xfffd
	v_add_co_ci_u32_e64 v178, null, v156, v35, vcc_lo
	global_load_u16 v6, v[175:176], off
	global_load_u16 v173, v[177:178], off
	s_wait_loadcnt 0x1
	v_cvt_f32_f16_e32 v6, v6
	s_wait_loadcnt 0x0
	v_cvt_f32_f16_e64 v173, v173
.LBB84_84:                              ;   in Loop: Header=BB84_3 Depth=1
	;; [unrolled: 37-line block ×5, first 2 shown]
	s_wait_alu 0xfffe
	s_or_b32 exec_lo, exec_lo, s3
	v_dual_mov_b32 v181, 0 :: v_dual_mov_b32 v182, 0
	s_and_saveexec_b32 s3, s2
	s_cbranch_execz .LBB84_98
; %bb.97:                               ;   in Loop: Header=BB84_3 Depth=1
	v_add_co_u32 v182, vcc_lo, v125, v34
	s_wait_alu 0xfffd
	v_add_co_ci_u32_e64 v183, null, v126, v35, vcc_lo
	v_add_co_u32 v184, vcc_lo, v127, v34
	s_wait_alu 0xfffd
	v_add_co_ci_u32_e64 v185, null, v128, v35, vcc_lo
	global_load_u16 v13, v[182:183], off
	global_load_u16 v182, v[184:185], off
	s_wait_loadcnt 0x1
	v_cvt_f32_f16_e32 v13, v13
	s_wait_loadcnt 0x0
	v_cvt_f32_f16_e64 v182, v182
.LBB84_98:                              ;   in Loop: Header=BB84_3 Depth=1
	s_wait_alu 0xfffe
	s_or_b32 exec_lo, exec_lo, s3
	s_and_saveexec_b32 s3, s2
	s_cbranch_execz .LBB84_100
; %bb.99:                               ;   in Loop: Header=BB84_3 Depth=1
	v_add_co_u32 v183, vcc_lo, v121, v34
	s_wait_alu 0xfffd
	v_add_co_ci_u32_e64 v184, null, v122, v35, vcc_lo
	v_add_co_u32 v185, vcc_lo, v123, v34
	s_wait_alu 0xfffd
	v_add_co_ci_u32_e64 v186, null, v124, v35, vcc_lo
	global_load_u16 v14, v[183:184], off
	global_load_u16 v181, v[185:186], off
	s_wait_loadcnt 0x1
	v_cvt_f32_f16_e32 v14, v14
	s_wait_loadcnt 0x0
	v_cvt_f32_f16_e64 v181, v181
.LBB84_100:                             ;   in Loop: Header=BB84_3 Depth=1
	s_wait_alu 0xfffe
	s_or_b32 exec_lo, exec_lo, s3
	v_dual_mov_b32 v183, 0 :: v_dual_mov_b32 v184, 0
	s_and_saveexec_b32 s3, s2
	s_cbranch_execz .LBB84_102
; %bb.101:                              ;   in Loop: Header=BB84_3 Depth=1
	v_add_co_u32 v184, vcc_lo, v117, v34
	s_wait_alu 0xfffd
	v_add_co_ci_u32_e64 v185, null, v118, v35, vcc_lo
	v_add_co_u32 v186, vcc_lo, v119, v34
	s_wait_alu 0xfffd
	v_add_co_ci_u32_e64 v187, null, v120, v35, vcc_lo
	global_load_u16 v15, v[184:185], off
	global_load_u16 v184, v[186:187], off
	s_wait_loadcnt 0x1
	v_cvt_f32_f16_e32 v15, v15
	s_wait_loadcnt 0x0
	v_cvt_f32_f16_e64 v184, v184
.LBB84_102:                             ;   in Loop: Header=BB84_3 Depth=1
	s_wait_alu 0xfffe
	s_or_b32 exec_lo, exec_lo, s3
	s_and_saveexec_b32 s3, s2
	s_cbranch_execz .LBB84_104
; %bb.103:                              ;   in Loop: Header=BB84_3 Depth=1
	v_add_co_u32 v185, vcc_lo, v113, v34
	s_wait_alu 0xfffd
	v_add_co_ci_u32_e64 v186, null, v114, v35, vcc_lo
	v_add_co_u32 v187, vcc_lo, v115, v34
	s_wait_alu 0xfffd
	v_add_co_ci_u32_e64 v188, null, v116, v35, vcc_lo
	global_load_u16 v16, v[185:186], off
	global_load_u16 v183, v[187:188], off
	s_wait_loadcnt 0x1
	v_cvt_f32_f16_e32 v16, v16
	s_wait_loadcnt 0x0
	v_cvt_f32_f16_e64 v183, v183
.LBB84_104:                             ;   in Loop: Header=BB84_3 Depth=1
	s_wait_alu 0xfffe
	s_or_b32 exec_lo, exec_lo, s3
	v_dual_mov_b32 v185, 0 :: v_dual_mov_b32 v186, 0
	s_and_saveexec_b32 s3, s2
	s_cbranch_execz .LBB84_106
; %bb.105:                              ;   in Loop: Header=BB84_3 Depth=1
	v_add_co_u32 v186, vcc_lo, v109, v34
	s_wait_alu 0xfffd
	v_add_co_ci_u32_e64 v187, null, v110, v35, vcc_lo
	v_add_co_u32 v188, vcc_lo, v111, v34
	s_wait_alu 0xfffd
	v_add_co_ci_u32_e64 v189, null, v112, v35, vcc_lo
	global_load_u16 v17, v[186:187], off
	global_load_u16 v186, v[188:189], off
	s_wait_loadcnt 0x1
	v_cvt_f32_f16_e32 v17, v17
	s_wait_loadcnt 0x0
	v_cvt_f32_f16_e64 v186, v186
.LBB84_106:                             ;   in Loop: Header=BB84_3 Depth=1
	s_wait_alu 0xfffe
	s_or_b32 exec_lo, exec_lo, s3
	s_and_saveexec_b32 s3, s2
	s_cbranch_execz .LBB84_108
; %bb.107:                              ;   in Loop: Header=BB84_3 Depth=1
	v_add_co_u32 v187, vcc_lo, v105, v34
	s_wait_alu 0xfffd
	v_add_co_ci_u32_e64 v188, null, v106, v35, vcc_lo
	v_add_co_u32 v189, vcc_lo, v107, v34
	s_wait_alu 0xfffd
	v_add_co_ci_u32_e64 v190, null, v108, v35, vcc_lo
	global_load_u16 v18, v[187:188], off
	global_load_u16 v185, v[189:190], off
	s_wait_loadcnt 0x1
	v_cvt_f32_f16_e32 v18, v18
	s_wait_loadcnt 0x0
	v_cvt_f32_f16_e64 v185, v185
.LBB84_108:                             ;   in Loop: Header=BB84_3 Depth=1
	s_wait_alu 0xfffe
	s_or_b32 exec_lo, exec_lo, s3
	v_mov_b32_e32 v187, 0
	v_mov_b32_e32 v189, 0
	s_and_saveexec_b32 s3, s2
	s_cbranch_execz .LBB84_110
; %bb.109:                              ;   in Loop: Header=BB84_3 Depth=1
	v_add_co_u32 v188, vcc_lo, v101, v34
	s_wait_alu 0xfffd
	v_add_co_ci_u32_e64 v189, null, v102, v35, vcc_lo
	v_add_co_u32 v190, vcc_lo, v103, v34
	s_wait_alu 0xfffd
	v_add_co_ci_u32_e64 v191, null, v104, v35, vcc_lo
	global_load_u16 v19, v[188:189], off
	global_load_u16 v188, v[190:191], off
	s_wait_loadcnt 0x1
	v_cvt_f32_f16_e32 v19, v19
	s_wait_loadcnt 0x0
	v_cvt_f32_f16_e64 v189, v188
.LBB84_110:                             ;   in Loop: Header=BB84_3 Depth=1
	s_wait_alu 0xfffe
	s_or_b32 exec_lo, exec_lo, s3
	s_and_saveexec_b32 s3, s2
	s_cbranch_execz .LBB84_112
; %bb.111:                              ;   in Loop: Header=BB84_3 Depth=1
	v_add_co_u32 v187, vcc_lo, v97, v34
	s_wait_alu 0xfffd
	v_add_co_ci_u32_e64 v188, null, v98, v35, vcc_lo
	v_add_co_u32 v190, vcc_lo, v99, v34
	s_wait_alu 0xfffd
	v_add_co_ci_u32_e64 v191, null, v100, v35, vcc_lo
	global_load_u16 v20, v[187:188], off
	global_load_u16 v187, v[190:191], off
	s_wait_loadcnt 0x1
	v_cvt_f32_f16_e32 v20, v20
	s_wait_loadcnt 0x0
	v_cvt_f32_f16_e64 v187, v187
.LBB84_112:                             ;   in Loop: Header=BB84_3 Depth=1
	s_wait_alu 0xfffe
	s_or_b32 exec_lo, exec_lo, s3
	v_dual_mov_b32 v190, 0 :: v_dual_mov_b32 v191, 0
	s_and_saveexec_b32 s3, s2
	s_cbranch_execz .LBB84_114
; %bb.113:                              ;   in Loop: Header=BB84_3 Depth=1
	v_add_co_u32 v191, vcc_lo, v93, v34
	s_wait_alu 0xfffd
	v_add_co_ci_u32_e64 v192, null, v94, v35, vcc_lo
	v_add_co_u32 v193, vcc_lo, v95, v34
	s_wait_alu 0xfffd
	v_add_co_ci_u32_e64 v194, null, v96, v35, vcc_lo
	global_load_u16 v21, v[191:192], off
	global_load_u16 v188, v[193:194], off
	s_wait_loadcnt 0x1
	v_cvt_f32_f16_e32 v21, v21
	s_wait_loadcnt 0x0
	v_cvt_f32_f16_e64 v191, v188
.LBB84_114:                             ;   in Loop: Header=BB84_3 Depth=1
	s_wait_alu 0xfffe
	s_or_b32 exec_lo, exec_lo, s3
	s_and_saveexec_b32 s3, s2
	s_cbranch_execz .LBB84_116
; %bb.115:                              ;   in Loop: Header=BB84_3 Depth=1
	v_add_co_u32 v192, vcc_lo, v89, v34
	s_wait_alu 0xfffd
	v_add_co_ci_u32_e64 v193, null, v90, v35, vcc_lo
	v_add_co_u32 v194, vcc_lo, v91, v34
	s_wait_alu 0xfffd
	v_add_co_ci_u32_e64 v195, null, v92, v35, vcc_lo
	global_load_u16 v22, v[192:193], off
	global_load_u16 v188, v[194:195], off
	s_wait_loadcnt 0x1
	v_cvt_f32_f16_e32 v22, v22
	s_wait_loadcnt 0x0
	v_cvt_f32_f16_e64 v190, v188
.LBB84_116:                             ;   in Loop: Header=BB84_3 Depth=1
	s_wait_alu 0xfffe
	s_or_b32 exec_lo, exec_lo, s3
	v_dual_mov_b32 v192, 0 :: v_dual_mov_b32 v193, 0
	;; [unrolled: 37-line block ×5, first 2 shown]
	s_and_saveexec_b32 s3, s2
	s_cbranch_execz .LBB84_130
; %bb.129:                              ;   in Loop: Header=BB84_3 Depth=1
	v_add_co_u32 v199, vcc_lo, v62, v34
	s_wait_alu 0xfffd
	v_add_co_ci_u32_e64 v200, null, v63, v35, vcc_lo
	v_add_co_u32 v202, vcc_lo, v64, v34
	s_wait_alu 0xfffd
	v_add_co_ci_u32_e64 v203, null, v65, v35, vcc_lo
	global_load_u16 v29, v[199:200], off
	global_load_u16 v188, v[202:203], off
	s_wait_loadcnt 0x1
	v_cvt_f32_f16_e32 v29, v29
	s_wait_loadcnt 0x0
	v_cvt_f32_f16_e64 v199, v188
.LBB84_130:                             ;   in Loop: Header=BB84_3 Depth=1
	s_wait_alu 0xfffe
	s_or_b32 exec_lo, exec_lo, s3
	s_and_saveexec_b32 s3, s2
	s_cbranch_execz .LBB84_132
; %bb.131:                              ;   in Loop: Header=BB84_3 Depth=1
	v_add_co_u32 v202, vcc_lo, v58, v34
	s_wait_alu 0xfffd
	v_add_co_ci_u32_e64 v203, null, v59, v35, vcc_lo
	v_add_co_u32 v204, vcc_lo, v60, v34
	s_wait_alu 0xfffd
	v_add_co_ci_u32_e64 v205, null, v61, v35, vcc_lo
	global_load_u16 v30, v[202:203], off
	global_load_u16 v188, v[204:205], off
	s_wait_loadcnt 0x1
	v_cvt_f32_f16_e32 v30, v30
	s_wait_loadcnt 0x0
	v_cvt_f32_f16_e64 v198, v188
.LBB84_132:                             ;   in Loop: Header=BB84_3 Depth=1
	s_wait_alu 0xfffe
	s_or_b32 exec_lo, exec_lo, s3
	v_mov_b32_e32 v200, 0
	v_mov_b32_e32 v202, 0
	s_and_saveexec_b32 s3, s2
	s_cbranch_execnz .LBB84_139
; %bb.133:                              ;   in Loop: Header=BB84_3 Depth=1
	s_wait_alu 0xfffe
	s_or_b32 exec_lo, exec_lo, s3
	s_and_saveexec_b32 s3, s2
	s_cbranch_execnz .LBB84_140
.LBB84_134:                             ;   in Loop: Header=BB84_3 Depth=1
	s_wait_alu 0xfffe
	s_or_b32 exec_lo, exec_lo, s3
	v_mov_b32_e32 v188, 0
	s_and_saveexec_b32 s3, s2
	s_cbranch_execz .LBB84_136
.LBB84_135:                             ;   in Loop: Header=BB84_3 Depth=1
	v_add_co_u32 v203, vcc_lo, v46, v34
	s_wait_alu 0xfffd
	v_add_co_ci_u32_e64 v204, null, v47, v35, vcc_lo
	v_add_co_u32 v205, vcc_lo, v48, v34
	s_wait_alu 0xfffd
	v_add_co_ci_u32_e64 v206, null, v49, v35, vcc_lo
	global_load_u16 v33, v[203:204], off
	global_load_u16 v188, v[205:206], off
	s_wait_loadcnt 0x1
	v_cvt_f32_f16_e32 v33, v33
	s_wait_loadcnt 0x0
	v_cvt_f32_f16_e64 v188, v188
.LBB84_136:                             ;   in Loop: Header=BB84_3 Depth=1
	s_wait_alu 0xfffe
	s_or_b32 exec_lo, exec_lo, s3
	s_wait_loadcnt 0x1
	ds_bpermute_b32 v203, v1, v36
	ds_bpermute_b32 v206, v1, v36 offset:4
	ds_bpermute_b32 v208, v1, v36 offset:8
	ds_bpermute_b32 v212, v1, v36 offset:16
	s_wait_loadcnt 0x0
	ds_bpermute_b32 v204, v1, v37
	v_add_f32_e32 v201, v201, v2
	ds_bpermute_b32 v216, v1, v36 offset:24
	ds_bpermute_b32 v205, v1, v37 offset:4
	;; [unrolled: 1-line block ×14, first 2 shown]
	s_wait_dscnt 0x12
	v_sub_f32_e32 v170, v170, v203
	s_wait_dscnt 0x10
	v_dual_sub_f32 v172, v172, v206 :: v_dual_sub_f32 v171, v171, v208
	ds_bpermute_b32 v203, v1, v36 offset:36
	ds_bpermute_b32 v206, v1, v36 offset:44
	v_mul_f32_e32 v2, v2, v170
	v_dual_mul_f32 v172, v3, v172 :: v_dual_mul_f32 v171, v4, v171
	v_add_f32_e32 v3, v3, v201
	ds_bpermute_b32 v221, v1, v37 offset:36
	ds_bpermute_b32 v222, v1, v37 offset:40
	;; [unrolled: 1-line block ×3, first 2 shown]
	s_wait_dscnt 0x14
	v_dual_add_f32 v3, v4, v3 :: v_dual_sub_f32 v4, v173, v212
	s_delay_alu instid0(VALU_DEP_1) | instskip(SKIP_1) | instid1(VALU_DEP_1)
	v_dual_add_f32 v3, v5, v3 :: v_dual_mul_f32 v4, v6, v4
	s_wait_dscnt 0x12
	v_dual_add_f32 v3, v6, v3 :: v_dual_sub_f32 v6, v175, v216
	v_fmac_f32_e32 v169, v2, v204
	ds_bpermute_b32 v2, v1, v37 offset:48
	v_dual_add_f32 v3, v7, v3 :: v_dual_mul_f32 v6, v8, v6
	s_wait_dscnt 0x11
	v_dual_sub_f32 v174, v174, v210 :: v_dual_fmac_f32 v169, v172, v205
	ds_bpermute_b32 v172, v1, v36 offset:48
	v_add_f32_e32 v3, v8, v3
	s_wait_dscnt 0x6
	v_dual_sub_f32 v8, v180, v203 :: v_dual_mul_f32 v173, v5, v174
	v_dual_fmac_f32 v169, v171, v207 :: v_dual_sub_f32 v174, v178, v218
	v_sub_f32_e32 v5, v176, v214
	s_delay_alu instid0(VALU_DEP_3) | instskip(NEXT) | instid1(VALU_DEP_3)
	v_dual_add_f32 v3, v9, v3 :: v_dual_mul_f32 v8, v11, v8
	v_fmac_f32_e32 v169, v173, v209
	ds_bpermute_b32 v173, v1, v36 offset:52
	v_dual_mul_f32 v5, v7, v5 :: v_dual_mul_f32 v174, v9, v174
	v_sub_f32_e32 v7, v177, v220
	v_fmac_f32_e32 v169, v4, v211
	v_add_f32_e32 v3, v10, v3
	ds_bpermute_b32 v171, v1, v37 offset:52
	ds_bpermute_b32 v9, v1, v36 offset:60
	;; [unrolled: 1-line block ×3, first 2 shown]
	v_add_f32_e32 v3, v11, v3
	s_wait_dscnt 0x4
	v_sub_f32_e32 v11, v181, v172
	s_delay_alu instid0(VALU_DEP_2) | instskip(SKIP_1) | instid1(VALU_DEP_2)
	v_add_f32_e32 v3, v12, v3
	s_wait_dscnt 0x3
	v_dual_mul_f32 v11, v14, v11 :: v_dual_sub_f32 v172, v184, v173
	v_mul_f32_e32 v7, v10, v7
	v_dual_sub_f32 v10, v182, v206 :: v_dual_fmac_f32 v169, v5, v213
	ds_bpermute_b32 v5, v1, v36 offset:56
	v_add_f32_e32 v3, v13, v3
	v_dual_mul_f32 v10, v13, v10 :: v_dual_fmac_f32 v169, v6, v215
	ds_bpermute_b32 v6, v1, v37 offset:60
	v_mul_f32_e32 v13, v15, v172
	s_wait_dscnt 0x3
	v_sub_f32_e32 v9, v186, v9
	v_add_f32_e32 v3, v14, v3
	v_dual_fmac_f32 v169, v174, v217 :: v_dual_sub_f32 v174, v179, v223
	s_delay_alu instid0(VALU_DEP_3) | instskip(NEXT) | instid1(VALU_DEP_3)
	v_mul_f32_e32 v9, v17, v9
	v_add_f32_e32 v3, v15, v3
	s_delay_alu instid0(VALU_DEP_3)
	v_dual_fmac_f32 v169, v7, v219 :: v_dual_mul_f32 v174, v12, v174
	ds_bpermute_b32 v12, v1, v36 offset:68
	ds_bpermute_b32 v7, v1, v37 offset:64
	v_add_f32_e32 v3, v16, v3
	v_fmac_f32_e32 v169, v8, v221
	ds_bpermute_b32 v8, v1, v36 offset:64
	s_wait_dscnt 0x4
	v_sub_f32_e32 v5, v183, v5
	v_add_f32_e32 v3, v17, v3
	v_fmac_f32_e32 v169, v174, v222
	s_delay_alu instid0(VALU_DEP_3) | instskip(NEXT) | instid1(VALU_DEP_3)
	v_mul_f32_e32 v5, v16, v5
	v_add_f32_e32 v3, v18, v3
	s_delay_alu instid0(VALU_DEP_3)
	v_fmac_f32_e32 v169, v10, v170
	ds_bpermute_b32 v10, v1, v36 offset:72
	v_add_f32_e32 v3, v19, v3
	v_fmac_f32_e32 v169, v11, v2
	ds_bpermute_b32 v2, v1, v37 offset:68
	ds_bpermute_b32 v11, v1, v37 offset:72
	v_add_f32_e32 v3, v20, v3
	v_fmac_f32_e32 v169, v13, v171
	ds_bpermute_b32 v13, v1, v36 offset:76
	ds_bpermute_b32 v171, v1, v37 offset:124
	v_add_f32_e32 v3, v21, v3
	v_fmac_f32_e32 v169, v5, v4
	s_wait_dscnt 0x5
	v_sub_f32_e32 v4, v185, v8
	ds_bpermute_b32 v8, v1, v36 offset:80
	v_sub_f32_e32 v5, v189, v12
	v_add_f32_e32 v3, v22, v3
	v_dual_fmac_f32 v169, v9, v6 :: v_dual_mul_f32 v4, v18, v4
	ds_bpermute_b32 v6, v1, v37 offset:76
	s_wait_dscnt 0x6
	v_sub_f32_e32 v9, v187, v10
	ds_bpermute_b32 v10, v1, v36 offset:84
	v_mul_f32_e32 v5, v19, v5
	v_fmac_f32_e32 v169, v4, v7
	ds_bpermute_b32 v4, v1, v37 offset:80
	v_mul_f32_e32 v7, v20, v9
	ds_bpermute_b32 v9, v1, v37 offset:84
	v_add_f32_e32 v3, v23, v3
	s_wait_dscnt 0x8
	v_fmac_f32_e32 v169, v5, v2
	ds_bpermute_b32 v2, v1, v36 offset:88
	s_wait_dscnt 0x7
	v_sub_f32_e32 v5, v191, v13
	v_add_f32_e32 v3, v24, v3
	v_fmac_f32_e32 v169, v7, v11
	ds_bpermute_b32 v7, v1, v36 offset:92
	s_wait_dscnt 0x6
	v_dual_mul_f32 v5, v21, v5 :: v_dual_sub_f32 v8, v190, v8
	v_add_f32_e32 v3, v25, v3
	s_wait_dscnt 0x5
	s_delay_alu instid0(VALU_DEP_2)
	v_fmac_f32_e32 v169, v5, v6
	ds_bpermute_b32 v5, v1, v37 offset:88
	v_mul_f32_e32 v6, v22, v8
	s_wait_dscnt 0x5
	v_sub_f32_e32 v8, v193, v10
	ds_bpermute_b32 v10, v1, v36 offset:96
	v_add_f32_e32 v3, v26, v3
	s_wait_dscnt 0x5
	v_fmac_f32_e32 v169, v6, v4
	ds_bpermute_b32 v4, v1, v37 offset:92
	v_mul_f32_e32 v6, v23, v8
	s_wait_dscnt 0x4
	v_sub_f32_e32 v2, v192, v2
	ds_bpermute_b32 v8, v1, v36 offset:100
	v_add_f32_e32 v3, v27, v3
	v_fmac_f32_e32 v169, v6, v9
	ds_bpermute_b32 v6, v1, v37 offset:96
	s_wait_dscnt 0x5
	v_dual_mul_f32 v2, v24, v2 :: v_dual_sub_f32 v7, v195, v7
	ds_bpermute_b32 v9, v1, v36 offset:104
	v_add_f32_e32 v3, v28, v3
	s_wait_dscnt 0x5
	v_fmac_f32_e32 v169, v2, v5
	ds_bpermute_b32 v2, v1, v37 offset:100
	v_mul_f32_e32 v5, v25, v7
	s_wait_dscnt 0x5
	v_sub_f32_e32 v7, v194, v10
	ds_bpermute_b32 v10, v1, v36 offset:108
	v_add_f32_e32 v3, v29, v3
	s_wait_dscnt 0x5
	v_dual_fmac_f32 v169, v5, v4 :: v_dual_mul_f32 v4, v26, v7
	ds_bpermute_b32 v5, v1, v37 offset:104
	s_wait_dscnt 0x5
	v_sub_f32_e32 v7, v197, v8
	ds_bpermute_b32 v8, v1, v36 offset:112
	v_add_f32_e32 v3, v30, v3
	s_wait_dscnt 0x5
	v_fmac_f32_e32 v169, v4, v6
	ds_bpermute_b32 v6, v1, v37 offset:108
	s_wait_dscnt 0x5
	v_dual_mul_f32 v4, v27, v7 :: v_dual_sub_f32 v7, v196, v9
	ds_bpermute_b32 v9, v1, v36 offset:116
	v_add_f32_e32 v3, v31, v3
	s_wait_dscnt 0x5
	v_fmac_f32_e32 v169, v4, v2
	v_mul_f32_e32 v2, v28, v7
	ds_bpermute_b32 v4, v1, v37 offset:112
	s_wait_dscnt 0x5
	v_sub_f32_e32 v7, v199, v10
	ds_bpermute_b32 v10, v1, v36 offset:120
	v_add_f32_e32 v3, v32, v3
	s_wait_dscnt 0x5
	v_dual_fmac_f32 v169, v2, v5 :: v_dual_mul_f32 v2, v29, v7
	ds_bpermute_b32 v5, v1, v37 offset:116
	s_wait_dscnt 0x5
	v_sub_f32_e32 v7, v198, v8
	s_wait_dscnt 0x4
	v_fmac_f32_e32 v169, v2, v6
	ds_bpermute_b32 v6, v1, v37 offset:120
	v_mul_f32_e32 v2, v30, v7
	s_wait_dscnt 0x4
	v_sub_f32_e32 v7, v202, v9
	s_wait_dscnt 0x3
	s_delay_alu instid0(VALU_DEP_1)
	v_dual_fmac_f32 v169, v2, v4 :: v_dual_mul_f32 v4, v31, v7
	s_wait_dscnt 0x2
	v_sub_f32_e32 v7, v200, v10
	ds_bpermute_b32 v2, v1, v36 offset:124
	s_wait_dscnt 0x2
	v_fmac_f32_e32 v169, v4, v5
	v_mul_f32_e32 v4, v32, v7
	s_wait_dscnt 0x1
	s_delay_alu instid0(VALU_DEP_1) | instskip(NEXT) | instid1(VALU_DEP_1)
	v_fmac_f32_e32 v169, v4, v6
	v_mov_b32_e32 v203, v169
.LBB84_137:                             ;   in Loop: Header=BB84_3 Depth=1
	v_add_co_u32 v42, vcc_lo, v42, s24
	s_wait_alu 0xfffd
	v_add_co_ci_u32_e64 v43, null, s25, v43, vcc_lo
	v_add_co_u32 v44, vcc_lo, v44, s24
	s_wait_alu 0xfffd
	v_add_co_ci_u32_e64 v45, null, s25, v45, vcc_lo
	;; [unrolled: 3-line block ×59, first 2 shown]
	v_add_co_u32 v159, vcc_lo, v159, s24
	s_wait_dscnt 0x0
	v_dual_sub_f32 v2, v188, v2 :: v_dual_add_f32 v201, v3, v33
	s_wait_alu 0xfffd
	v_add_co_ci_u32_e64 v160, null, s25, v160, vcc_lo
	v_add_co_u32 v161, vcc_lo, v161, s24
	s_wait_alu 0xfffd
	v_add_co_ci_u32_e64 v162, null, s25, v162, vcc_lo
	v_add_co_u32 v163, vcc_lo, v163, s24
	;; [unrolled: 3-line block ×3, first 2 shown]
	s_add_nc_u64 s[28:29], s[28:29], s[22:23]
	v_mul_f32_e32 v2, v33, v2
	s_wait_alu 0xfffd
	v_add_co_ci_u32_e64 v166, null, s25, v166, vcc_lo
	v_add_co_u32 v167, vcc_lo, v167, s24
	s_wait_alu 0xfffe
	v_cmp_lt_i64_e64 s3, s[28:29], s[4:5]
	s_wait_alu 0xfffd
	v_add_co_ci_u32_e64 v168, null, s25, v168, vcc_lo
	v_add_co_u32 v39, vcc_lo, v39, s22
	v_fmac_f32_e32 v203, v2, v171
	s_wait_alu 0xfffd
	v_add_co_ci_u32_e64 v41, null, 0, v41, vcc_lo
	s_and_b32 vcc_lo, exec_lo, s3
	s_add_nc_u64 s[26:27], s[26:27], s[22:23]
	s_wait_alu 0xfffe
	s_cbranch_vccz .LBB84_142
; %bb.138:                              ;   in Loop: Header=BB84_3 Depth=1
	v_mov_b32_e32 v169, v203
	s_branch .LBB84_3
.LBB84_139:                             ;   in Loop: Header=BB84_3 Depth=1
	v_add_co_u32 v202, vcc_lo, v54, v34
	s_wait_alu 0xfffd
	v_add_co_ci_u32_e64 v203, null, v55, v35, vcc_lo
	v_add_co_u32 v204, vcc_lo, v56, v34
	s_wait_alu 0xfffd
	v_add_co_ci_u32_e64 v205, null, v57, v35, vcc_lo
	global_load_u16 v31, v[202:203], off
	global_load_u16 v188, v[204:205], off
	s_wait_loadcnt 0x1
	v_cvt_f32_f16_e32 v31, v31
	s_wait_loadcnt 0x0
	v_cvt_f32_f16_e64 v202, v188
	s_wait_alu 0xfffe
	s_or_b32 exec_lo, exec_lo, s3
	s_and_saveexec_b32 s3, s2
	s_cbranch_execz .LBB84_134
.LBB84_140:                             ;   in Loop: Header=BB84_3 Depth=1
	v_add_co_u32 v203, vcc_lo, v50, v34
	s_wait_alu 0xfffd
	v_add_co_ci_u32_e64 v204, null, v51, v35, vcc_lo
	v_add_co_u32 v205, vcc_lo, v52, v34
	s_wait_alu 0xfffd
	v_add_co_ci_u32_e64 v206, null, v53, v35, vcc_lo
	global_load_u16 v32, v[203:204], off
	global_load_u16 v188, v[205:206], off
	s_wait_loadcnt 0x1
	v_cvt_f32_f16_e32 v32, v32
	s_wait_loadcnt 0x0
	v_cvt_f32_f16_e64 v200, v188
	s_wait_alu 0xfffe
	s_or_b32 exec_lo, exec_lo, s3
	v_mov_b32_e32 v188, 0
	s_and_saveexec_b32 s3, s2
	s_cbranch_execnz .LBB84_135
	s_branch .LBB84_136
.LBB84_141:
                                        ; implicit-def: $vgpr203
                                        ; implicit-def: $vgpr201
	s_branch .LBB84_143
.LBB84_142:
	s_cbranch_execnz .LBB84_220
.LBB84_143:
	v_mov_b32_e32 v203, 0
	v_mov_b32_e32 v201, 0
	s_and_not1_b32 vcc_lo, exec_lo, s31
	s_wait_alu 0xfffe
	s_cbranch_vccnz .LBB84_220
; %bb.144:
	v_bfe_u32 v0, v228, 10, 10
	s_lshl_b64 s[2:3], s[16:17], 1
	s_mov_b64 s[20:21], 31
	s_mov_b64 s[22:23], s[16:17]
	s_delay_alu instid0(VALU_DEP_1)
	v_dual_mov_b32 v238, 0 :: v_dual_lshlrev_b32 v1, 6, v0
	v_lshlrev_b32_e32 v2, 5, v0
	s_clause 0x1
	scratch_store_b32 off, v0, off offset:296
	scratch_store_b32 off, v228, off offset:304
	v_mov_b32_e32 v205, 0
	s_wait_alu 0xfffe
	v_add_co_u32 v3, s2, v1, s2
	v_add_co_u32 v0, s18, v2, s16
	s_delay_alu instid0(VALU_DEP_1)
	v_add_co_ci_u32_e64 v9, null, 0, 0, s18
	scratch_store_b32 off, v2, off          ; 4-byte Folded Spill
	v_mul_lo_u32 v5, s7, v0
	v_mad_co_u64_u32 v[1:2], null, s6, v0, 0
	v_mul_lo_u32 v6, s6, v9
	s_wait_alu 0xf1ff
	v_add_co_ci_u32_e64 v4, null, 0, s3, s2
	v_add_co_u32 v7, vcc_lo, v3, 2
	s_load_b32 s2, s[0:1], 0x44
	v_add_co_ci_u32_e64 v8, null, 0, v4, vcc_lo
	v_add_co_u32 v11, vcc_lo, v3, 4
	s_wait_alu 0xfffd
	v_add_co_ci_u32_e64 v12, null, 0, v4, vcc_lo
	v_add3_u32 v2, v2, v6, v5
	v_add_co_u32 v5, vcc_lo, v3, 6
	s_wait_alu 0xfffd
	v_add_co_ci_u32_e64 v6, null, 0, v4, vcc_lo
	v_add_co_u32 v14, vcc_lo, v3, 8
	s_wait_alu 0xfffd
	v_add_co_ci_u32_e64 v16, null, 0, v4, vcc_lo
	v_mad_co_u64_u32 v[34:35], null, s6, v7, s[8:9]
	v_mul_lo_u32 v10, s7, v7
	v_mul_lo_u32 v8, s6, v8
	v_mad_co_u64_u32 v[42:43], null, s6, v7, s[10:11]
	v_mad_co_u64_u32 v[40:41], null, s6, v14, s[8:9]
	v_mul_lo_u32 v16, s6, v16
	v_mul_lo_u32 v7, s7, v14
	v_mad_co_u64_u32 v[50:51], null, s6, v14, s[10:11]
	v_add_co_u32 v17, vcc_lo, v3, 10
	v_mad_co_u64_u32 v[38:39], null, s6, v5, s[8:9]
	v_mul_lo_u32 v15, s7, v5
	s_wait_alu 0xfffd
	v_add_co_ci_u32_e64 v18, null, 0, v4, vcc_lo
	v_mad_co_u64_u32 v[48:49], null, s6, v5, s[10:11]
	v_add_co_u32 v5, vcc_lo, v3, 12
	v_mul_lo_u32 v6, s6, v6
	v_add3_u32 v35, v10, v35, v8
	v_add3_u32 v43, v10, v43, v8
	s_wait_alu 0xfffd
	v_add_co_ci_u32_e64 v8, null, 0, v4, vcc_lo
	v_mad_co_u64_u32 v[52:53], null, s6, v5, s[8:9]
	v_add3_u32 v41, v7, v41, v16
	v_add3_u32 v51, v7, v51, v16
	v_mul_lo_u32 v7, s7, v5
	v_mad_co_u64_u32 v[56:57], null, s6, v5, s[10:11]
	v_add_co_u32 v5, vcc_lo, v3, 14
	v_add3_u32 v39, v15, v39, v6
	v_add3_u32 v49, v15, v49, v6
	v_mul_lo_u32 v6, s6, v8
	s_wait_alu 0xfffd
	v_add_co_ci_u32_e64 v8, null, 0, v4, vcc_lo
	v_mad_co_u64_u32 v[58:59], null, s6, v5, s[8:9]
	v_mul_lo_u32 v10, s7, v5
	v_mad_co_u64_u32 v[60:61], null, s6, v5, s[10:11]
	v_add_co_u32 v5, vcc_lo, v3, 16
	v_mad_co_u64_u32 v[36:37], null, s6, v11, s[8:9]
	v_mul_lo_u32 v13, s7, v11
	v_mad_co_u64_u32 v[46:47], null, s6, v11, s[10:11]
	s_wait_alu 0xfffd
	v_add_co_ci_u32_e64 v11, null, 0, v4, vcc_lo
	v_add3_u32 v53, v7, v53, v6
	v_add3_u32 v57, v7, v57, v6
	v_mul_lo_u32 v7, s7, v5
	s_delay_alu instid0(VALU_DEP_4)
	v_mul_lo_u32 v6, s6, v11
	v_mad_co_u64_u32 v[62:63], null, s6, v5, s[8:9]
	v_mad_co_u64_u32 v[64:65], null, s6, v5, s[10:11]
	v_add_co_u32 v5, vcc_lo, v3, 18
	v_mul_lo_u32 v8, s6, v8
	v_mul_lo_u32 v12, s6, v12
	v_add3_u32 v63, v7, v63, v6
	s_delay_alu instid0(VALU_DEP_4)
	v_mad_co_u64_u32 v[66:67], null, s6, v5, s[8:9]
	v_add3_u32 v65, v7, v65, v6
	s_wait_alu 0xfffd
	v_add_co_ci_u32_e64 v6, null, 0, v4, vcc_lo
	v_mul_lo_u32 v7, s7, v5
	v_mad_co_u64_u32 v[68:69], null, s6, v5, s[10:11]
	s_delay_alu instid0(VALU_DEP_3) | instskip(SKIP_4) | instid1(VALU_DEP_4)
	v_mul_lo_u32 v6, s6, v6
	v_add_co_u32 v5, vcc_lo, v3, 20
	v_add3_u32 v59, v10, v59, v8
	v_add3_u32 v61, v10, v61, v8
	;; [unrolled: 1-line block ×3, first 2 shown]
	v_mad_co_u64_u32 v[70:71], null, s6, v5, s[8:9]
	v_add3_u32 v67, v7, v67, v6
	v_add3_u32 v69, v7, v69, v6
	s_wait_alu 0xfffd
	v_add_co_ci_u32_e64 v6, null, 0, v4, vcc_lo
	v_mul_lo_u32 v7, s7, v5
	v_mad_co_u64_u32 v[72:73], null, s6, v5, s[10:11]
	s_delay_alu instid0(VALU_DEP_3) | instskip(SKIP_3) | instid1(VALU_DEP_3)
	v_mul_lo_u32 v6, s6, v6
	v_add_co_u32 v5, vcc_lo, v3, 22
	v_add3_u32 v47, v13, v47, v12
	v_mad_co_u64_u32 v[44:45], null, s6, v17, s[8:9]
	v_mad_co_u64_u32 v[74:75], null, s6, v5, s[8:9]
	v_add3_u32 v71, v7, v71, v6
	v_add3_u32 v73, v7, v73, v6
	s_wait_alu 0xfffd
	v_add_co_ci_u32_e64 v6, null, 0, v4, vcc_lo
	v_mul_lo_u32 v7, s7, v5
	v_mad_co_u64_u32 v[76:77], null, s6, v5, s[10:11]
	s_delay_alu instid0(VALU_DEP_3) | instskip(SKIP_3) | instid1(VALU_DEP_3)
	v_mul_lo_u32 v6, s6, v6
	v_add_co_u32 v5, vcc_lo, v3, 24
	v_mul_lo_u32 v19, s7, v17
	v_mad_co_u64_u32 v[54:55], null, s6, v17, s[10:11]
	v_mad_co_u64_u32 v[78:79], null, s6, v5, s[8:9]
	v_add3_u32 v75, v7, v75, v6
	v_add3_u32 v77, v7, v77, v6
	s_wait_alu 0xfffd
	v_add_co_ci_u32_e64 v6, null, 0, v4, vcc_lo
	v_mul_lo_u32 v7, s7, v5
	v_mad_co_u64_u32 v[80:81], null, s6, v5, s[10:11]
	s_delay_alu instid0(VALU_DEP_3) | instskip(SKIP_3) | instid1(VALU_DEP_2)
	v_mul_lo_u32 v6, s6, v6
	v_add_co_u32 v5, vcc_lo, v3, 26
	v_mul_lo_u32 v18, s6, v18
	s_mov_b32 s3, 0
	v_mad_co_u64_u32 v[82:83], null, s6, v5, s[8:9]
	s_delay_alu instid0(VALU_DEP_4)
	v_add3_u32 v79, v7, v79, v6
	v_add3_u32 v81, v7, v81, v6
	s_wait_alu 0xfffd
	v_add_co_ci_u32_e64 v6, null, 0, v4, vcc_lo
	v_mul_lo_u32 v7, s7, v5
	v_mad_co_u64_u32 v[84:85], null, s6, v5, s[10:11]
	s_delay_alu instid0(VALU_DEP_3) | instskip(SKIP_3) | instid1(VALU_DEP_3)
	v_mul_lo_u32 v6, s6, v6
	v_add_co_u32 v5, vcc_lo, v3, 28
	v_add3_u32 v45, v19, v45, v18
	v_add3_u32 v55, v19, v55, v18
	v_mad_co_u64_u32 v[86:87], null, s6, v5, s[8:9]
	v_add3_u32 v83, v7, v83, v6
	v_add3_u32 v85, v7, v85, v6
	s_wait_alu 0xfffd
	v_add_co_ci_u32_e64 v6, null, 0, v4, vcc_lo
	v_mul_lo_u32 v7, s7, v5
	v_mad_co_u64_u32 v[88:89], null, s6, v5, s[10:11]
	s_delay_alu instid0(VALU_DEP_3) | instskip(SKIP_1) | instid1(VALU_DEP_1)
	v_mul_lo_u32 v6, s6, v6
	v_add_co_u32 v5, vcc_lo, v3, 30
	v_mad_co_u64_u32 v[90:91], null, s6, v5, s[8:9]
	s_delay_alu instid0(VALU_DEP_3)
	v_add3_u32 v87, v7, v87, v6
	v_add3_u32 v89, v7, v89, v6
	s_wait_alu 0xfffd
	v_add_co_ci_u32_e64 v6, null, 0, v4, vcc_lo
	v_mul_lo_u32 v7, s7, v5
	v_mad_co_u64_u32 v[92:93], null, s6, v5, s[10:11]
	s_delay_alu instid0(VALU_DEP_3) | instskip(SKIP_1) | instid1(VALU_DEP_1)
	v_mul_lo_u32 v6, s6, v6
	v_add_co_u32 v5, vcc_lo, v3, 32
	v_mad_co_u64_u32 v[94:95], null, s6, v5, s[8:9]
	s_delay_alu instid0(VALU_DEP_3)
	;; [unrolled: 11-line block ×16, first 2 shown]
	v_add3_u32 v147, v7, v147, v6
	v_add3_u32 v149, v7, v149, v6
	s_wait_alu 0xfffd
	v_add_co_ci_u32_e64 v6, null, 0, v4, vcc_lo
	v_add_co_u32 v3, vcc_lo, v3, 62
	s_wait_alu 0xfffd
	v_add_co_ci_u32_e64 v4, null, 0, v4, vcc_lo
	v_mul_lo_u32 v7, s7, v5
	v_mad_co_u64_u32 v[152:153], null, s6, v5, s[10:11]
	s_delay_alu instid0(VALU_DEP_3)
	v_mul_lo_u32 v4, s6, v4
	v_mul_lo_u32 v5, s7, v3
	v_mad_co_u64_u32 v[154:155], null, s6, v3, s[8:9]
	v_mad_co_u64_u32 v[156:157], null, s6, v3, s[10:11]
	v_mul_lo_u32 v6, s6, v6
	v_add_co_u32 v3, vcc_lo, v0, 31
	s_delay_alu instid0(VALU_DEP_4) | instskip(NEXT) | instid1(VALU_DEP_4)
	v_add3_u32 v155, v5, v155, v4
	v_add3_u32 v157, v5, v157, v4
	s_wait_alu 0xfffd
	v_add_co_ci_u32_e64 v4, null, 0, v9, vcc_lo
	v_add3_u32 v151, v7, v151, v6
	v_add3_u32 v153, v7, v153, v6
	v_mul_lo_u32 v6, s7, v3
	s_delay_alu instid0(VALU_DEP_4) | instskip(SKIP_1) | instid1(VALU_DEP_1)
	v_mul_lo_u32 v5, s6, v4
	v_mad_co_u64_u32 v[3:4], null, s6, v3, 0
	v_add3_u32 v4, v4, v5, v6
	v_add_co_u32 v5, vcc_lo, v0, 30
	s_wait_alu 0xfffd
	v_add_co_ci_u32_e64 v6, null, 0, v9, vcc_lo
	s_delay_alu instid0(VALU_DEP_2) | instskip(NEXT) | instid1(VALU_DEP_2)
	v_mul_lo_u32 v8, s7, v5
	v_mul_lo_u32 v7, s6, v6
	v_mad_co_u64_u32 v[5:6], null, s6, v5, 0
	s_delay_alu instid0(VALU_DEP_1) | instskip(SKIP_3) | instid1(VALU_DEP_2)
	v_add3_u32 v6, v6, v7, v8
	v_add_co_u32 v7, vcc_lo, v0, 29
	s_wait_alu 0xfffd
	v_add_co_ci_u32_e64 v8, null, 0, v9, vcc_lo
	v_mul_lo_u32 v11, s7, v7
	s_delay_alu instid0(VALU_DEP_2) | instskip(SKIP_1) | instid1(VALU_DEP_1)
	v_mul_lo_u32 v10, s6, v8
	v_mad_co_u64_u32 v[7:8], null, s6, v7, 0
	v_add3_u32 v8, v8, v10, v11
	v_add_co_u32 v10, vcc_lo, v0, 28
	s_wait_alu 0xfffd
	v_add_co_ci_u32_e64 v11, null, 0, v9, vcc_lo
	s_delay_alu instid0(VALU_DEP_2) | instskip(NEXT) | instid1(VALU_DEP_2)
	v_mul_lo_u32 v13, s7, v10
	v_mul_lo_u32 v12, s6, v11
	v_mad_co_u64_u32 v[10:11], null, s6, v10, 0
	s_delay_alu instid0(VALU_DEP_1) | instskip(SKIP_3) | instid1(VALU_DEP_2)
	v_add3_u32 v11, v11, v12, v13
	v_add_co_u32 v12, vcc_lo, v0, 27
	s_wait_alu 0xfffd
	v_add_co_ci_u32_e64 v13, null, 0, v9, vcc_lo
	v_mul_lo_u32 v15, s7, v12
	s_delay_alu instid0(VALU_DEP_2) | instskip(SKIP_1) | instid1(VALU_DEP_1)
	;; [unrolled: 17-line block ×8, first 2 shown]
	v_mul_lo_u32 v162, s6, v161
	v_mad_co_u64_u32 v[160:161], null, s6, v160, 0
	v_add3_u32 v161, v161, v162, v163
	v_add_co_u32 v162, vcc_lo, v0, 14
	s_wait_alu 0xfffd
	v_add_co_ci_u32_e64 v163, null, 0, v9, vcc_lo
	s_delay_alu instid0(VALU_DEP_2) | instskip(NEXT) | instid1(VALU_DEP_2)
	v_mul_lo_u32 v165, s7, v162
	v_mul_lo_u32 v164, s6, v163
	v_mad_co_u64_u32 v[162:163], null, s6, v162, 0
	s_delay_alu instid0(VALU_DEP_1) | instskip(SKIP_3) | instid1(VALU_DEP_2)
	v_add3_u32 v163, v163, v164, v165
	v_add_co_u32 v164, vcc_lo, v0, 13
	s_wait_alu 0xfffd
	v_add_co_ci_u32_e64 v165, null, 0, v9, vcc_lo
	v_mul_lo_u32 v166, s7, v164
	v_mad_co_u64_u32 v[168:169], null, s6, v164, 0
	s_delay_alu instid0(VALU_DEP_3) | instskip(SKIP_1) | instid1(VALU_DEP_1)
	v_mul_lo_u32 v165, s6, v165
	v_add_co_u32 v164, vcc_lo, v0, 12
	v_mad_co_u64_u32 v[170:171], null, s6, v164, 0
	s_delay_alu instid0(VALU_DEP_3) | instskip(SKIP_4) | instid1(VALU_DEP_3)
	v_add3_u32 v169, v169, v165, v166
	s_wait_alu 0xfffd
	v_add_co_ci_u32_e64 v165, null, 0, v9, vcc_lo
	v_mul_lo_u32 v166, s7, v164
	v_add_co_u32 v164, vcc_lo, v0, 11
	v_mul_lo_u32 v165, s6, v165
	s_delay_alu instid0(VALU_DEP_2) | instskip(NEXT) | instid1(VALU_DEP_2)
	v_mad_co_u64_u32 v[172:173], null, s6, v164, 0
	v_add3_u32 v171, v171, v165, v166
	s_wait_alu 0xfffd
	v_add_co_ci_u32_e64 v165, null, 0, v9, vcc_lo
	v_mul_lo_u32 v166, s7, v164
	v_add_co_u32 v164, vcc_lo, v0, 10
	s_delay_alu instid0(VALU_DEP_3) | instskip(NEXT) | instid1(VALU_DEP_2)
	v_mul_lo_u32 v165, s6, v165
	v_mad_co_u64_u32 v[174:175], null, s6, v164, 0
	s_delay_alu instid0(VALU_DEP_2) | instskip(SKIP_4) | instid1(VALU_DEP_3)
	v_add3_u32 v173, v173, v165, v166
	s_wait_alu 0xfffd
	v_add_co_ci_u32_e64 v165, null, 0, v9, vcc_lo
	v_mul_lo_u32 v166, s7, v164
	v_add_co_u32 v164, vcc_lo, v0, 9
	v_mul_lo_u32 v165, s6, v165
	s_delay_alu instid0(VALU_DEP_2) | instskip(NEXT) | instid1(VALU_DEP_2)
	v_mad_co_u64_u32 v[176:177], null, s6, v164, 0
	v_add3_u32 v175, v175, v165, v166
	s_wait_alu 0xfffd
	v_add_co_ci_u32_e64 v165, null, 0, v9, vcc_lo
	v_mul_lo_u32 v166, s7, v164
	v_add_co_u32 v164, vcc_lo, v0, 8
	s_delay_alu instid0(VALU_DEP_3) | instskip(NEXT) | instid1(VALU_DEP_2)
	v_mul_lo_u32 v165, s6, v165
	v_mad_co_u64_u32 v[178:179], null, s6, v164, 0
	s_delay_alu instid0(VALU_DEP_2) | instskip(SKIP_4) | instid1(VALU_DEP_3)
	;; [unrolled: 17-line block ×4, first 2 shown]
	v_add3_u32 v185, v185, v165, v166
	s_wait_alu 0xfffd
	v_add_co_ci_u32_e64 v165, null, 0, v9, vcc_lo
	v_mul_lo_u32 v166, s7, v164
	v_add_co_u32 v164, vcc_lo, v0, 3
	v_mul_lo_u32 v165, s6, v165
	s_delay_alu instid0(VALU_DEP_2) | instskip(NEXT) | instid1(VALU_DEP_2)
	v_mad_co_u64_u32 v[189:190], null, s6, v164, 0
	v_add3_u32 v187, v187, v165, v166
	s_wait_alu 0xfffd
	v_add_co_ci_u32_e64 v165, null, 0, v9, vcc_lo
	v_add_co_u32 v0, vcc_lo, v0, 2
	s_wait_alu 0xfffd
	v_add_co_ci_u32_e64 v9, null, 0, v9, vcc_lo
	v_mul_lo_u32 v166, s7, v164
	s_delay_alu instid0(VALU_DEP_3) | instskip(SKIP_1) | instid1(VALU_DEP_4)
	v_mul_lo_u32 v164, s7, v0
	v_mad_co_u64_u32 v[193:194], null, s6, v0, 0
	v_mul_lo_u32 v9, s6, v9
	v_mul_lo_u32 v165, s6, v165
	v_add_co_u32 v197, vcc_lo, v1, s6
	v_lshlrev_b64_e32 v[0:1], 1, v[1:2]
	s_wait_alu 0xfffd
	v_add_co_ci_u32_e64 v198, null, s7, v2, vcc_lo
	v_add3_u32 v194, v194, v9, v164
	v_add3_u32 v190, v190, v165, v166
	s_delay_alu instid0(VALU_DEP_4)
	v_add_co_u32 v164, vcc_lo, s8, v0
	s_wait_alu 0xfffd
	v_add_co_ci_u32_e64 v165, null, s9, v1, vcc_lo
	v_add_co_u32 v166, vcc_lo, s10, v0
	s_wait_alu 0xfffd
	v_add_co_ci_u32_e64 v167, null, s11, v1, vcc_lo
	v_lshlrev_b64_e32 v[0:1], 1, v[3:4]
	s_delay_alu instid0(VALU_DEP_1)
	v_add_co_u32 v2, vcc_lo, s8, v0
	scratch_store_b32 off, v2, off offset:4 ; 4-byte Folded Spill
	s_wait_alu 0xfffd
	v_add_co_ci_u32_e64 v2, null, s9, v1, vcc_lo
	v_add_co_u32 v0, vcc_lo, s10, v0
	s_clause 0x1
	scratch_store_b32 off, v2, off offset:8
	scratch_store_b32 off, v0, off offset:12
	s_wait_alu 0xfffd
	v_add_co_ci_u32_e64 v0, null, s11, v1, vcc_lo
	scratch_store_b32 off, v0, off offset:16 ; 4-byte Folded Spill
	v_lshlrev_b64_e32 v[0:1], 1, v[5:6]
	s_delay_alu instid0(VALU_DEP_1)
	v_add_co_u32 v2, vcc_lo, s8, v0
	scratch_store_b32 off, v2, off offset:20 ; 4-byte Folded Spill
	s_wait_alu 0xfffd
	v_add_co_ci_u32_e64 v2, null, s9, v1, vcc_lo
	v_add_co_u32 v0, vcc_lo, s10, v0
	s_clause 0x1
	scratch_store_b32 off, v2, off offset:24
	scratch_store_b32 off, v0, off offset:28
	s_wait_alu 0xfffd
	v_add_co_ci_u32_e64 v0, null, s11, v1, vcc_lo
	scratch_store_b32 off, v0, off offset:32 ; 4-byte Folded Spill
	;; [unrolled: 13-line block ×18, first 2 shown]
	v_lshlrev_b64_e32 v[0:1], 1, v[168:169]
	s_delay_alu instid0(VALU_DEP_1) | instskip(SKIP_1) | instid1(VALU_DEP_2)
	v_add_co_u32 v240, vcc_lo, s8, v0
	s_wait_alu 0xfffd
	v_add_co_ci_u32_e64 v241, null, s9, v1, vcc_lo
	v_add_co_u32 v242, vcc_lo, s10, v0
	s_wait_alu 0xfffd
	v_add_co_ci_u32_e64 v243, null, s11, v1, vcc_lo
	v_lshlrev_b64_e32 v[0:1], 1, v[170:171]
	s_delay_alu instid0(VALU_DEP_1) | instskip(SKIP_1) | instid1(VALU_DEP_2)
	v_add_co_u32 v244, vcc_lo, s8, v0
	s_wait_alu 0xfffd
	v_add_co_ci_u32_e64 v245, null, s9, v1, vcc_lo
	v_add_co_u32 v246, vcc_lo, s10, v0
	s_wait_alu 0xfffd
	v_add_co_ci_u32_e64 v247, null, s11, v1, vcc_lo
	;; [unrolled: 8-line block ×12, first 2 shown]
	v_lshlrev_b64_e32 v[1:2], 1, v[197:198]
	s_delay_alu instid0(VALU_DEP_1) | instskip(SKIP_1) | instid1(VALU_DEP_2)
	v_add_co_u32 v197, vcc_lo, s8, v1
	s_wait_alu 0xfffd
	v_add_co_ci_u32_e64 v198, null, s9, v2, vcc_lo
	v_add_co_u32 v199, vcc_lo, s10, v1
	v_and_b32_e32 v1, 0x3ff, v228
	s_wait_alu 0xfffd
	v_add_co_ci_u32_e64 v200, null, s11, v2, vcc_lo
	s_wait_kmcnt 0x0
	s_lshl_b32 s8, s2, 5
	s_wait_alu 0xfffe
	s_mov_b32 s9, s3
	scratch_store_b32 off, v1, off offset:300 ; 4-byte Folded Spill
	v_dual_mov_b32 v1, 0 :: v_dual_add_nc_u32 v2, s30, v1
	s_wait_alu 0xfffe
	s_mul_u64 s[18:19], s[6:7], s[8:9]
	s_add_nc_u64 s[10:11], s[0:1], 64
	s_wait_alu 0xfffe
	s_lshl_b64 s[18:19], s[18:19], 1
	v_dual_mov_b32 v3, v1 :: v_dual_mov_b32 v202, v1
	s_delay_alu instid0(VALU_DEP_1)
	v_lshlrev_b64_e32 v[158:159], 1, v[2:3]
.LBB84_145:                             ; =>This Inner Loop Header: Depth=1
	scratch_load_b32 v2, off, off           ; 4-byte Folded Reload
	s_add_nc_u64 s[24:25], s[16:17], s[20:21]
                                        ; implicit-def: $vgpr201
                                        ; implicit-def: $vgpr203
	s_wait_alu 0xfffe
	v_cmp_ge_i64_e64 s2, s[24:25], s[4:5]
	s_wait_loadcnt 0x0
	v_add_co_u32 v160, vcc_lo, s16, v2
	s_wait_alu 0xfffd
	v_add_co_ci_u32_e64 v161, null, 0, v202, vcc_lo
	s_and_b32 vcc_lo, exec_lo, s2
	s_mov_b32 s2, -1
	s_wait_alu 0xfffe
	s_cbranch_vccz .LBB84_213
; %bb.146:                              ;   in Loop: Header=BB84_145 Depth=1
	s_load_b32 s2, s[10:11], 0xc
	s_clause 0x1
	scratch_load_b32 v2, off, off offset:296
	scratch_load_b32 v3, off, off offset:300
	v_dual_mov_b32 v204, 0 :: v_dual_mov_b32 v201, 0
	v_mov_b32_e32 v223, 0
	s_wait_kmcnt 0x0
	s_and_b32 s2, s2, 0xffff
	s_wait_loadcnt 0x0
	s_wait_alu 0xfffe
	v_mad_u32_u24 v2, v2, s2, v3
	s_mov_b32 s2, exec_lo
	s_delay_alu instid0(VALU_DEP_1) | instskip(NEXT) | instid1(VALU_DEP_1)
	v_and_b32_e32 v2, 31, v2
	v_add_co_u32 v2, vcc_lo, v160, v2
	s_wait_alu 0xfffd
	v_add_co_ci_u32_e64 v3, null, 0, v161, vcc_lo
	s_delay_alu instid0(VALU_DEP_1)
	v_cmpx_gt_i64_e64 s[4:5], v[2:3]
	s_cbranch_execz .LBB84_148
; %bb.147:                              ;   in Loop: Header=BB84_145 Depth=1
	v_lshlrev_b64_e32 v[2:3], 2, v[2:3]
	s_delay_alu instid0(VALU_DEP_1) | instskip(SKIP_1) | instid1(VALU_DEP_2)
	v_add_co_u32 v4, vcc_lo, s12, v2
	s_wait_alu 0xfffd
	v_add_co_ci_u32_e64 v5, null, s13, v3, vcc_lo
	v_add_co_u32 v2, vcc_lo, s14, v2
	s_wait_alu 0xfffd
	v_add_co_ci_u32_e64 v3, null, s15, v3, vcc_lo
	global_load_b32 v201, v[4:5], off
	global_load_b32 v204, v[2:3], off
.LBB84_148:                             ;   in Loop: Header=BB84_145 Depth=1
	s_wait_alu 0xfffe
	s_or_b32 exec_lo, exec_lo, s2
	v_mov_b32_e32 v32, v1
	v_dual_mov_b32 v2, v1 :: v_dual_mov_b32 v3, v1
	v_dual_mov_b32 v4, v1 :: v_dual_mov_b32 v5, v1
	;; [unrolled: 1-line block ×15, first 2 shown]
	v_mov_b32_e32 v33, v32
	s_delay_alu instid0(VALU_DEP_2) | instskip(NEXT) | instid1(VALU_DEP_3)
	v_mov_b32_e32 v32, v31
	v_mov_b32_e32 v31, v30
	;; [unrolled: 1-line block ×31, first 2 shown]
	s_mov_b32 s2, exec_lo
	v_cmpx_gt_i64_e64 s[4:5], v[160:161]
	s_cbranch_execz .LBB84_150
; %bb.149:                              ;   in Loop: Header=BB84_145 Depth=1
	v_add_co_u32 v2, vcc_lo, v164, v158
	s_wait_alu 0xfffd
	v_add_co_ci_u32_e64 v3, null, v165, v159, vcc_lo
	v_dual_mov_b32 v5, v1 :: v_dual_mov_b32 v6, v1
	v_dual_mov_b32 v7, v1 :: v_dual_mov_b32 v8, v1
	global_load_u16 v4, v[2:3], off
	v_add_co_u32 v2, vcc_lo, v166, v158
	s_wait_alu 0xfffd
	v_add_co_ci_u32_e64 v3, null, v167, v159, vcc_lo
	v_dual_mov_b32 v9, v1 :: v_dual_mov_b32 v10, v1
	v_dual_mov_b32 v11, v1 :: v_dual_mov_b32 v12, v1
	global_load_u16 v203, v[2:3], off
	v_mov_b32_e32 v3, v1
	v_dual_mov_b32 v13, v1 :: v_dual_mov_b32 v14, v1
	v_dual_mov_b32 v15, v1 :: v_dual_mov_b32 v16, v1
	;; [unrolled: 1-line block ×10, first 2 shown]
	v_mov_b32_e32 v33, v1
	s_wait_loadcnt 0x1
	v_cvt_f32_f16_e32 v2, v4
	v_mov_b32_e32 v4, v1
	s_wait_loadcnt 0x0
	v_cvt_f32_f16_e64 v223, v203
.LBB84_150:                             ;   in Loop: Header=BB84_145 Depth=1
	s_wait_alu 0xfffe
	s_or_b32 exec_lo, exec_lo, s2
	v_add_co_u32 v206, vcc_lo, v160, 1
	s_wait_alu 0xfffd
	v_add_co_ci_u32_e64 v207, null, 0, v161, vcc_lo
	v_dual_mov_b32 v224, 0 :: v_dual_mov_b32 v225, 0
	s_mov_b32 s2, exec_lo
	s_delay_alu instid0(VALU_DEP_2)
	v_cmpx_gt_i64_e64 s[4:5], v[206:207]
	s_cbranch_execz .LBB84_152
; %bb.151:                              ;   in Loop: Header=BB84_145 Depth=1
	v_add_co_u32 v206, vcc_lo, v199, v158
	s_wait_alu 0xfffd
	v_add_co_ci_u32_e64 v207, null, v200, v159, vcc_lo
	v_add_co_u32 v208, vcc_lo, v197, v158
	s_wait_alu 0xfffd
	v_add_co_ci_u32_e64 v209, null, v198, v159, vcc_lo
	global_load_u16 v3, v[206:207], off
	global_load_u16 v203, v[208:209], off
	s_wait_loadcnt 0x1
	v_cvt_f32_f16_e64 v225, v3
	s_wait_loadcnt 0x0
	v_cvt_f32_f16_e64 v3, v203
.LBB84_152:                             ;   in Loop: Header=BB84_145 Depth=1
	s_wait_alu 0xfffe
	s_or_b32 exec_lo, exec_lo, s2
	v_add_co_u32 v206, vcc_lo, v160, 2
	s_wait_alu 0xfffd
	v_add_co_ci_u32_e64 v207, null, 0, v161, vcc_lo
	s_mov_b32 s2, exec_lo
	v_cmpx_gt_i64_e64 s[4:5], v[206:207]
	s_cbranch_execz .LBB84_154
; %bb.153:                              ;   in Loop: Header=BB84_145 Depth=1
	v_add_co_u32 v206, vcc_lo, v195, v158
	s_wait_alu 0xfffd
	v_add_co_ci_u32_e64 v207, null, v196, v159, vcc_lo
	v_add_co_u32 v208, vcc_lo, v193, v158
	s_wait_alu 0xfffd
	v_add_co_ci_u32_e64 v209, null, v194, v159, vcc_lo
	global_load_u16 v4, v[206:207], off
	global_load_u16 v203, v[208:209], off
	s_wait_loadcnt 0x1
	v_cvt_f32_f16_e64 v224, v4
	s_wait_loadcnt 0x0
	v_cvt_f32_f16_e64 v4, v203
.LBB84_154:                             ;   in Loop: Header=BB84_145 Depth=1
	s_wait_alu 0xfffe
	s_or_b32 exec_lo, exec_lo, s2
	v_add_co_u32 v206, vcc_lo, v160, 3
	s_wait_alu 0xfffd
	v_add_co_ci_u32_e64 v207, null, 0, v161, vcc_lo
	v_dual_mov_b32 v226, 0 :: v_dual_mov_b32 v227, 0
	s_mov_b32 s2, exec_lo
	s_delay_alu instid0(VALU_DEP_2)
	v_cmpx_gt_i64_e64 s[4:5], v[206:207]
	s_cbranch_execz .LBB84_156
; %bb.155:                              ;   in Loop: Header=BB84_145 Depth=1
	v_add_co_u32 v206, vcc_lo, v191, v158
	s_wait_alu 0xfffd
	v_add_co_ci_u32_e64 v207, null, v192, v159, vcc_lo
	v_add_co_u32 v208, vcc_lo, v189, v158
	s_wait_alu 0xfffd
	v_add_co_ci_u32_e64 v209, null, v190, v159, vcc_lo
	global_load_u16 v5, v[206:207], off
	global_load_u16 v203, v[208:209], off
	s_wait_loadcnt 0x1
	v_cvt_f32_f16_e64 v227, v5
	s_wait_loadcnt 0x0
	v_cvt_f32_f16_e64 v5, v203
.LBB84_156:                             ;   in Loop: Header=BB84_145 Depth=1
	s_wait_alu 0xfffe
	s_or_b32 exec_lo, exec_lo, s2
	v_add_co_u32 v206, vcc_lo, v160, 4
	s_wait_alu 0xfffd
	v_add_co_ci_u32_e64 v207, null, 0, v161, vcc_lo
	s_mov_b32 s2, exec_lo
	v_cmpx_gt_i64_e64 s[4:5], v[206:207]
	s_cbranch_execz .LBB84_158
; %bb.157:                              ;   in Loop: Header=BB84_145 Depth=1
	v_add_co_u32 v206, vcc_lo, v187, v158
	s_wait_alu 0xfffd
	v_add_co_ci_u32_e64 v207, null, v188, v159, vcc_lo
	v_add_co_u32 v208, vcc_lo, v185, v158
	s_wait_alu 0xfffd
	v_add_co_ci_u32_e64 v209, null, v186, v159, vcc_lo
	global_load_u16 v6, v[206:207], off
	global_load_u16 v203, v[208:209], off
	s_wait_loadcnt 0x1
	v_cvt_f32_f16_e64 v226, v6
	s_wait_loadcnt 0x0
	v_cvt_f32_f16_e64 v6, v203
.LBB84_158:                             ;   in Loop: Header=BB84_145 Depth=1
	;; [unrolled: 46-line block ×6, first 2 shown]
	s_wait_alu 0xfffe
	s_or_b32 exec_lo, exec_lo, s2
	v_add_co_u32 v206, vcc_lo, v160, 13
	s_wait_alu 0xfffd
	v_add_co_ci_u32_e64 v207, null, 0, v161, vcc_lo
	v_dual_mov_b32 v236, 0 :: v_dual_mov_b32 v237, 0
	s_mov_b32 s2, exec_lo
	s_delay_alu instid0(VALU_DEP_2)
	v_cmpx_gt_i64_e64 s[4:5], v[206:207]
	s_cbranch_execz .LBB84_176
; %bb.175:                              ;   in Loop: Header=BB84_145 Depth=1
	v_add_co_u32 v206, vcc_lo, v242, v158
	s_wait_alu 0xfffd
	v_add_co_ci_u32_e64 v207, null, v243, v159, vcc_lo
	v_add_co_u32 v208, vcc_lo, v240, v158
	s_wait_alu 0xfffd
	v_add_co_ci_u32_e64 v209, null, v241, v159, vcc_lo
	global_load_u16 v15, v[206:207], off
	global_load_u16 v203, v[208:209], off
	s_wait_loadcnt 0x1
	v_cvt_f32_f16_e64 v237, v15
	s_wait_loadcnt 0x0
	v_cvt_f32_f16_e64 v15, v203
.LBB84_176:                             ;   in Loop: Header=BB84_145 Depth=1
	s_wait_alu 0xfffe
	s_or_b32 exec_lo, exec_lo, s2
	v_add_co_u32 v206, vcc_lo, v160, 14
	s_wait_alu 0xfffd
	v_add_co_ci_u32_e64 v207, null, 0, v161, vcc_lo
	s_mov_b32 s2, exec_lo
	v_cmpx_gt_i64_e64 s[4:5], v[206:207]
	s_cbranch_execz .LBB84_178
; %bb.177:                              ;   in Loop: Header=BB84_145 Depth=1
	scratch_load_b32 v16, off, off offset:284 ; 4-byte Folded Reload
	s_wait_loadcnt 0x0
	v_add_co_u32 v206, vcc_lo, v16, v158
	scratch_load_b32 v16, off, off offset:288 ; 4-byte Folded Reload
	s_wait_loadcnt 0x0
	s_wait_alu 0xfffd
	v_add_co_ci_u32_e64 v207, null, v16, v159, vcc_lo
	scratch_load_b32 v16, off, off offset:276 ; 4-byte Folded Reload
	s_wait_loadcnt 0x0
	v_add_co_u32 v208, vcc_lo, v16, v158
	scratch_load_b32 v16, off, off offset:280 ; 4-byte Folded Reload
	s_wait_loadcnt 0x0
	s_wait_alu 0xfffd
	v_add_co_ci_u32_e64 v209, null, v16, v159, vcc_lo
	global_load_u16 v16, v[206:207], off
	global_load_u16 v203, v[208:209], off
	s_wait_loadcnt 0x1
	v_cvt_f32_f16_e64 v236, v16
	s_wait_loadcnt 0x0
	v_cvt_f32_f16_e64 v16, v203
.LBB84_178:                             ;   in Loop: Header=BB84_145 Depth=1
	s_wait_alu 0xfffe
	s_or_b32 exec_lo, exec_lo, s2
	v_add_co_u32 v206, vcc_lo, v160, 15
	s_wait_alu 0xfffd
	v_add_co_ci_u32_e64 v207, null, 0, v161, vcc_lo
	v_mov_b32_e32 v239, 0
	v_mov_b32_e32 v203, 0
	s_mov_b32 s2, exec_lo
	scratch_store_b32 off, v203, off offset:292 ; 4-byte Folded Spill
	v_cmpx_gt_i64_e64 s[4:5], v[206:207]
	s_cbranch_execz .LBB84_180
; %bb.179:                              ;   in Loop: Header=BB84_145 Depth=1
	scratch_load_b32 v17, off, off offset:268 ; 4-byte Folded Reload
	s_wait_loadcnt 0x0
	v_add_co_u32 v206, vcc_lo, v17, v158
	scratch_load_b32 v17, off, off offset:272 ; 4-byte Folded Reload
	s_wait_loadcnt 0x0
	s_wait_alu 0xfffd
	v_add_co_ci_u32_e64 v207, null, v17, v159, vcc_lo
	scratch_load_b32 v17, off, off offset:260 ; 4-byte Folded Reload
	s_wait_loadcnt 0x0
	v_add_co_u32 v208, vcc_lo, v17, v158
	scratch_load_b32 v17, off, off offset:264 ; 4-byte Folded Reload
	s_wait_loadcnt 0x0
	s_wait_alu 0xfffd
	v_add_co_ci_u32_e64 v209, null, v17, v159, vcc_lo
	global_load_u16 v17, v[206:207], off
	global_load_u16 v203, v[208:209], off
	s_wait_loadcnt 0x1
	v_cvt_f32_f16_e32 v17, v17
	scratch_store_b32 off, v17, off offset:292 ; 4-byte Folded Spill
	s_wait_loadcnt 0x0
	v_cvt_f32_f16_e64 v17, v203
.LBB84_180:                             ;   in Loop: Header=BB84_145 Depth=1
	s_wait_alu 0xfffe
	s_or_b32 exec_lo, exec_lo, s2
	v_add_co_u32 v206, vcc_lo, v160, 16
	s_wait_alu 0xfffd
	v_add_co_ci_u32_e64 v207, null, 0, v161, vcc_lo
	s_mov_b32 s2, exec_lo
	v_cmpx_gt_i64_e64 s[4:5], v[206:207]
	s_cbranch_execz .LBB84_182
; %bb.181:                              ;   in Loop: Header=BB84_145 Depth=1
	scratch_load_b32 v18, off, off offset:252 ; 4-byte Folded Reload
	s_wait_loadcnt 0x0
	v_add_co_u32 v206, vcc_lo, v18, v158
	scratch_load_b32 v18, off, off offset:256 ; 4-byte Folded Reload
	s_wait_loadcnt 0x0
	s_wait_alu 0xfffd
	v_add_co_ci_u32_e64 v207, null, v18, v159, vcc_lo
	scratch_load_b32 v18, off, off offset:244 ; 4-byte Folded Reload
	s_wait_loadcnt 0x0
	v_add_co_u32 v208, vcc_lo, v18, v158
	scratch_load_b32 v18, off, off offset:248 ; 4-byte Folded Reload
	s_wait_loadcnt 0x0
	s_wait_alu 0xfffd
	v_add_co_ci_u32_e64 v209, null, v18, v159, vcc_lo
	global_load_u16 v18, v[206:207], off
	global_load_u16 v203, v[208:209], off
	s_wait_loadcnt 0x1
	v_cvt_f32_f16_e64 v239, v18
	s_wait_loadcnt 0x0
	v_cvt_f32_f16_e64 v18, v203
.LBB84_182:                             ;   in Loop: Header=BB84_145 Depth=1
	s_wait_alu 0xfffe
	s_or_b32 exec_lo, exec_lo, s2
	v_add_co_u32 v206, vcc_lo, v160, 17
	s_wait_alu 0xfffd
	v_add_co_ci_u32_e64 v207, null, 0, v161, vcc_lo
	v_mov_b32_e32 v203, 0
	s_delay_alu instid0(VALU_DEP_2)
	v_cmp_gt_i64_e32 vcc_lo, s[4:5], v[206:207]
	v_mov_b32_e32 v206, 0
	s_and_saveexec_b32 s2, vcc_lo
	s_cbranch_execz .LBB84_184
; %bb.183:                              ;   in Loop: Header=BB84_145 Depth=1
	scratch_load_b32 v19, off, off offset:236 ; 4-byte Folded Reload
	s_wait_loadcnt 0x0
	v_add_co_u32 v206, vcc_lo, v19, v158
	scratch_load_b32 v19, off, off offset:240 ; 4-byte Folded Reload
	s_wait_loadcnt 0x0
	s_wait_alu 0xfffd
	v_add_co_ci_u32_e64 v207, null, v19, v159, vcc_lo
	scratch_load_b32 v19, off, off offset:228 ; 4-byte Folded Reload
	s_wait_loadcnt 0x0
	v_add_co_u32 v208, vcc_lo, v19, v158
	scratch_load_b32 v19, off, off offset:232 ; 4-byte Folded Reload
	s_wait_loadcnt 0x0
	s_wait_alu 0xfffd
	v_add_co_ci_u32_e64 v209, null, v19, v159, vcc_lo
	global_load_u16 v19, v[206:207], off
	global_load_u16 v207, v[208:209], off
	s_wait_loadcnt 0x1
	v_cvt_f32_f16_e64 v206, v19
	s_wait_loadcnt 0x0
	v_cvt_f32_f16_e64 v19, v207
.LBB84_184:                             ;   in Loop: Header=BB84_145 Depth=1
	s_wait_alu 0xfffe
	s_or_b32 exec_lo, exec_lo, s2
	v_add_co_u32 v207, vcc_lo, v160, 18
	s_wait_alu 0xfffd
	v_add_co_ci_u32_e64 v208, null, 0, v161, vcc_lo
	s_mov_b32 s2, exec_lo
	v_cmpx_gt_i64_e64 s[4:5], v[207:208]
	s_cbranch_execz .LBB84_186
; %bb.185:                              ;   in Loop: Header=BB84_145 Depth=1
	scratch_load_b32 v20, off, off offset:220 ; 4-byte Folded Reload
	s_wait_loadcnt 0x0
	v_add_co_u32 v207, vcc_lo, v20, v158
	scratch_load_b32 v20, off, off offset:224 ; 4-byte Folded Reload
	s_wait_loadcnt 0x0
	s_wait_alu 0xfffd
	v_add_co_ci_u32_e64 v208, null, v20, v159, vcc_lo
	scratch_load_b32 v20, off, off offset:212 ; 4-byte Folded Reload
	s_wait_loadcnt 0x0
	v_add_co_u32 v209, vcc_lo, v20, v158
	scratch_load_b32 v20, off, off offset:216 ; 4-byte Folded Reload
	s_wait_loadcnt 0x0
	s_wait_alu 0xfffd
	v_add_co_ci_u32_e64 v210, null, v20, v159, vcc_lo
	global_load_u16 v20, v[207:208], off
	global_load_u16 v207, v[209:210], off
	s_wait_loadcnt 0x1
	v_cvt_f32_f16_e64 v203, v20
	s_wait_loadcnt 0x0
	v_cvt_f32_f16_e64 v20, v207
.LBB84_186:                             ;   in Loop: Header=BB84_145 Depth=1
	s_wait_alu 0xfffe
	s_or_b32 exec_lo, exec_lo, s2
	v_add_co_u32 v207, vcc_lo, v160, 19
	s_wait_alu 0xfffd
	v_add_co_ci_u32_e64 v208, null, 0, v161, vcc_lo
	s_delay_alu instid0(VALU_DEP_1)
	v_cmp_gt_i64_e32 vcc_lo, s[4:5], v[207:208]
	v_dual_mov_b32 v207, 0 :: v_dual_mov_b32 v208, 0
	s_and_saveexec_b32 s2, vcc_lo
	s_cbranch_execz .LBB84_188
; %bb.187:                              ;   in Loop: Header=BB84_145 Depth=1
	scratch_load_b32 v21, off, off offset:204 ; 4-byte Folded Reload
	s_wait_loadcnt 0x0
	v_add_co_u32 v208, vcc_lo, v21, v158
	scratch_load_b32 v21, off, off offset:208 ; 4-byte Folded Reload
	s_wait_loadcnt 0x0
	s_wait_alu 0xfffd
	v_add_co_ci_u32_e64 v209, null, v21, v159, vcc_lo
	scratch_load_b32 v21, off, off offset:196 ; 4-byte Folded Reload
	s_wait_loadcnt 0x0
	v_add_co_u32 v210, vcc_lo, v21, v158
	scratch_load_b32 v21, off, off offset:200 ; 4-byte Folded Reload
	s_wait_loadcnt 0x0
	s_wait_alu 0xfffd
	v_add_co_ci_u32_e64 v211, null, v21, v159, vcc_lo
	global_load_u16 v21, v[208:209], off
	global_load_u16 v209, v[210:211], off
	s_wait_loadcnt 0x1
	v_cvt_f32_f16_e64 v208, v21
	s_wait_loadcnt 0x0
	v_cvt_f32_f16_e64 v21, v209
.LBB84_188:                             ;   in Loop: Header=BB84_145 Depth=1
	s_wait_alu 0xfffe
	s_or_b32 exec_lo, exec_lo, s2
	v_add_co_u32 v209, vcc_lo, v160, 20
	s_wait_alu 0xfffd
	v_add_co_ci_u32_e64 v210, null, 0, v161, vcc_lo
	s_mov_b32 s2, exec_lo
	v_cmpx_gt_i64_e64 s[4:5], v[209:210]
	s_cbranch_execz .LBB84_190
; %bb.189:                              ;   in Loop: Header=BB84_145 Depth=1
	scratch_load_b32 v22, off, off offset:188 ; 4-byte Folded Reload
	s_wait_loadcnt 0x0
	v_add_co_u32 v209, vcc_lo, v22, v158
	scratch_load_b32 v22, off, off offset:192 ; 4-byte Folded Reload
	s_wait_loadcnt 0x0
	s_wait_alu 0xfffd
	v_add_co_ci_u32_e64 v210, null, v22, v159, vcc_lo
	scratch_load_b32 v22, off, off offset:180 ; 4-byte Folded Reload
	s_wait_loadcnt 0x0
	v_add_co_u32 v211, vcc_lo, v22, v158
	scratch_load_b32 v22, off, off offset:184 ; 4-byte Folded Reload
	s_wait_loadcnt 0x0
	s_wait_alu 0xfffd
	v_add_co_ci_u32_e64 v212, null, v22, v159, vcc_lo
	global_load_u16 v22, v[209:210], off
	global_load_u16 v209, v[211:212], off
	s_wait_loadcnt 0x1
	v_cvt_f32_f16_e64 v207, v22
	s_wait_loadcnt 0x0
	v_cvt_f32_f16_e64 v22, v209
.LBB84_190:                             ;   in Loop: Header=BB84_145 Depth=1
	s_wait_alu 0xfffe
	s_or_b32 exec_lo, exec_lo, s2
	v_add_co_u32 v209, vcc_lo, v160, 21
	s_wait_alu 0xfffd
	v_add_co_ci_u32_e64 v210, null, 0, v161, vcc_lo
	s_delay_alu instid0(VALU_DEP_1)
	v_cmp_gt_i64_e32 vcc_lo, s[4:5], v[209:210]
	v_dual_mov_b32 v209, 0 :: v_dual_mov_b32 v210, 0
	;; [unrolled: 62-line block ×6, first 2 shown]
	s_and_saveexec_b32 s2, vcc_lo
	s_cbranch_execz .LBB84_208
; %bb.207:                              ;   in Loop: Header=BB84_145 Depth=1
	scratch_load_b32 v31, off, off offset:44 ; 4-byte Folded Reload
	s_wait_loadcnt 0x0
	v_add_co_u32 v218, vcc_lo, v31, v158
	scratch_load_b32 v31, off, off offset:48 ; 4-byte Folded Reload
	s_wait_loadcnt 0x0
	s_wait_alu 0xfffd
	v_add_co_ci_u32_e64 v219, null, v31, v159, vcc_lo
	scratch_load_b32 v31, off, off offset:36 ; 4-byte Folded Reload
	s_wait_loadcnt 0x0
	v_add_co_u32 v220, vcc_lo, v31, v158
	scratch_load_b32 v31, off, off offset:40 ; 4-byte Folded Reload
	s_wait_loadcnt 0x0
	s_wait_alu 0xfffd
	v_add_co_ci_u32_e64 v221, null, v31, v159, vcc_lo
	global_load_u16 v31, v[218:219], off
	global_load_u16 v219, v[220:221], off
	s_wait_loadcnt 0x1
	v_cvt_f32_f16_e64 v218, v31
	s_wait_loadcnt 0x0
	v_cvt_f32_f16_e64 v31, v219
.LBB84_208:                             ;   in Loop: Header=BB84_145 Depth=1
	s_wait_alu 0xfffe
	s_or_b32 exec_lo, exec_lo, s2
	v_add_co_u32 v219, vcc_lo, v160, 30
	s_wait_alu 0xfffd
	v_add_co_ci_u32_e64 v220, null, 0, v161, vcc_lo
	s_mov_b32 s2, exec_lo
	v_cmpx_gt_i64_e64 s[4:5], v[219:220]
	s_cbranch_execz .LBB84_210
; %bb.209:                              ;   in Loop: Header=BB84_145 Depth=1
	scratch_load_b32 v32, off, off offset:28 ; 4-byte Folded Reload
	s_wait_loadcnt 0x0
	v_add_co_u32 v219, vcc_lo, v32, v158
	scratch_load_b32 v32, off, off offset:32 ; 4-byte Folded Reload
	s_wait_loadcnt 0x0
	s_wait_alu 0xfffd
	v_add_co_ci_u32_e64 v220, null, v32, v159, vcc_lo
	scratch_load_b32 v32, off, off offset:20 ; 4-byte Folded Reload
	s_wait_loadcnt 0x0
	v_add_co_u32 v221, vcc_lo, v32, v158
	scratch_load_b32 v32, off, off offset:24 ; 4-byte Folded Reload
	s_wait_loadcnt 0x0
	s_wait_alu 0xfffd
	v_add_co_ci_u32_e64 v222, null, v32, v159, vcc_lo
	global_load_u16 v32, v[219:220], off
	global_load_u16 v219, v[221:222], off
	s_wait_loadcnt 0x1
	v_cvt_f32_f16_e64 v217, v32
	s_wait_loadcnt 0x0
	v_cvt_f32_f16_e64 v32, v219
.LBB84_210:                             ;   in Loop: Header=BB84_145 Depth=1
	s_wait_alu 0xfffe
	s_or_b32 exec_lo, exec_lo, s2
	v_add_co_u32 v219, vcc_lo, v160, 31
	s_wait_alu 0xfffd
	v_add_co_ci_u32_e64 v220, null, 0, v161, vcc_lo
	s_delay_alu instid0(VALU_DEP_1)
	v_cmp_gt_i64_e32 vcc_lo, s[4:5], v[219:220]
	v_mov_b32_e32 v219, 0
	s_and_saveexec_b32 s2, vcc_lo
	s_cbranch_execz .LBB84_212
; %bb.211:                              ;   in Loop: Header=BB84_145 Depth=1
	scratch_load_b32 v33, off, off offset:12 ; 4-byte Folded Reload
	s_wait_loadcnt 0x0
	v_add_co_u32 v219, vcc_lo, v33, v158
	scratch_load_b32 v33, off, off offset:16 ; 4-byte Folded Reload
	s_wait_loadcnt 0x0
	s_wait_alu 0xfffd
	v_add_co_ci_u32_e64 v220, null, v33, v159, vcc_lo
	scratch_load_b32 v33, off, off offset:4 ; 4-byte Folded Reload
	s_wait_loadcnt 0x0
	v_add_co_u32 v221, vcc_lo, v33, v158
	scratch_load_b32 v33, off, off offset:8 ; 4-byte Folded Reload
	s_wait_loadcnt 0x0
	s_wait_alu 0xfffd
	v_add_co_ci_u32_e64 v222, null, v33, v159, vcc_lo
	global_load_u16 v33, v[219:220], off
	global_load_u16 v220, v[221:222], off
	s_wait_loadcnt 0x1
	v_cvt_f32_f16_e64 v219, v33
	s_wait_loadcnt 0x0
	v_cvt_f32_f16_e64 v33, v220
.LBB84_212:                             ;   in Loop: Header=BB84_145 Depth=1
	s_wait_alu 0xfffe
	s_or_b32 exec_lo, exec_lo, s2
	s_wait_loadcnt 0x1
	ds_bpermute_b32 v220, v1, v201
	ds_bpermute_b32 v222, v1, v201 offset:8
	ds_bpermute_b32 v221, v1, v201 offset:4
	s_mov_b32 s2, 0
	s_wait_dscnt 0x2
	v_sub_f32_e32 v220, v223, v220
	ds_bpermute_b32 v223, v1, v201 offset:12
	s_wait_dscnt 0x2
	v_sub_f32_e32 v222, v224, v222
	ds_bpermute_b32 v224, v1, v201 offset:16
	;; [unrolled: 3-line block ×16, first 2 shown]
	s_wait_dscnt 0x1
	v_sub_f32_e32 v234, v236, v234
	scratch_load_b32 v236, off, off offset:292 th:TH_LOAD_LU ; 4-byte Folded Reload
	s_wait_dscnt 0x0
	v_sub_f32_e32 v208, v208, v237
	ds_bpermute_b32 v237, v1, v201 offset:80
	s_wait_dscnt 0x0
	v_sub_f32_e32 v207, v207, v237
	ds_bpermute_b32 v237, v1, v201 offset:84
	;; [unrolled: 3-line block ×11, first 2 shown]
	s_wait_dscnt 0x0
	v_sub_f32_e32 v217, v217, v237
	s_wait_loadcnt 0x0
	v_sub_f32_e32 v235, v236, v235
	ds_bpermute_b32 v236, v1, v201 offset:64
	ds_bpermute_b32 v201, v1, v201 offset:124
	s_wait_dscnt 0x1
	v_sub_f32_e32 v236, v239, v236
	s_wait_dscnt 0x0
	v_sub_f32_e32 v201, v219, v201
	v_add_f32_e32 v219, v238, v2
	s_delay_alu instid0(VALU_DEP_1) | instskip(SKIP_1) | instid1(VALU_DEP_2)
	v_dual_mul_f32 v2, v2, v220 :: v_dual_add_f32 v219, v3, v219
	v_mul_f32_e32 v3, v3, v221
	v_add_f32_e32 v219, v4, v219
	s_delay_alu instid0(VALU_DEP_1) | instskip(SKIP_1) | instid1(VALU_DEP_2)
	v_dual_mul_f32 v4, v4, v222 :: v_dual_add_f32 v219, v5, v219
	v_mul_f32_e32 v5, v5, v223
	;; [unrolled: 4-line block ×8, first 2 shown]
	v_add_f32_e32 v219, v18, v219
	s_delay_alu instid0(VALU_DEP_1) | instskip(SKIP_1) | instid1(VALU_DEP_2)
	v_dual_mul_f32 v18, v18, v236 :: v_dual_add_f32 v219, v19, v219
	v_dual_mul_f32 v19, v19, v206 :: v_dual_mul_f32 v206, v33, v201
	v_add_f32_e32 v219, v20, v219
	v_mul_f32_e32 v20, v20, v203
	s_delay_alu instid0(VALU_DEP_2) | instskip(SKIP_1) | instid1(VALU_DEP_2)
	v_add_f32_e32 v219, v21, v219
	v_mul_f32_e32 v21, v21, v208
	v_add_f32_e32 v219, v22, v219
	v_mul_f32_e32 v22, v22, v207
	s_delay_alu instid0(VALU_DEP_2) | instskip(SKIP_1) | instid1(VALU_DEP_2)
	v_add_f32_e32 v219, v23, v219
	v_mul_f32_e32 v23, v23, v210
	v_add_f32_e32 v219, v24, v219
	s_delay_alu instid0(VALU_DEP_1) | instskip(SKIP_1) | instid1(VALU_DEP_2)
	v_dual_mul_f32 v24, v24, v209 :: v_dual_add_f32 v219, v25, v219
	v_mul_f32_e32 v25, v25, v212
	v_add_f32_e32 v219, v26, v219
	v_mul_f32_e32 v26, v26, v211
	s_delay_alu instid0(VALU_DEP_2) | instskip(SKIP_1) | instid1(VALU_DEP_2)
	v_add_f32_e32 v219, v27, v219
	v_mul_f32_e32 v27, v27, v214
	v_add_f32_e32 v219, v28, v219
	s_delay_alu instid0(VALU_DEP_1) | instskip(SKIP_1) | instid1(VALU_DEP_2)
	v_dual_mul_f32 v28, v28, v213 :: v_dual_add_f32 v219, v29, v219
	v_mul_f32_e32 v29, v29, v216
	v_add_f32_e32 v203, v30, v219
	v_mul_f32_e32 v30, v30, v215
	s_delay_alu instid0(VALU_DEP_2) | instskip(SKIP_1) | instid1(VALU_DEP_2)
	v_add_f32_e32 v203, v31, v203
	v_mul_f32_e32 v31, v31, v218
	v_add_f32_e32 v203, v32, v203
	s_delay_alu instid0(VALU_DEP_1)
	v_dual_mul_f32 v32, v32, v217 :: v_dual_add_f32 v201, v33, v203
	ds_bpermute_b32 v33, v1, v204
	s_wait_dscnt 0x0
	v_fma_f32 v203, v2, v33, v205
	ds_bpermute_b32 v2, v1, v204 offset:4
	s_wait_dscnt 0x0
	v_fmac_f32_e32 v203, v3, v2
	ds_bpermute_b32 v2, v1, v204 offset:8
	ds_bpermute_b32 v3, v1, v204 offset:112
	s_wait_dscnt 0x1
	v_fmac_f32_e32 v203, v4, v2
	ds_bpermute_b32 v2, v1, v204 offset:12
	;; [unrolled: 4-line block ×4, first 2 shown]
	s_wait_dscnt 0x0
	v_fmac_f32_e32 v203, v7, v2
	ds_bpermute_b32 v2, v1, v204 offset:24
	s_wait_dscnt 0x0
	v_fmac_f32_e32 v203, v8, v2
	ds_bpermute_b32 v2, v1, v204 offset:28
	;; [unrolled: 3-line block ×23, first 2 shown]
	v_fmac_f32_e32 v203, v30, v3
	s_wait_dscnt 0x0
	s_delay_alu instid0(VALU_DEP_1) | instskip(NEXT) | instid1(VALU_DEP_1)
	v_fmac_f32_e32 v203, v31, v2
	v_fmac_f32_e32 v203, v32, v4
	s_delay_alu instid0(VALU_DEP_1)
	v_fmac_f32_e32 v203, v206, v5
.LBB84_213:                             ;   in Loop: Header=BB84_145 Depth=1
	s_wait_alu 0xfffe
	s_and_b32 vcc_lo, exec_lo, s2
	s_wait_alu 0xfffe
	s_cbranch_vccz .LBB84_217
; %bb.214:                              ;   in Loop: Header=BB84_145 Depth=1
	s_load_b32 s2, s[10:11], 0x0
	v_dual_mov_b32 v4, 0 :: v_dual_mov_b32 v5, 0
	s_wait_kmcnt 0x0
	s_cmp_lt_u32 ttmp9, s2
	s_cselect_b32 s2, 12, 18
	s_wait_alu 0xfffe
	s_add_nc_u64 s[24:25], s[10:11], s[2:3]
	s_load_u16 s2, s[24:25], 0x0
	s_clause 0x1
	scratch_load_b32 v2, off, off offset:296
	scratch_load_b32 v3, off, off offset:300
	s_wait_loadcnt 0x0
	s_wait_kmcnt 0x0
	v_mad_u32_u24 v2, v2, s2, v3
	s_mov_b32 s2, exec_lo
	s_delay_alu instid0(VALU_DEP_1) | instskip(NEXT) | instid1(VALU_DEP_1)
	v_and_b32_e32 v2, 31, v2
	v_add_co_u32 v2, vcc_lo, v160, v2
	s_wait_alu 0xfffd
	v_add_co_ci_u32_e64 v3, null, 0, v161, vcc_lo
	s_delay_alu instid0(VALU_DEP_1)
	v_cmpx_gt_i64_e64 s[4:5], v[2:3]
	s_cbranch_execz .LBB84_216
; %bb.215:                              ;   in Loop: Header=BB84_145 Depth=1
	v_lshlrev_b64_e32 v[2:3], 2, v[2:3]
	s_delay_alu instid0(VALU_DEP_1) | instskip(SKIP_1) | instid1(VALU_DEP_2)
	v_add_co_u32 v4, vcc_lo, s12, v2
	s_wait_alu 0xfffd
	v_add_co_ci_u32_e64 v5, null, s13, v3, vcc_lo
	v_add_co_u32 v2, vcc_lo, s14, v2
	s_wait_alu 0xfffd
	v_add_co_ci_u32_e64 v3, null, s15, v3, vcc_lo
	global_load_b32 v5, v[4:5], off
	global_load_b32 v4, v[2:3], off
.LBB84_216:                             ;   in Loop: Header=BB84_145 Depth=1
	s_wait_alu 0xfffe
	s_or_b32 exec_lo, exec_lo, s2
	v_add_co_u32 v2, vcc_lo, v166, v158
	s_wait_alu 0xfffd
	v_add_co_ci_u32_e64 v3, null, v167, v159, vcc_lo
	global_load_u16 v6, v[2:3], off
	v_add_co_u32 v2, vcc_lo, v164, v158
	s_wait_alu 0xfffd
	v_add_co_ci_u32_e64 v3, null, v165, v159, vcc_lo
	global_load_u16 v2, v[2:3], off
	s_wait_loadcnt 0x1
	v_cvt_f32_f16_e32 v3, v6
	ds_bpermute_b32 v6, v1, v5
	s_wait_loadcnt 0x0
	v_cvt_f32_f16_e32 v2, v2
	s_wait_dscnt 0x0
	v_sub_f32_e32 v3, v3, v6
	ds_bpermute_b32 v6, v1, v4
	v_mul_f32_e32 v3, v3, v2
	v_add_f32_e32 v2, v238, v2
	s_wait_dscnt 0x0
	s_delay_alu instid0(VALU_DEP_2)
	v_fmac_f32_e32 v205, v3, v6
	v_add_co_u32 v6, vcc_lo, v42, v158
	s_wait_alu 0xfffd
	v_add_co_ci_u32_e64 v7, null, v43, v159, vcc_lo
	global_load_u16 v3, v[6:7], off
	v_add_co_u32 v6, vcc_lo, v34, v158
	s_wait_alu 0xfffd
	v_add_co_ci_u32_e64 v7, null, v35, v159, vcc_lo
	global_load_u16 v6, v[6:7], off
	ds_bpermute_b32 v7, v1, v5 offset:4
	s_wait_loadcnt 0x1
	v_cvt_f32_f16_e32 v3, v3
	s_wait_dscnt 0x0
	s_delay_alu instid0(VALU_DEP_1) | instskip(SKIP_2) | instid1(VALU_DEP_1)
	v_sub_f32_e32 v7, v3, v7
	s_wait_loadcnt 0x0
	v_cvt_f32_f16_e32 v3, v6
	v_mul_f32_e32 v6, v7, v3
	ds_bpermute_b32 v7, v1, v4 offset:4
	v_add_f32_e32 v2, v2, v3
	s_wait_dscnt 0x0
	v_fmac_f32_e32 v205, v6, v7
	v_add_co_u32 v6, vcc_lo, v46, v158
	s_wait_alu 0xfffd
	v_add_co_ci_u32_e64 v7, null, v47, v159, vcc_lo
	global_load_u16 v8, v[6:7], off
	v_add_co_u32 v6, vcc_lo, v36, v158
	s_wait_alu 0xfffd
	v_add_co_ci_u32_e64 v7, null, v37, v159, vcc_lo
	global_load_u16 v6, v[6:7], off
	s_wait_loadcnt 0x1
	v_cvt_f32_f16_e32 v7, v8
	ds_bpermute_b32 v8, v1, v5 offset:8
	s_wait_loadcnt 0x0
	v_cvt_f32_f16_e32 v6, v6
	s_wait_dscnt 0x0
	s_delay_alu instid0(VALU_DEP_1) | instskip(SKIP_3) | instid1(VALU_DEP_1)
	v_dual_add_f32 v2, v2, v6 :: v_dual_sub_f32 v7, v7, v8
	ds_bpermute_b32 v8, v1, v4 offset:8
	v_mul_f32_e32 v7, v7, v6
	s_wait_dscnt 0x0
	v_fmac_f32_e32 v205, v7, v8
	v_add_co_u32 v7, vcc_lo, v48, v158
	s_wait_alu 0xfffd
	v_add_co_ci_u32_e64 v8, null, v49, v159, vcc_lo
	global_load_u16 v9, v[7:8], off
	v_add_co_u32 v7, vcc_lo, v38, v158
	s_wait_alu 0xfffd
	v_add_co_ci_u32_e64 v8, null, v39, v159, vcc_lo
	global_load_u16 v7, v[7:8], off
	s_wait_loadcnt 0x1
	v_cvt_f32_f16_e32 v8, v9
	ds_bpermute_b32 v9, v1, v5 offset:12
	s_wait_loadcnt 0x0
	v_cvt_f32_f16_e32 v7, v7
	s_delay_alu instid0(VALU_DEP_1)
	v_add_f32_e32 v2, v2, v7
	s_wait_dscnt 0x0
	v_sub_f32_e32 v8, v8, v9
	ds_bpermute_b32 v9, v1, v4 offset:12
	v_mul_f32_e32 v8, v8, v7
	s_wait_dscnt 0x0
	s_delay_alu instid0(VALU_DEP_1)
	v_fmac_f32_e32 v205, v8, v9
	v_add_co_u32 v8, vcc_lo, v50, v158
	s_wait_alu 0xfffd
	v_add_co_ci_u32_e64 v9, null, v51, v159, vcc_lo
	global_load_u16 v10, v[8:9], off
	v_add_co_u32 v8, vcc_lo, v40, v158
	s_wait_alu 0xfffd
	v_add_co_ci_u32_e64 v9, null, v41, v159, vcc_lo
	global_load_u16 v8, v[8:9], off
	s_wait_loadcnt 0x1
	v_cvt_f32_f16_e32 v9, v10
	ds_bpermute_b32 v10, v1, v5 offset:16
	s_wait_loadcnt 0x0
	v_cvt_f32_f16_e32 v8, v8
	s_wait_dscnt 0x0
	s_delay_alu instid0(VALU_DEP_1) | instskip(SKIP_3) | instid1(VALU_DEP_1)
	v_dual_add_f32 v2, v2, v8 :: v_dual_sub_f32 v9, v9, v10
	ds_bpermute_b32 v10, v1, v4 offset:16
	v_mul_f32_e32 v9, v9, v8
	s_wait_dscnt 0x0
	v_fmac_f32_e32 v205, v9, v10
	v_add_co_u32 v9, vcc_lo, v54, v158
	s_wait_alu 0xfffd
	v_add_co_ci_u32_e64 v10, null, v55, v159, vcc_lo
	global_load_u16 v11, v[9:10], off
	v_add_co_u32 v9, vcc_lo, v44, v158
	s_wait_alu 0xfffd
	v_add_co_ci_u32_e64 v10, null, v45, v159, vcc_lo
	global_load_u16 v9, v[9:10], off
	s_wait_loadcnt 0x1
	v_cvt_f32_f16_e32 v10, v11
	ds_bpermute_b32 v11, v1, v5 offset:20
	s_wait_loadcnt 0x0
	v_cvt_f32_f16_e32 v9, v9
	s_delay_alu instid0(VALU_DEP_1)
	v_add_f32_e32 v2, v2, v9
	s_wait_dscnt 0x0
	v_sub_f32_e32 v10, v10, v11
	ds_bpermute_b32 v11, v1, v4 offset:20
	v_mul_f32_e32 v10, v10, v9
	s_wait_dscnt 0x0
	s_delay_alu instid0(VALU_DEP_1)
	;; [unrolled: 42-line block ×4, first 2 shown]
	v_fmac_f32_e32 v205, v14, v15
	v_add_co_u32 v14, vcc_lo, v72, v158
	s_wait_alu 0xfffd
	v_add_co_ci_u32_e64 v15, null, v73, v159, vcc_lo
	global_load_u16 v16, v[14:15], off
	v_add_co_u32 v14, vcc_lo, v70, v158
	s_wait_alu 0xfffd
	v_add_co_ci_u32_e64 v15, null, v71, v159, vcc_lo
	global_load_u16 v14, v[14:15], off
	s_wait_loadcnt 0x1
	v_cvt_f32_f16_e32 v15, v16
	ds_bpermute_b32 v16, v1, v5 offset:40
	s_wait_dscnt 0x0
	v_sub_f32_e32 v15, v15, v16
	s_wait_loadcnt 0x0
	v_cvt_f32_f16_e32 v16, v14
	s_delay_alu instid0(VALU_DEP_1)
	v_mul_f32_e32 v14, v15, v16
	ds_bpermute_b32 v15, v1, v4 offset:40
	v_add_f32_e32 v2, v2, v16
	s_wait_dscnt 0x0
	v_fmac_f32_e32 v205, v14, v15
	v_add_co_u32 v14, vcc_lo, v76, v158
	s_wait_alu 0xfffd
	v_add_co_ci_u32_e64 v15, null, v77, v159, vcc_lo
	global_load_u16 v17, v[14:15], off
	v_add_co_u32 v14, vcc_lo, v74, v158
	s_wait_alu 0xfffd
	v_add_co_ci_u32_e64 v15, null, v75, v159, vcc_lo
	global_load_u16 v14, v[14:15], off
	s_wait_loadcnt 0x1
	v_cvt_f32_f16_e32 v15, v17
	ds_bpermute_b32 v17, v1, v5 offset:44
	s_wait_dscnt 0x0
	v_sub_f32_e32 v15, v15, v17
	s_wait_loadcnt 0x0
	v_cvt_f32_f16_e32 v17, v14
	s_delay_alu instid0(VALU_DEP_1)
	v_mul_f32_e32 v14, v15, v17
	ds_bpermute_b32 v15, v1, v4 offset:44
	v_add_f32_e32 v2, v2, v17
	s_wait_dscnt 0x0
	;; [unrolled: 21-line block ×18, first 2 shown]
	v_fmac_f32_e32 v205, v14, v15
	v_add_co_u32 v14, vcc_lo, v144, v158
	s_wait_alu 0xfffd
	v_add_co_ci_u32_e64 v15, null, v145, v159, vcc_lo
	global_load_u16 v160, v[14:15], off
	v_add_co_u32 v14, vcc_lo, v142, v158
	s_wait_alu 0xfffd
	v_add_co_ci_u32_e64 v15, null, v143, v159, vcc_lo
	global_load_u16 v14, v[14:15], off
	s_wait_loadcnt 0x1
	v_cvt_f32_f16_e64 v15, v160
	ds_bpermute_b32 v160, v1, v5 offset:112
	s_wait_dscnt 0x0
	v_sub_f32_e32 v15, v15, v160
	s_wait_loadcnt 0x0
	v_cvt_f32_f16_e64 v160, v14
	s_delay_alu instid0(VALU_DEP_1)
	v_mul_f32_e32 v14, v15, v160
	ds_bpermute_b32 v15, v1, v4 offset:112
	v_add_f32_e32 v2, v2, v160
	s_wait_dscnt 0x0
	v_fmac_f32_e32 v205, v14, v15
	v_add_co_u32 v14, vcc_lo, v148, v158
	s_wait_alu 0xfffd
	v_add_co_ci_u32_e64 v15, null, v149, v159, vcc_lo
	global_load_u16 v161, v[14:15], off
	v_add_co_u32 v14, vcc_lo, v146, v158
	s_wait_alu 0xfffd
	v_add_co_ci_u32_e64 v15, null, v147, v159, vcc_lo
	global_load_u16 v14, v[14:15], off
	s_wait_loadcnt 0x1
	v_cvt_f32_f16_e64 v15, v161
	ds_bpermute_b32 v161, v1, v5 offset:116
	s_wait_dscnt 0x0
	v_sub_f32_e32 v15, v15, v161
	s_wait_loadcnt 0x0
	v_cvt_f32_f16_e64 v161, v14
	s_delay_alu instid0(VALU_DEP_1)
	v_mul_f32_e32 v14, v15, v161
	ds_bpermute_b32 v15, v1, v4 offset:116
	v_add_f32_e32 v2, v2, v161
	s_wait_dscnt 0x0
	v_fmac_f32_e32 v205, v14, v15
	v_add_co_u32 v14, vcc_lo, v152, v158
	s_wait_alu 0xfffd
	v_add_co_ci_u32_e64 v15, null, v153, v159, vcc_lo
	global_load_u16 v201, v[14:15], off
	v_add_co_u32 v14, vcc_lo, v150, v158
	s_wait_alu 0xfffd
	v_add_co_ci_u32_e64 v15, null, v151, v159, vcc_lo
	global_load_u16 v14, v[14:15], off
	s_wait_loadcnt 0x1
	v_cvt_f32_f16_e64 v15, v201
	ds_bpermute_b32 v201, v1, v5 offset:120
	ds_bpermute_b32 v5, v1, v5 offset:124
	s_wait_dscnt 0x1
	v_sub_f32_e32 v15, v15, v201
	s_wait_loadcnt 0x0
	v_cvt_f32_f16_e64 v201, v14
	s_delay_alu instid0(VALU_DEP_1)
	v_mul_f32_e32 v14, v15, v201
	ds_bpermute_b32 v15, v1, v4 offset:120
	ds_bpermute_b32 v4, v1, v4 offset:124
	v_add_f32_e32 v2, v2, v201
	s_wait_dscnt 0x1
	v_fmac_f32_e32 v205, v14, v15
	v_add_co_u32 v14, vcc_lo, v156, v158
	s_wait_alu 0xfffd
	v_add_co_ci_u32_e64 v15, null, v157, v159, vcc_lo
	global_load_u16 v203, v[14:15], off
	v_add_co_u32 v14, vcc_lo, v154, v158
	s_wait_alu 0xfffd
	v_add_co_ci_u32_e64 v15, null, v155, v159, vcc_lo
	global_load_u16 v14, v[14:15], off
	s_wait_loadcnt 0x1
	v_cvt_f32_f16_e64 v15, v203
	s_delay_alu instid0(VALU_DEP_1) | instskip(SKIP_2) | instid1(VALU_DEP_1)
	v_sub_f32_e32 v5, v15, v5
	s_wait_loadcnt 0x0
	v_cvt_f32_f16_e32 v14, v14
	v_mul_f32_e32 v5, v5, v14
	v_add_f32_e32 v201, v2, v14
	s_wait_dscnt 0x0
	s_delay_alu instid0(VALU_DEP_2) | instskip(NEXT) | instid1(VALU_DEP_1)
	v_fmac_f32_e32 v205, v5, v4
	v_mov_b32_e32 v203, v205
.LBB84_217:                             ;   in Loop: Header=BB84_145 Depth=1
	scratch_load_b32 v2, off, off           ; 4-byte Folded Reload
	v_add_co_u32 v164, vcc_lo, v164, s18
	s_wait_alu 0xfffd
	v_add_co_ci_u32_e64 v165, null, s19, v165, vcc_lo
	v_add_co_u32 v166, vcc_lo, v166, s18
	s_wait_alu 0xfffd
	v_add_co_ci_u32_e64 v167, null, s19, v167, vcc_lo
	;; [unrolled: 3-line block ×64, first 2 shown]
	s_add_nc_u64 s[22:23], s[22:23], s[8:9]
	s_add_nc_u64 s[20:21], s[20:21], s[8:9]
	s_wait_alu 0xfffe
	v_cmp_ge_i64_e64 s2, s[22:23], s[4:5]
	s_wait_loadcnt 0x0
	v_add_co_u32 v2, vcc_lo, v2, s8
	s_wait_alu 0xfffd
	v_add_co_ci_u32_e64 v202, null, 0, v202, vcc_lo
	scratch_store_b32 off, v2, off          ; 4-byte Folded Spill
	scratch_load_b32 v2, off, off offset:4  ; 4-byte Folded Reload
	s_wait_loadcnt 0x0
	v_add_co_u32 v2, vcc_lo, v2, s18
	scratch_store_b32 off, v2, off offset:4 ; 4-byte Folded Spill
	scratch_load_b32 v2, off, off offset:8  ; 4-byte Folded Reload
	s_wait_loadcnt 0x0
	s_wait_alu 0xfffd
	v_add_co_ci_u32_e64 v2, null, s19, v2, vcc_lo
	scratch_store_b32 off, v2, off offset:8 ; 4-byte Folded Spill
	scratch_load_b32 v2, off, off offset:12 ; 4-byte Folded Reload
	s_wait_loadcnt 0x0
	v_add_co_u32 v2, vcc_lo, v2, s18
	scratch_store_b32 off, v2, off offset:12 ; 4-byte Folded Spill
	scratch_load_b32 v2, off, off offset:16 ; 4-byte Folded Reload
	s_wait_loadcnt 0x0
	s_wait_alu 0xfffd
	v_add_co_ci_u32_e64 v2, null, s19, v2, vcc_lo
	scratch_store_b32 off, v2, off offset:16 ; 4-byte Folded Spill
	scratch_load_b32 v2, off, off offset:20 ; 4-byte Folded Reload
	s_wait_loadcnt 0x0
	v_add_co_u32 v2, vcc_lo, v2, s18
	scratch_store_b32 off, v2, off offset:20 ; 4-byte Folded Spill
	scratch_load_b32 v2, off, off offset:24 ; 4-byte Folded Reload
	;; [unrolled: 9-line block ×35, first 2 shown]
	s_wait_loadcnt 0x0
	s_wait_alu 0xfffd
	v_add_co_ci_u32_e64 v2, null, s19, v2, vcc_lo
	v_add_co_u32 v240, vcc_lo, v240, s18
	s_wait_alu 0xfffd
	v_add_co_ci_u32_e64 v241, null, s19, v241, vcc_lo
	v_add_co_u32 v242, vcc_lo, v242, s18
	;; [unrolled: 3-line block ×26, first 2 shown]
	s_wait_alu 0xfffd
	v_add_co_ci_u32_e64 v200, null, s19, v200, vcc_lo
	s_and_b32 vcc_lo, exec_lo, s2
	scratch_store_b32 off, v2, off offset:288 ; 4-byte Folded Spill
	s_wait_alu 0xfffe
	s_cbranch_vccnz .LBB84_219
; %bb.218:                              ;   in Loop: Header=BB84_145 Depth=1
	v_dual_mov_b32 v238, v201 :: v_dual_mov_b32 v205, v203
	s_branch .LBB84_145
.LBB84_219:
	scratch_load_b32 v228, off, off offset:304 ; 4-byte Folded Reload
.LBB84_220:
	s_mov_b32 s2, ttmp9
	s_mov_b32 s3, 0
	s_wait_alu 0xfffe
	s_lshl_b64 s[2:3], s[2:3], 5
	s_wait_loadcnt 0x0
	s_wait_alu 0xfffe
	v_and_or_b32 v4, 0x3ff, v228, s2
	v_mov_b32_e32 v5, s3
	s_mov_b32 s2, exec_lo
	s_delay_alu instid0(VALU_DEP_1)
	v_cmpx_gt_i64_e64 s[6:7], v[4:5]
	s_cbranch_execz .LBB84_225
; %bb.221:
	s_clause 0x1
	s_load_u16 s4, s[0:1], 0x4e
	s_load_b128 s[0:3], s[0:1], 0x30
	v_bfe_u32 v0, v228, 10, 10
	v_mov_b32_e32 v1, 0
	s_wait_kmcnt 0x0
	s_delay_alu instid0(VALU_DEP_1) | instskip(SKIP_2) | instid1(VALU_DEP_2)
	v_mad_co_u64_u32 v[2:3], null, s4, ttmp7, v[0:1]
	v_lshlrev_b64_e32 v[0:1], 1, v[4:5]
	s_cmp_eq_u64 s[0:1], 0
	v_mul_lo_u32 v3, v3, s6
	s_delay_alu instid0(VALU_DEP_3)
	v_mul_lo_u32 v6, v2, s7
	s_cbranch_scc1 .LBB84_223
; %bb.222:
	v_mad_co_u64_u32 v[4:5], null, v2, s6, 0
	v_cvt_f16_f32_e64 v7, v203
	s_delay_alu instid0(VALU_DEP_2) | instskip(NEXT) | instid1(VALU_DEP_1)
	v_add3_u32 v5, v5, v6, v3
	v_lshlrev_b64_e32 v[4:5], 1, v[4:5]
	s_delay_alu instid0(VALU_DEP_1) | instskip(SKIP_1) | instid1(VALU_DEP_2)
	v_add_co_u32 v4, vcc_lo, s0, v4
	s_wait_alu 0xfffd
	v_add_co_ci_u32_e64 v5, null, s1, v5, vcc_lo
	s_delay_alu instid0(VALU_DEP_2) | instskip(SKIP_1) | instid1(VALU_DEP_2)
	v_add_co_u32 v4, vcc_lo, v4, v0
	s_wait_alu 0xfffd
	v_add_co_ci_u32_e64 v5, null, v5, v1, vcc_lo
	global_store_b16 v[4:5], v7, off
.LBB84_223:
	s_cmp_eq_u64 s[2:3], 0
	s_cbranch_scc1 .LBB84_225
; %bb.224:
	v_mad_co_u64_u32 v[4:5], null, v2, s6, 0
	s_delay_alu instid0(VALU_DEP_1) | instskip(NEXT) | instid1(VALU_DEP_1)
	v_add3_u32 v5, v5, v6, v3
	v_lshlrev_b64_e32 v[2:3], 1, v[4:5]
	v_cvt_f16_f32_e64 v4, v201
	s_delay_alu instid0(VALU_DEP_2) | instskip(SKIP_1) | instid1(VALU_DEP_3)
	v_add_co_u32 v2, vcc_lo, s2, v2
	s_wait_alu 0xfffd
	v_add_co_ci_u32_e64 v3, null, s3, v3, vcc_lo
	s_delay_alu instid0(VALU_DEP_2) | instskip(SKIP_1) | instid1(VALU_DEP_2)
	v_add_co_u32 v0, vcc_lo, v2, v0
	s_wait_alu 0xfffd
	v_add_co_ci_u32_e64 v1, null, v3, v1, vcc_lo
	global_store_b16 v[0:1], v4, off
.LBB84_225:
	s_nop 0
	s_sendmsg sendmsg(MSG_DEALLOC_VGPRS)
	s_endpgm
	.section	.rodata,"a",@progbits
	.p2align	6, 0x0
	.amdhsa_kernel _ZN2at6native12_GLOBAL__N_135GammaBetaBackwardCUDAKernelTemplateIN3c104HalfEfLj32ELj1ELj32ELb1ELb0ELb0EEEvllPKT_S7_PKT0_SA_PS5_SB_
		.amdhsa_group_segment_fixed_size 0
		.amdhsa_private_segment_fixed_size 312
		.amdhsa_kernarg_size 320
		.amdhsa_user_sgpr_count 2
		.amdhsa_user_sgpr_dispatch_ptr 0
		.amdhsa_user_sgpr_queue_ptr 0
		.amdhsa_user_sgpr_kernarg_segment_ptr 1
		.amdhsa_user_sgpr_dispatch_id 0
		.amdhsa_user_sgpr_private_segment_size 0
		.amdhsa_wavefront_size32 1
		.amdhsa_uses_dynamic_stack 0
		.amdhsa_enable_private_segment 1
		.amdhsa_system_sgpr_workgroup_id_x 1
		.amdhsa_system_sgpr_workgroup_id_y 1
		.amdhsa_system_sgpr_workgroup_id_z 0
		.amdhsa_system_sgpr_workgroup_info 0
		.amdhsa_system_vgpr_workitem_id 1
		.amdhsa_next_free_vgpr 256
		.amdhsa_next_free_sgpr 36
		.amdhsa_reserve_vcc 1
		.amdhsa_float_round_mode_32 0
		.amdhsa_float_round_mode_16_64 0
		.amdhsa_float_denorm_mode_32 3
		.amdhsa_float_denorm_mode_16_64 3
		.amdhsa_fp16_overflow 0
		.amdhsa_workgroup_processor_mode 1
		.amdhsa_memory_ordered 1
		.amdhsa_forward_progress 1
		.amdhsa_inst_pref_size 255
		.amdhsa_round_robin_scheduling 0
		.amdhsa_exception_fp_ieee_invalid_op 0
		.amdhsa_exception_fp_denorm_src 0
		.amdhsa_exception_fp_ieee_div_zero 0
		.amdhsa_exception_fp_ieee_overflow 0
		.amdhsa_exception_fp_ieee_underflow 0
		.amdhsa_exception_fp_ieee_inexact 0
		.amdhsa_exception_int_div_zero 0
	.end_amdhsa_kernel
	.section	.text._ZN2at6native12_GLOBAL__N_135GammaBetaBackwardCUDAKernelTemplateIN3c104HalfEfLj32ELj1ELj32ELb1ELb0ELb0EEEvllPKT_S7_PKT0_SA_PS5_SB_,"axG",@progbits,_ZN2at6native12_GLOBAL__N_135GammaBetaBackwardCUDAKernelTemplateIN3c104HalfEfLj32ELj1ELj32ELb1ELb0ELb0EEEvllPKT_S7_PKT0_SA_PS5_SB_,comdat
.Lfunc_end84:
	.size	_ZN2at6native12_GLOBAL__N_135GammaBetaBackwardCUDAKernelTemplateIN3c104HalfEfLj32ELj1ELj32ELb1ELb0ELb0EEEvllPKT_S7_PKT0_SA_PS5_SB_, .Lfunc_end84-_ZN2at6native12_GLOBAL__N_135GammaBetaBackwardCUDAKernelTemplateIN3c104HalfEfLj32ELj1ELj32ELb1ELb0ELb0EEEvllPKT_S7_PKT0_SA_PS5_SB_
                                        ; -- End function
	.set _ZN2at6native12_GLOBAL__N_135GammaBetaBackwardCUDAKernelTemplateIN3c104HalfEfLj32ELj1ELj32ELb1ELb0ELb0EEEvllPKT_S7_PKT0_SA_PS5_SB_.num_vgpr, 256
	.set _ZN2at6native12_GLOBAL__N_135GammaBetaBackwardCUDAKernelTemplateIN3c104HalfEfLj32ELj1ELj32ELb1ELb0ELb0EEEvllPKT_S7_PKT0_SA_PS5_SB_.num_agpr, 0
	.set _ZN2at6native12_GLOBAL__N_135GammaBetaBackwardCUDAKernelTemplateIN3c104HalfEfLj32ELj1ELj32ELb1ELb0ELb0EEEvllPKT_S7_PKT0_SA_PS5_SB_.numbered_sgpr, 36
	.set _ZN2at6native12_GLOBAL__N_135GammaBetaBackwardCUDAKernelTemplateIN3c104HalfEfLj32ELj1ELj32ELb1ELb0ELb0EEEvllPKT_S7_PKT0_SA_PS5_SB_.num_named_barrier, 0
	.set _ZN2at6native12_GLOBAL__N_135GammaBetaBackwardCUDAKernelTemplateIN3c104HalfEfLj32ELj1ELj32ELb1ELb0ELb0EEEvllPKT_S7_PKT0_SA_PS5_SB_.private_seg_size, 312
	.set _ZN2at6native12_GLOBAL__N_135GammaBetaBackwardCUDAKernelTemplateIN3c104HalfEfLj32ELj1ELj32ELb1ELb0ELb0EEEvllPKT_S7_PKT0_SA_PS5_SB_.uses_vcc, 1
	.set _ZN2at6native12_GLOBAL__N_135GammaBetaBackwardCUDAKernelTemplateIN3c104HalfEfLj32ELj1ELj32ELb1ELb0ELb0EEEvllPKT_S7_PKT0_SA_PS5_SB_.uses_flat_scratch, 1
	.set _ZN2at6native12_GLOBAL__N_135GammaBetaBackwardCUDAKernelTemplateIN3c104HalfEfLj32ELj1ELj32ELb1ELb0ELb0EEEvllPKT_S7_PKT0_SA_PS5_SB_.has_dyn_sized_stack, 0
	.set _ZN2at6native12_GLOBAL__N_135GammaBetaBackwardCUDAKernelTemplateIN3c104HalfEfLj32ELj1ELj32ELb1ELb0ELb0EEEvllPKT_S7_PKT0_SA_PS5_SB_.has_recursion, 0
	.set _ZN2at6native12_GLOBAL__N_135GammaBetaBackwardCUDAKernelTemplateIN3c104HalfEfLj32ELj1ELj32ELb1ELb0ELb0EEEvllPKT_S7_PKT0_SA_PS5_SB_.has_indirect_call, 0
	.section	.AMDGPU.csdata,"",@progbits
; Kernel info:
; codeLenInByte = 39588
; TotalNumSgprs: 38
; NumVgprs: 256
; ScratchSize: 312
; MemoryBound: 0
; FloatMode: 240
; IeeeMode: 1
; LDSByteSize: 0 bytes/workgroup (compile time only)
; SGPRBlocks: 0
; VGPRBlocks: 31
; NumSGPRsForWavesPerEU: 38
; NumVGPRsForWavesPerEU: 256
; Occupancy: 5
; WaveLimiterHint : 0
; COMPUTE_PGM_RSRC2:SCRATCH_EN: 1
; COMPUTE_PGM_RSRC2:USER_SGPR: 2
; COMPUTE_PGM_RSRC2:TRAP_HANDLER: 0
; COMPUTE_PGM_RSRC2:TGID_X_EN: 1
; COMPUTE_PGM_RSRC2:TGID_Y_EN: 1
; COMPUTE_PGM_RSRC2:TGID_Z_EN: 0
; COMPUTE_PGM_RSRC2:TIDIG_COMP_CNT: 1
	.section	.text._ZN2at6native12_GLOBAL__N_135GammaBetaBackwardCUDAKernelTemplateIN3c104HalfEfLj32ELj1ELj8ELb1ELb1ELb0EEEvllPKT_S7_PKT0_SA_PS5_SB_,"axG",@progbits,_ZN2at6native12_GLOBAL__N_135GammaBetaBackwardCUDAKernelTemplateIN3c104HalfEfLj32ELj1ELj8ELb1ELb1ELb0EEEvllPKT_S7_PKT0_SA_PS5_SB_,comdat
	.globl	_ZN2at6native12_GLOBAL__N_135GammaBetaBackwardCUDAKernelTemplateIN3c104HalfEfLj32ELj1ELj8ELb1ELb1ELb0EEEvllPKT_S7_PKT0_SA_PS5_SB_ ; -- Begin function _ZN2at6native12_GLOBAL__N_135GammaBetaBackwardCUDAKernelTemplateIN3c104HalfEfLj32ELj1ELj8ELb1ELb1ELb0EEEvllPKT_S7_PKT0_SA_PS5_SB_
	.p2align	8
	.type	_ZN2at6native12_GLOBAL__N_135GammaBetaBackwardCUDAKernelTemplateIN3c104HalfEfLj32ELj1ELj8ELb1ELb1ELb0EEEvllPKT_S7_PKT0_SA_PS5_SB_,@function
_ZN2at6native12_GLOBAL__N_135GammaBetaBackwardCUDAKernelTemplateIN3c104HalfEfLj32ELj1ELj8ELb1ELb1ELb0EEEvllPKT_S7_PKT0_SA_PS5_SB_: ; @_ZN2at6native12_GLOBAL__N_135GammaBetaBackwardCUDAKernelTemplateIN3c104HalfEfLj32ELj1ELj8ELb1ELb1ELb0EEEvllPKT_S7_PKT0_SA_PS5_SB_
; %bb.0:
	s_load_b128 s[12:15], s[0:1], 0x0
	s_lshl_b32 s2, ttmp7, 3
	s_mov_b32 s3, 0
	v_bfe_u32 v6, v0, 10, 10
	s_add_nc_u64 s[20:21], s[0:1], 64
	s_wait_kmcnt 0x0
	v_cmp_gt_i64_e64 s4, s[12:13], s[2:3]
	s_and_b32 vcc_lo, exec_lo, s4
	s_cbranch_vccnz .LBB85_2
; %bb.1:
	v_bfe_u32 v1, v0, 10, 10
	s_add_nc_u64 s[4:5], s[0:1], 64
	s_mov_b32 s6, s3
	s_branch .LBB85_3
.LBB85_2:
	s_mov_b32 s6, -1
                                        ; implicit-def: $sgpr4_sgpr5
                                        ; implicit-def: $vgpr1
.LBB85_3:
	s_load_b128 s[16:19], s[0:1], 0x30
	v_dual_mov_b32 v4, 0 :: v_dual_and_b32 v7, 0x3ff, v0
	v_mov_b32_e32 v5, 0
	s_and_not1_b32 vcc_lo, exec_lo, s6
	s_cbranch_vccnz .LBB85_11
; %bb.4:
	s_load_b32 s22, s[0:1], 0x4c
	v_dual_mov_b32 v1, 0 :: v_dual_lshlrev_b32 v0, 3, v6
	s_clause 0x1
	s_load_b32 s24, s[0:1], 0x44
	s_load_b256 s[4:11], s[0:1], 0x10
	s_mov_b32 s23, 0
	v_dual_mov_b32 v8, 8 :: v_dual_mov_b32 v9, 4
	v_add_co_u32 v2, s0, v0, s2
	s_delay_alu instid0(VALU_DEP_1) | instskip(SKIP_1) | instid1(VALU_DEP_3)
	v_add_co_ci_u32_e64 v3, null, 0, 0, s0
	v_lshl_add_u32 v0, ttmp9, 5, v7
	v_mul_lo_u32 v16, s15, v2
	v_mad_co_u64_u32 v[4:5], null, s14, v2, 0
	s_delay_alu instid0(VALU_DEP_4) | instskip(NEXT) | instid1(VALU_DEP_4)
	v_mul_lo_u32 v17, s14, v3
	v_lshlrev_b64_e32 v[14:15], 1, v[0:1]
	v_dual_mov_b32 v10, 12 :: v_dual_mov_b32 v11, 16
	v_mov_b32_e32 v12, 20
	s_wait_kmcnt 0x0
	s_and_b32 s0, s22, 0xffff
	v_mov_b32_e32 v0, 28
	s_wait_alu 0xfffe
	v_mad_u32_u24 v13, v6, s0, v7
	v_add3_u32 v5, v5, v17, v16
	s_lshl_b32 s22, s24, 3
	s_lshl_b64 s[28:29], s[14:15], 1
	s_mul_u64 s[26:27], s[14:15], s[22:23]
	v_and_b32_e32 v18, 31, v13
	v_lshlrev_b64_e32 v[16:17], 1, v[4:5]
	v_mov_b32_e32 v13, 24
	s_lshl_b64 s[24:25], s[22:23], 2
	s_lshl_b64 s[26:27], s[26:27], 1
	v_add_co_u32 v2, vcc_lo, v2, v18
	s_delay_alu instid0(VALU_DEP_1) | instskip(SKIP_3) | instid1(VALU_DEP_3)
	v_add_co_ci_u32_e64 v3, null, 0, v3, vcc_lo
	v_add_co_u32 v14, vcc_lo, v16, v14
	s_wait_alu 0xfffd
	v_add_co_ci_u32_e64 v15, null, v17, v15, vcc_lo
	v_lshlrev_b64_e32 v[4:5], 2, v[2:3]
	v_mov_b32_e32 v17, 0
	v_cmp_gt_u32_e64 s0, 8, v18
	v_mov_b32_e32 v16, 0
	s_branch .LBB85_7
.LBB85_5:                               ;   in Loop: Header=BB85_7 Depth=1
	s_or_b32 exec_lo, exec_lo, s30
.LBB85_6:                               ;   in Loop: Header=BB85_7 Depth=1
	s_wait_alu 0xfffe
	s_or_b32 exec_lo, exec_lo, s1
	v_add_co_u32 v20, vcc_lo, s4, v14
	s_wait_alu 0xfffd
	v_add_co_ci_u32_e64 v21, null, s5, v15, vcc_lo
	v_add_co_u32 v22, vcc_lo, s6, v14
	s_wait_alu 0xfffd
	v_add_co_ci_u32_e64 v23, null, s7, v15, vcc_lo
	;; [unrolled: 3-line block ×5, first 2 shown]
	global_load_u16 v30, v[20:21], off
	global_load_u16 v31, v[22:23], off
	;; [unrolled: 1-line block ×5, first 2 shown]
	v_add_co_u32 v20, vcc_lo, v26, s28
	s_wait_alu 0xfffd
	v_add_co_ci_u32_e64 v21, null, s29, v27, vcc_lo
	v_add_co_u32 v22, vcc_lo, v28, s28
	s_wait_alu 0xfffd
	v_add_co_ci_u32_e64 v23, null, s29, v29, vcc_lo
	;; [unrolled: 3-line block ×5, first 2 shown]
	global_load_u16 v35, v[20:21], off
	global_load_u16 v36, v[22:23], off
	;; [unrolled: 1-line block ×5, first 2 shown]
	v_add_co_u32 v20, vcc_lo, v26, s28
	s_wait_alu 0xfffd
	v_add_co_ci_u32_e64 v21, null, s29, v27, vcc_lo
	v_add_co_u32 v22, vcc_lo, v28, s28
	s_wait_alu 0xfffd
	v_add_co_ci_u32_e64 v23, null, s29, v29, vcc_lo
	;; [unrolled: 3-line block ×4, first 2 shown]
	global_load_u16 v28, v[20:21], off
	global_load_u16 v29, v[22:23], off
	;; [unrolled: 1-line block ×4, first 2 shown]
	v_add_co_u32 v20, vcc_lo, v26, s28
	s_wait_alu 0xfffd
	v_add_co_ci_u32_e64 v21, null, s29, v27, vcc_lo
	v_add_co_u32 v22, vcc_lo, v24, s28
	s_wait_alu 0xfffd
	v_add_co_ci_u32_e64 v23, null, s29, v25, vcc_lo
	global_load_u16 v20, v[20:21], off
	global_load_u16 v21, v[22:23], off
	s_wait_loadcnt 0x11
	ds_bpermute_b32 v22, v1, v18
	ds_bpermute_b32 v25, v9, v18
	s_wait_loadcnt 0x10
	ds_bpermute_b32 v23, v1, v19
	ds_bpermute_b32 v27, v8, v18
	;; [unrolled: 1-line block ×14, first 2 shown]
	v_add_co_u32 v4, vcc_lo, v4, s24
	s_add_nc_u64 s[2:3], s[2:3], s[22:23]
	s_wait_alu 0xfffd
	v_add_co_ci_u32_e64 v5, null, s25, v5, vcc_lo
	v_add_co_u32 v2, vcc_lo, v2, s22
	s_wait_alu 0xfffe
	v_cmp_lt_i64_e64 s1, s[2:3], s[12:13]
	s_wait_alu 0xfffd
	v_add_co_ci_u32_e64 v3, null, 0, v3, vcc_lo
	v_add_co_u32 v14, vcc_lo, v14, s26
	s_wait_alu 0xfffd
	v_add_co_ci_u32_e64 v15, null, s27, v15, vcc_lo
	s_and_b32 vcc_lo, exec_lo, s1
	s_wait_loadcnt 0xf
	v_cvt_f32_f16_e32 v30, v30
	s_wait_loadcnt 0xe
	v_cvt_f32_f16_e32 v31, v31
	;; [unrolled: 2-line block ×3, first 2 shown]
	s_wait_dscnt 0xf
	s_delay_alu instid0(VALU_DEP_2)
	v_sub_f32_e32 v22, v31, v22
	v_cvt_f32_f16_e32 v31, v32
	s_wait_dscnt 0xe
	v_sub_f32_e32 v25, v33, v25
	s_wait_loadcnt 0xa
	v_cvt_f32_f16_e32 v32, v35
	v_mul_f32_e32 v22, v22, v30
	v_add_f32_e32 v17, v17, v30
	v_cvt_f32_f16_e32 v30, v34
	s_wait_dscnt 0xd
	s_delay_alu instid0(VALU_DEP_3)
	v_fmac_f32_e32 v16, v22, v23
	v_mul_f32_e32 v22, v25, v31
	s_wait_dscnt 0xc
	v_sub_f32_e32 v23, v32, v27
	s_wait_loadcnt 0x8
	v_cvt_f32_f16_e32 v25, v37
	v_add_f32_e32 v17, v17, v31
	v_cvt_f32_f16_e32 v27, v36
	s_wait_dscnt 0xb
	v_fmac_f32_e32 v16, v22, v24
	s_wait_dscnt 0xa
	v_dual_mul_f32 v22, v23, v30 :: v_dual_sub_f32 v23, v25, v43
	s_wait_loadcnt 0x6
	v_cvt_f32_f16_e32 v24, v39
	v_add_f32_e32 v17, v17, v30
	v_cvt_f32_f16_e32 v25, v38
	s_wait_dscnt 0x9
	v_fmac_f32_e32 v16, v22, v26
	s_wait_dscnt 0x8
	v_dual_mul_f32 v22, v23, v27 :: v_dual_sub_f32 v23, v24, v45
	s_wait_loadcnt 0x4
	v_cvt_f32_f16_e32 v24, v29
	v_add_f32_e32 v17, v17, v27
	v_cvt_f32_f16_e32 v26, v28
	s_wait_dscnt 0x7
	s_delay_alu instid0(VALU_DEP_2)
	v_dual_fmac_f32 v16, v22, v42 :: v_dual_add_f32 v17, v17, v25
	s_wait_dscnt 0x6
	v_dual_mul_f32 v22, v23, v25 :: v_dual_sub_f32 v23, v24, v47
	s_wait_loadcnt 0x2
	v_cvt_f32_f16_e32 v24, v41
	v_cvt_f32_f16_e32 v25, v40
	s_wait_loadcnt 0x1
	v_cvt_f32_f16_e32 v20, v20
	s_wait_dscnt 0x5
	v_dual_add_f32 v17, v17, v26 :: v_dual_fmac_f32 v16, v22, v44
	s_wait_dscnt 0x4
	v_dual_mul_f32 v22, v23, v26 :: v_dual_sub_f32 v23, v24, v49
	s_wait_loadcnt 0x0
	v_cvt_f32_f16_e32 v21, v21
	s_wait_dscnt 0x2
	v_dual_add_f32 v17, v17, v25 :: v_dual_sub_f32 v18, v20, v18
	v_fmac_f32_e32 v16, v22, v46
	v_mul_f32_e32 v22, v23, v25
	s_delay_alu instid0(VALU_DEP_3) | instskip(NEXT) | instid1(VALU_DEP_4)
	v_add_f32_e32 v17, v17, v21
	v_mul_f32_e32 v18, v18, v21
	s_wait_dscnt 0x1
	s_delay_alu instid0(VALU_DEP_3) | instskip(SKIP_1) | instid1(VALU_DEP_1)
	v_fmac_f32_e32 v16, v22, v48
	s_wait_dscnt 0x0
	v_fmac_f32_e32 v16, v18, v19
	s_wait_alu 0xfffe
	s_cbranch_vccz .LBB85_10
.LBB85_7:                               ; =>This Inner Loop Header: Depth=1
	v_dual_mov_b32 v19, 0 :: v_dual_mov_b32 v18, 0
	s_delay_alu instid0(VALU_DEP_3)
	s_and_saveexec_b32 s1, s0
	s_cbranch_execz .LBB85_6
; %bb.8:                                ;   in Loop: Header=BB85_7 Depth=1
	v_dual_mov_b32 v18, 0 :: v_dual_mov_b32 v19, 0
	s_mov_b32 s30, exec_lo
	v_cmpx_gt_i64_e64 s[12:13], v[2:3]
	s_cbranch_execz .LBB85_5
; %bb.9:                                ;   in Loop: Header=BB85_7 Depth=1
	v_add_co_u32 v18, vcc_lo, s8, v4
	s_wait_alu 0xfffd
	v_add_co_ci_u32_e64 v19, null, s9, v5, vcc_lo
	v_add_co_u32 v20, vcc_lo, s10, v4
	s_wait_alu 0xfffd
	v_add_co_ci_u32_e64 v21, null, s11, v5, vcc_lo
	global_load_b32 v18, v[18:19], off
	global_load_b32 v19, v[20:21], off
	s_branch .LBB85_5
.LBB85_10:
	s_delay_alu instid0(VALU_DEP_1)
	v_cvt_f16_f32_e32 v5, v16
	v_cvt_f16_f32_e32 v4, v17
	v_mov_b32_e32 v1, v6
	s_mov_b64 s[4:5], s[20:21]
.LBB85_11:
	s_load_u16 s2, s[4:5], 0xe
	v_mov_b32_e32 v2, 0
	s_mov_b32 s0, ttmp9
	s_mov_b32 s1, 0
	s_wait_alu 0xfffe
	s_lshl_b64 s[0:1], s[0:1], 5
	s_wait_kmcnt 0x0
	s_cmp_eq_u64 s[16:17], 0
	s_wait_alu 0xfffe
	v_add_co_u32 v0, s0, s0, v7
	s_wait_alu 0xf1ff
	v_mad_co_u64_u32 v[2:3], null, s2, ttmp7, v[1:2]
	v_add_co_ci_u32_e64 v1, null, s1, 0, s0
	s_delay_alu instid0(VALU_DEP_1) | instskip(NEXT) | instid1(VALU_DEP_3)
	v_lshlrev_b64_e32 v[0:1], 1, v[0:1]
	v_mul_lo_u32 v3, v3, s14
	s_delay_alu instid0(VALU_DEP_4)
	v_mul_lo_u32 v6, v2, s15
	s_cbranch_scc1 .LBB85_13
; %bb.12:
	v_mad_co_u64_u32 v[7:8], null, v2, s14, 0
	s_delay_alu instid0(VALU_DEP_1) | instskip(NEXT) | instid1(VALU_DEP_1)
	v_add3_u32 v8, v8, v6, v3
	v_lshlrev_b64_e32 v[7:8], 1, v[7:8]
	s_delay_alu instid0(VALU_DEP_1) | instskip(SKIP_1) | instid1(VALU_DEP_2)
	v_add_co_u32 v7, vcc_lo, s16, v7
	s_wait_alu 0xfffd
	v_add_co_ci_u32_e64 v8, null, s17, v8, vcc_lo
	s_delay_alu instid0(VALU_DEP_2) | instskip(SKIP_1) | instid1(VALU_DEP_2)
	v_add_co_u32 v7, vcc_lo, v7, v0
	s_wait_alu 0xfffd
	v_add_co_ci_u32_e64 v8, null, v8, v1, vcc_lo
	global_store_b16 v[7:8], v5, off
.LBB85_13:
	s_cmp_eq_u64 s[18:19], 0
	s_cbranch_scc1 .LBB85_15
; %bb.14:
	v_mad_co_u64_u32 v[7:8], null, v2, s14, 0
	s_delay_alu instid0(VALU_DEP_1) | instskip(NEXT) | instid1(VALU_DEP_1)
	v_add3_u32 v8, v8, v6, v3
	v_lshlrev_b64_e32 v[2:3], 1, v[7:8]
	s_delay_alu instid0(VALU_DEP_1) | instskip(SKIP_1) | instid1(VALU_DEP_2)
	v_add_co_u32 v2, vcc_lo, s18, v2
	s_wait_alu 0xfffd
	v_add_co_ci_u32_e64 v3, null, s19, v3, vcc_lo
	s_delay_alu instid0(VALU_DEP_2) | instskip(SKIP_1) | instid1(VALU_DEP_2)
	v_add_co_u32 v0, vcc_lo, v2, v0
	s_wait_alu 0xfffd
	v_add_co_ci_u32_e64 v1, null, v3, v1, vcc_lo
	global_store_b16 v[0:1], v4, off
.LBB85_15:
	s_endpgm
	.section	.rodata,"a",@progbits
	.p2align	6, 0x0
	.amdhsa_kernel _ZN2at6native12_GLOBAL__N_135GammaBetaBackwardCUDAKernelTemplateIN3c104HalfEfLj32ELj1ELj8ELb1ELb1ELb0EEEvllPKT_S7_PKT0_SA_PS5_SB_
		.amdhsa_group_segment_fixed_size 0
		.amdhsa_private_segment_fixed_size 0
		.amdhsa_kernarg_size 320
		.amdhsa_user_sgpr_count 2
		.amdhsa_user_sgpr_dispatch_ptr 0
		.amdhsa_user_sgpr_queue_ptr 0
		.amdhsa_user_sgpr_kernarg_segment_ptr 1
		.amdhsa_user_sgpr_dispatch_id 0
		.amdhsa_user_sgpr_private_segment_size 0
		.amdhsa_wavefront_size32 1
		.amdhsa_uses_dynamic_stack 0
		.amdhsa_enable_private_segment 0
		.amdhsa_system_sgpr_workgroup_id_x 1
		.amdhsa_system_sgpr_workgroup_id_y 1
		.amdhsa_system_sgpr_workgroup_id_z 0
		.amdhsa_system_sgpr_workgroup_info 0
		.amdhsa_system_vgpr_workitem_id 1
		.amdhsa_next_free_vgpr 50
		.amdhsa_next_free_sgpr 31
		.amdhsa_reserve_vcc 1
		.amdhsa_float_round_mode_32 0
		.amdhsa_float_round_mode_16_64 0
		.amdhsa_float_denorm_mode_32 3
		.amdhsa_float_denorm_mode_16_64 3
		.amdhsa_fp16_overflow 0
		.amdhsa_workgroup_processor_mode 1
		.amdhsa_memory_ordered 1
		.amdhsa_forward_progress 1
		.amdhsa_inst_pref_size 15
		.amdhsa_round_robin_scheduling 0
		.amdhsa_exception_fp_ieee_invalid_op 0
		.amdhsa_exception_fp_denorm_src 0
		.amdhsa_exception_fp_ieee_div_zero 0
		.amdhsa_exception_fp_ieee_overflow 0
		.amdhsa_exception_fp_ieee_underflow 0
		.amdhsa_exception_fp_ieee_inexact 0
		.amdhsa_exception_int_div_zero 0
	.end_amdhsa_kernel
	.section	.text._ZN2at6native12_GLOBAL__N_135GammaBetaBackwardCUDAKernelTemplateIN3c104HalfEfLj32ELj1ELj8ELb1ELb1ELb0EEEvllPKT_S7_PKT0_SA_PS5_SB_,"axG",@progbits,_ZN2at6native12_GLOBAL__N_135GammaBetaBackwardCUDAKernelTemplateIN3c104HalfEfLj32ELj1ELj8ELb1ELb1ELb0EEEvllPKT_S7_PKT0_SA_PS5_SB_,comdat
.Lfunc_end85:
	.size	_ZN2at6native12_GLOBAL__N_135GammaBetaBackwardCUDAKernelTemplateIN3c104HalfEfLj32ELj1ELj8ELb1ELb1ELb0EEEvllPKT_S7_PKT0_SA_PS5_SB_, .Lfunc_end85-_ZN2at6native12_GLOBAL__N_135GammaBetaBackwardCUDAKernelTemplateIN3c104HalfEfLj32ELj1ELj8ELb1ELb1ELb0EEEvllPKT_S7_PKT0_SA_PS5_SB_
                                        ; -- End function
	.set _ZN2at6native12_GLOBAL__N_135GammaBetaBackwardCUDAKernelTemplateIN3c104HalfEfLj32ELj1ELj8ELb1ELb1ELb0EEEvllPKT_S7_PKT0_SA_PS5_SB_.num_vgpr, 50
	.set _ZN2at6native12_GLOBAL__N_135GammaBetaBackwardCUDAKernelTemplateIN3c104HalfEfLj32ELj1ELj8ELb1ELb1ELb0EEEvllPKT_S7_PKT0_SA_PS5_SB_.num_agpr, 0
	.set _ZN2at6native12_GLOBAL__N_135GammaBetaBackwardCUDAKernelTemplateIN3c104HalfEfLj32ELj1ELj8ELb1ELb1ELb0EEEvllPKT_S7_PKT0_SA_PS5_SB_.numbered_sgpr, 31
	.set _ZN2at6native12_GLOBAL__N_135GammaBetaBackwardCUDAKernelTemplateIN3c104HalfEfLj32ELj1ELj8ELb1ELb1ELb0EEEvllPKT_S7_PKT0_SA_PS5_SB_.num_named_barrier, 0
	.set _ZN2at6native12_GLOBAL__N_135GammaBetaBackwardCUDAKernelTemplateIN3c104HalfEfLj32ELj1ELj8ELb1ELb1ELb0EEEvllPKT_S7_PKT0_SA_PS5_SB_.private_seg_size, 0
	.set _ZN2at6native12_GLOBAL__N_135GammaBetaBackwardCUDAKernelTemplateIN3c104HalfEfLj32ELj1ELj8ELb1ELb1ELb0EEEvllPKT_S7_PKT0_SA_PS5_SB_.uses_vcc, 1
	.set _ZN2at6native12_GLOBAL__N_135GammaBetaBackwardCUDAKernelTemplateIN3c104HalfEfLj32ELj1ELj8ELb1ELb1ELb0EEEvllPKT_S7_PKT0_SA_PS5_SB_.uses_flat_scratch, 0
	.set _ZN2at6native12_GLOBAL__N_135GammaBetaBackwardCUDAKernelTemplateIN3c104HalfEfLj32ELj1ELj8ELb1ELb1ELb0EEEvllPKT_S7_PKT0_SA_PS5_SB_.has_dyn_sized_stack, 0
	.set _ZN2at6native12_GLOBAL__N_135GammaBetaBackwardCUDAKernelTemplateIN3c104HalfEfLj32ELj1ELj8ELb1ELb1ELb0EEEvllPKT_S7_PKT0_SA_PS5_SB_.has_recursion, 0
	.set _ZN2at6native12_GLOBAL__N_135GammaBetaBackwardCUDAKernelTemplateIN3c104HalfEfLj32ELj1ELj8ELb1ELb1ELb0EEEvllPKT_S7_PKT0_SA_PS5_SB_.has_indirect_call, 0
	.section	.AMDGPU.csdata,"",@progbits
; Kernel info:
; codeLenInByte = 1828
; TotalNumSgprs: 33
; NumVgprs: 50
; ScratchSize: 0
; MemoryBound: 0
; FloatMode: 240
; IeeeMode: 1
; LDSByteSize: 0 bytes/workgroup (compile time only)
; SGPRBlocks: 0
; VGPRBlocks: 6
; NumSGPRsForWavesPerEU: 33
; NumVGPRsForWavesPerEU: 50
; Occupancy: 16
; WaveLimiterHint : 0
; COMPUTE_PGM_RSRC2:SCRATCH_EN: 0
; COMPUTE_PGM_RSRC2:USER_SGPR: 2
; COMPUTE_PGM_RSRC2:TRAP_HANDLER: 0
; COMPUTE_PGM_RSRC2:TGID_X_EN: 1
; COMPUTE_PGM_RSRC2:TGID_Y_EN: 1
; COMPUTE_PGM_RSRC2:TGID_Z_EN: 0
; COMPUTE_PGM_RSRC2:TIDIG_COMP_CNT: 1
	.section	.text._ZN2at6native12_GLOBAL__N_135GammaBetaBackwardCUDAKernelTemplateIN3c104HalfEfLj32ELj1ELj8ELb1ELb0ELb0EEEvllPKT_S7_PKT0_SA_PS5_SB_,"axG",@progbits,_ZN2at6native12_GLOBAL__N_135GammaBetaBackwardCUDAKernelTemplateIN3c104HalfEfLj32ELj1ELj8ELb1ELb0ELb0EEEvllPKT_S7_PKT0_SA_PS5_SB_,comdat
	.globl	_ZN2at6native12_GLOBAL__N_135GammaBetaBackwardCUDAKernelTemplateIN3c104HalfEfLj32ELj1ELj8ELb1ELb0ELb0EEEvllPKT_S7_PKT0_SA_PS5_SB_ ; -- Begin function _ZN2at6native12_GLOBAL__N_135GammaBetaBackwardCUDAKernelTemplateIN3c104HalfEfLj32ELj1ELj8ELb1ELb0ELb0EEEvllPKT_S7_PKT0_SA_PS5_SB_
	.p2align	8
	.type	_ZN2at6native12_GLOBAL__N_135GammaBetaBackwardCUDAKernelTemplateIN3c104HalfEfLj32ELj1ELj8ELb1ELb0ELb0EEEvllPKT_S7_PKT0_SA_PS5_SB_,@function
_ZN2at6native12_GLOBAL__N_135GammaBetaBackwardCUDAKernelTemplateIN3c104HalfEfLj32ELj1ELj8ELb1ELb0ELb0EEEvllPKT_S7_PKT0_SA_PS5_SB_: ; @_ZN2at6native12_GLOBAL__N_135GammaBetaBackwardCUDAKernelTemplateIN3c104HalfEfLj32ELj1ELj8ELb1ELb0ELb0EEEvllPKT_S7_PKT0_SA_PS5_SB_
; %bb.0:
	s_clause 0x1
	s_load_b256 s[4:11], s[0:1], 0x0
	s_load_b128 s[12:15], s[0:1], 0x20
	s_lshl_b32 s30, ttmp9, 5
	s_mov_b32 s17, 0
	s_or_b32 s16, s30, 31
	s_wait_kmcnt 0x0
	v_cmp_le_i64_e64 s2, s[6:7], s[16:17]
	s_lshl_b32 s16, ttmp7, 3
	s_wait_alu 0xfffe
	v_cmp_gt_i64_e64 s31, s[4:5], s[16:17]
	s_and_b32 vcc_lo, exec_lo, s2
	v_cndmask_b32_e64 v1, 0, 1, s31
	s_delay_alu instid0(VALU_DEP_1)
	v_cmp_ne_u32_e64 s2, 1, v1
	s_cbranch_vccz .LBB86_49
; %bb.1:
	v_mov_b32_e32 v10, 0
	v_mov_b32_e32 v58, 0
	s_and_b32 vcc_lo, exec_lo, s2
	s_cbranch_vccnz .LBB86_50
; %bb.2:
	v_bfe_u32 v22, v0, 10, 10
	v_dual_mov_b32 v1, 0 :: v_dual_and_b32 v24, 0x3ff, v0
	s_load_b32 s3, s[0:1], 0x44
	s_mov_b32 s19, 0
	s_delay_alu instid0(VALU_DEP_2) | instskip(NEXT) | instid1(VALU_DEP_2)
	v_dual_mov_b32 v58, 0 :: v_dual_lshlrev_b32 v23, 3, v22
	v_dual_mov_b32 v5, v1 :: v_dual_add_nc_u32 v4, s30, v24
	s_mov_b32 s23, s19
	s_delay_alu instid0(VALU_DEP_2) | instskip(NEXT) | instid1(VALU_DEP_1)
	v_add_co_u32 v10, s2, v23, s16
	v_add_co_ci_u32_e64 v11, null, 0, 0, s2
	s_delay_alu instid0(VALU_DEP_3) | instskip(NEXT) | instid1(VALU_DEP_3)
	v_cmp_gt_i64_e64 s2, s[6:7], v[4:5]
	v_mul_lo_u32 v6, s7, v10
	v_mad_co_u64_u32 v[2:3], null, s6, v10, 0
	s_delay_alu instid0(VALU_DEP_4)
	v_mul_lo_u32 v7, s6, v11
	v_lshlrev_b64_e32 v[18:19], 1, v[4:5]
	v_mov_b32_e32 v25, v1
	v_mov_b32_e32 v59, 0
	s_add_nc_u64 s[20:21], s[0:1], 64
	s_wait_kmcnt 0x0
	s_lshl_b32 s22, s3, 3
	s_mov_b64 s[26:27], 7
	s_mul_u64 s[24:25], s[6:7], s[22:23]
	v_add3_u32 v3, v3, v7, v6
	v_add_co_u32 v6, vcc_lo, v10, 7
	s_delay_alu instid0(VALU_DEP_1)
	v_add_co_ci_u32_e64 v7, null, 0, v11, vcc_lo
	v_add_co_u32 v8, vcc_lo, v10, 6
	s_wait_alu 0xfffd
	v_add_co_ci_u32_e64 v9, null, 0, v11, vcc_lo
	v_lshlrev_b64_e32 v[4:5], 1, v[2:3]
	v_mul_lo_u32 v12, s7, v6
	v_mul_lo_u32 v13, s6, v7
	v_mad_co_u64_u32 v[6:7], null, s6, v6, 0
	v_mul_lo_u32 v14, s7, v8
	v_mul_lo_u32 v15, s6, v9
	v_mad_co_u64_u32 v[8:9], null, s6, v8, 0
	v_add_co_u32 v26, vcc_lo, s8, v4
	s_wait_alu 0xfffd
	v_add_co_ci_u32_e64 v27, null, s9, v5, vcc_lo
	v_add_co_u32 v28, vcc_lo, s10, v4
	v_add3_u32 v7, v7, v13, v12
	s_wait_alu 0xfffd
	v_add_co_ci_u32_e64 v29, null, s11, v5, vcc_lo
	v_add_co_u32 v12, vcc_lo, v10, 5
	v_add3_u32 v9, v9, v15, v14
	s_wait_alu 0xfffd
	v_add_co_ci_u32_e64 v13, null, 0, v11, vcc_lo
	v_lshlrev_b64_e32 v[4:5], 1, v[6:7]
	v_mul_lo_u32 v14, s7, v12
	v_lshlrev_b64_e32 v[6:7], 1, v[8:9]
	s_delay_alu instid0(VALU_DEP_4)
	v_mul_lo_u32 v13, s6, v13
	v_mad_co_u64_u32 v[8:9], null, s6, v12, 0
	v_add_co_u32 v30, vcc_lo, s8, v4
	s_wait_alu 0xfffd
	v_add_co_ci_u32_e64 v31, null, s9, v5, vcc_lo
	v_add_co_u32 v32, vcc_lo, s10, v4
	s_wait_alu 0xfffd
	v_add_co_ci_u32_e64 v33, null, s11, v5, vcc_lo
	v_add_co_u32 v34, vcc_lo, s8, v6
	v_add3_u32 v9, v9, v13, v14
	s_wait_alu 0xfffd
	v_add_co_ci_u32_e64 v35, null, s9, v7, vcc_lo
	v_add_co_u32 v12, vcc_lo, v10, 4
	v_add_co_u32 v36, s3, s10, v6
	s_wait_alu 0xfffd
	v_add_co_ci_u32_e64 v6, null, 0, v11, vcc_lo
	v_lshlrev_b64_e32 v[4:5], 1, v[8:9]
	v_add_co_u32 v8, vcc_lo, v10, 3
	s_wait_alu 0xfffd
	v_add_co_ci_u32_e64 v9, null, 0, v11, vcc_lo
	s_wait_alu 0xf1ff
	v_add_co_ci_u32_e64 v37, null, s11, v7, s3
	v_mul_lo_u32 v13, s7, v12
	v_mul_lo_u32 v14, s6, v6
	v_mad_co_u64_u32 v[6:7], null, s6, v12, 0
	v_mul_lo_u32 v12, s7, v8
	v_mul_lo_u32 v15, s6, v9
	v_mad_co_u64_u32 v[8:9], null, s6, v8, 0
	v_add_co_u32 v38, vcc_lo, s8, v4
	s_wait_alu 0xfffd
	v_add_co_ci_u32_e64 v39, null, s9, v5, vcc_lo
	v_add3_u32 v7, v7, v14, v13
	v_add_co_u32 v40, vcc_lo, s10, v4
	s_wait_alu 0xfffd
	v_add_co_ci_u32_e64 v41, null, s11, v5, vcc_lo
	v_add_co_u32 v10, vcc_lo, v10, 2
	v_add3_u32 v9, v9, v15, v12
	s_wait_alu 0xfffd
	v_add_co_ci_u32_e64 v11, null, 0, v11, vcc_lo
	v_lshlrev_b64_e32 v[4:5], 1, v[6:7]
	v_mul_lo_u32 v12, s7, v10
	v_lshlrev_b64_e32 v[6:7], 1, v[8:9]
	s_delay_alu instid0(VALU_DEP_4)
	v_mul_lo_u32 v11, s6, v11
	v_mad_co_u64_u32 v[8:9], null, s6, v10, 0
	v_add_co_u32 v42, vcc_lo, s8, v4
	s_wait_alu 0xfffd
	v_add_co_ci_u32_e64 v43, null, s9, v5, vcc_lo
	v_add_co_u32 v44, vcc_lo, s10, v4
	s_wait_alu 0xfffd
	v_add_co_ci_u32_e64 v45, null, s11, v5, vcc_lo
	;; [unrolled: 3-line block ×3, first 2 shown]
	v_add3_u32 v9, v9, v11, v12
	v_add_co_u32 v48, vcc_lo, s10, v6
	s_wait_alu 0xfffd
	v_add_co_ci_u32_e64 v49, null, s11, v7, vcc_lo
	v_add_co_u32 v2, vcc_lo, v2, s6
	s_wait_alu 0xfffd
	v_add_co_ci_u32_e64 v3, null, s7, v3, vcc_lo
	v_lshlrev_b64_e32 v[4:5], 1, v[8:9]
	s_lshl_b64 s[24:25], s[24:25], 1
	s_mov_b64 s[28:29], s[16:17]
	s_delay_alu instid0(VALU_DEP_2) | instskip(NEXT) | instid1(VALU_DEP_2)
	v_lshlrev_b64_e32 v[2:3], 1, v[2:3]
	v_add_co_u32 v50, vcc_lo, s8, v4
	s_wait_alu 0xfffd
	v_add_co_ci_u32_e64 v51, null, s9, v5, vcc_lo
	v_add_co_u32 v52, vcc_lo, s10, v4
	s_wait_alu 0xfffd
	v_add_co_ci_u32_e64 v53, null, s11, v5, vcc_lo
	;; [unrolled: 3-line block ×4, first 2 shown]
.LBB86_3:                               ; =>This Inner Loop Header: Depth=1
	s_add_nc_u64 s[34:35], s[16:17], s[26:27]
	v_add_co_u32 v20, vcc_lo, s16, v23
	s_wait_alu 0xfffe
	v_cmp_ge_i64_e64 s3, s[34:35], s[4:5]
	s_wait_alu 0xfffd
	v_add_co_ci_u32_e64 v21, null, 0, v25, vcc_lo
                                        ; implicit-def: $vgpr10_vgpr11_vgpr12_vgpr13_vgpr14_vgpr15_vgpr16_vgpr17
                                        ; implicit-def: $vgpr2_vgpr3_vgpr4_vgpr5_vgpr6_vgpr7_vgpr8_vgpr9
                                        ; implicit-def: $vgpr61
                                        ; implicit-def: $vgpr2
                                        ; implicit-def: $vgpr10
                                        ; implicit-def: $vgpr3
	s_and_b32 vcc_lo, exec_lo, s3
	s_mov_b32 s3, -1
	s_wait_alu 0xfffe
	s_cbranch_vccz .LBB86_25
; %bb.4:                                ;   in Loop: Header=BB86_3 Depth=1
	s_load_b32 s3, s[20:21], 0xc
	v_dual_mov_b32 v60, 0 :: v_dual_mov_b32 v61, 0
	s_wait_kmcnt 0x0
	s_and_b32 s3, s3, 0xffff
	s_wait_alu 0xfffe
	v_mad_u32_u24 v2, v22, s3, v24
	s_mov_b32 s3, exec_lo
	s_delay_alu instid0(VALU_DEP_1) | instskip(NEXT) | instid1(VALU_DEP_1)
	v_and_b32_e32 v2, 31, v2
	v_cmpx_gt_u32_e32 8, v2
	s_cbranch_execz .LBB86_8
; %bb.5:                                ;   in Loop: Header=BB86_3 Depth=1
	v_add_co_u32 v2, vcc_lo, v20, v2
	s_wait_alu 0xfffd
	v_add_co_ci_u32_e64 v3, null, 0, v21, vcc_lo
	v_dual_mov_b32 v60, 0 :: v_dual_mov_b32 v61, 0
	s_mov_b32 s18, exec_lo
	s_delay_alu instid0(VALU_DEP_2)
	v_cmpx_gt_i64_e64 s[4:5], v[2:3]
	s_cbranch_execz .LBB86_7
; %bb.6:                                ;   in Loop: Header=BB86_3 Depth=1
	v_lshlrev_b64_e32 v[2:3], 2, v[2:3]
	s_delay_alu instid0(VALU_DEP_1) | instskip(SKIP_1) | instid1(VALU_DEP_2)
	v_add_co_u32 v4, vcc_lo, s12, v2
	s_wait_alu 0xfffd
	v_add_co_ci_u32_e64 v5, null, s13, v3, vcc_lo
	v_add_co_u32 v2, vcc_lo, s14, v2
	s_wait_alu 0xfffd
	v_add_co_ci_u32_e64 v3, null, s15, v3, vcc_lo
	global_load_b32 v60, v[4:5], off
	global_load_b32 v61, v[2:3], off
.LBB86_7:                               ;   in Loop: Header=BB86_3 Depth=1
	s_or_b32 exec_lo, exec_lo, s18
.LBB86_8:                               ;   in Loop: Header=BB86_3 Depth=1
	s_wait_alu 0xfffe
	s_or_b32 exec_lo, exec_lo, s3
	v_mov_b32_e32 v8, v1
	v_dual_mov_b32 v2, v1 :: v_dual_mov_b32 v3, v1
	v_dual_mov_b32 v4, v1 :: v_dual_mov_b32 v5, v1
	;; [unrolled: 1-line block ×3, first 2 shown]
	v_cmp_gt_i64_e32 vcc_lo, s[4:5], v[20:21]
	s_delay_alu instid0(VALU_DEP_3) | instskip(NEXT) | instid1(VALU_DEP_3)
	v_dual_mov_b32 v17, v8 :: v_dual_mov_b32 v14, v5
	v_dual_mov_b32 v15, v6 :: v_dual_mov_b32 v16, v7
	;; [unrolled: 1-line block ×4, first 2 shown]
	v_mov_b32_e32 v9, v8
	v_mov_b32_e32 v8, v7
	;; [unrolled: 1-line block ×8, first 2 shown]
	s_and_b32 s18, s2, vcc_lo
	s_delay_alu instid0(SALU_CYCLE_1)
	s_and_saveexec_b32 s3, s18
	s_cbranch_execz .LBB86_10
; %bb.9:                                ;   in Loop: Header=BB86_3 Depth=1
	v_add_co_u32 v2, vcc_lo, v26, v18
	s_wait_alu 0xfffd
	v_add_co_ci_u32_e64 v3, null, v27, v19, vcc_lo
	v_add_co_u32 v4, vcc_lo, v28, v18
	s_wait_alu 0xfffd
	v_add_co_ci_u32_e64 v5, null, v29, v19, vcc_lo
	global_load_u16 v2, v[2:3], off
	global_load_u16 v10, v[4:5], off
	v_dual_mov_b32 v3, v1 :: v_dual_mov_b32 v4, v1
	v_dual_mov_b32 v5, v1 :: v_dual_mov_b32 v6, v1
	;; [unrolled: 1-line block ×6, first 2 shown]
	v_mov_b32_e32 v15, v1
	v_mov_b32_e32 v17, v1
	s_wait_loadcnt 0x1
	v_cvt_f32_f16_e32 v2, v2
	s_wait_loadcnt 0x0
	v_cvt_f32_f16_e32 v10, v10
.LBB86_10:                              ;   in Loop: Header=BB86_3 Depth=1
	s_wait_alu 0xfffe
	s_or_b32 exec_lo, exec_lo, s3
	v_add_co_u32 v62, vcc_lo, v20, 1
	s_wait_alu 0xfffd
	v_add_co_ci_u32_e64 v63, null, 0, v21, vcc_lo
	s_delay_alu instid0(VALU_DEP_1) | instskip(SKIP_1) | instid1(SALU_CYCLE_1)
	v_cmp_gt_i64_e32 vcc_lo, s[4:5], v[62:63]
	s_and_b32 s18, s2, vcc_lo
	s_and_saveexec_b32 s3, s18
	s_cbranch_execz .LBB86_12
; %bb.11:                               ;   in Loop: Header=BB86_3 Depth=1
	v_add_co_u32 v62, vcc_lo, v54, v18
	s_wait_alu 0xfffd
	v_add_co_ci_u32_e64 v63, null, v55, v19, vcc_lo
	v_add_co_u32 v64, vcc_lo, v56, v18
	s_wait_alu 0xfffd
	v_add_co_ci_u32_e64 v65, null, v57, v19, vcc_lo
	global_load_u16 v3, v[62:63], off
	global_load_u16 v11, v[64:65], off
	s_wait_loadcnt 0x1
	v_cvt_f32_f16_e32 v3, v3
	s_wait_loadcnt 0x0
	v_cvt_f32_f16_e32 v11, v11
.LBB86_12:                              ;   in Loop: Header=BB86_3 Depth=1
	s_wait_alu 0xfffe
	s_or_b32 exec_lo, exec_lo, s3
	v_add_co_u32 v62, vcc_lo, v20, 2
	s_wait_alu 0xfffd
	v_add_co_ci_u32_e64 v63, null, 0, v21, vcc_lo
	s_delay_alu instid0(VALU_DEP_1) | instskip(SKIP_1) | instid1(SALU_CYCLE_1)
	v_cmp_gt_i64_e32 vcc_lo, s[4:5], v[62:63]
	s_and_b32 s18, s2, vcc_lo
	s_and_saveexec_b32 s3, s18
	s_cbranch_execz .LBB86_14
; %bb.13:                               ;   in Loop: Header=BB86_3 Depth=1
	v_add_co_u32 v62, vcc_lo, v50, v18
	s_wait_alu 0xfffd
	v_add_co_ci_u32_e64 v63, null, v51, v19, vcc_lo
	v_add_co_u32 v64, vcc_lo, v52, v18
	s_wait_alu 0xfffd
	v_add_co_ci_u32_e64 v65, null, v53, v19, vcc_lo
	global_load_u16 v4, v[62:63], off
	global_load_u16 v12, v[64:65], off
	s_wait_loadcnt 0x1
	v_cvt_f32_f16_e32 v4, v4
	s_wait_loadcnt 0x0
	v_cvt_f32_f16_e32 v12, v12
.LBB86_14:                              ;   in Loop: Header=BB86_3 Depth=1
	;; [unrolled: 24-line block ×7, first 2 shown]
	s_wait_alu 0xfffe
	s_or_b32 exec_lo, exec_lo, s3
	s_wait_loadcnt 0x1
	ds_bpermute_b32 v62, v1, v60
	ds_bpermute_b32 v63, v1, v60 offset:4
	ds_bpermute_b32 v64, v1, v60 offset:8
	s_wait_loadcnt 0x0
	ds_bpermute_b32 v65, v1, v61
	ds_bpermute_b32 v66, v1, v60 offset:12
	ds_bpermute_b32 v67, v1, v61 offset:4
	;; [unrolled: 1-line block ×7, first 2 shown]
	s_mov_b32 s3, 0
	s_wait_dscnt 0x9
	v_dual_sub_f32 v10, v10, v62 :: v_dual_sub_f32 v11, v11, v63
	v_add_f32_e32 v62, v58, v2
	s_wait_dscnt 0x8
	v_sub_f32_e32 v12, v12, v64
	ds_bpermute_b32 v63, v1, v61 offset:16
	ds_bpermute_b32 v64, v1, v61 offset:20
	v_mul_f32_e32 v11, v3, v11
	v_add_f32_e32 v3, v3, v62
	s_delay_alu instid0(VALU_DEP_1) | instskip(SKIP_1) | instid1(VALU_DEP_1)
	v_dual_mul_f32 v2, v2, v10 :: v_dual_add_f32 v3, v4, v3
	s_wait_dscnt 0x9
	v_fma_f32 v10, v2, v65, v59
	s_wait_dscnt 0x8
	v_sub_f32_e32 v2, v13, v66
	ds_bpermute_b32 v65, v1, v61 offset:24
	ds_bpermute_b32 v61, v1, v61 offset:28
	v_add_f32_e32 v3, v5, v3
	s_wait_dscnt 0x8
	v_dual_fmac_f32 v10, v11, v67 :: v_dual_sub_f32 v11, v14, v68
	v_dual_mul_f32 v12, v4, v12 :: v_dual_mul_f32 v13, v5, v2
	s_wait_dscnt 0x5
	v_dual_sub_f32 v5, v16, v72 :: v_dual_sub_f32 v4, v15, v71
	ds_bpermute_b32 v2, v1, v60 offset:28
	v_dual_fmac_f32 v10, v12, v69 :: v_dual_mul_f32 v11, v6, v11
	v_dual_mul_f32 v5, v8, v5 :: v_dual_mul_f32 v4, v7, v4
	s_wait_dscnt 0x5
	s_delay_alu instid0(VALU_DEP_2) | instskip(NEXT) | instid1(VALU_DEP_1)
	v_dual_add_f32 v3, v6, v3 :: v_dual_fmac_f32 v10, v13, v70
	v_add_f32_e32 v3, v7, v3
	s_wait_dscnt 0x4
	s_delay_alu instid0(VALU_DEP_2) | instskip(NEXT) | instid1(VALU_DEP_2)
	v_fmac_f32_e32 v10, v11, v63
	v_add_f32_e32 v3, v8, v3
	s_wait_dscnt 0x3
	s_delay_alu instid0(VALU_DEP_2) | instskip(SKIP_1) | instid1(VALU_DEP_1)
	v_fmac_f32_e32 v10, v4, v64
	s_wait_dscnt 0x2
	v_fmac_f32_e32 v10, v5, v65
.LBB86_25:                              ;   in Loop: Header=BB86_3 Depth=1
	s_wait_alu 0xfffe
	s_and_b32 vcc_lo, exec_lo, s3
	s_wait_alu 0xfffe
	s_cbranch_vccz .LBB86_40
; %bb.26:                               ;   in Loop: Header=BB86_3 Depth=1
	s_load_b32 s3, s[20:21], 0x0
	s_wait_dscnt 0x1
	v_dual_mov_b32 v60, 0 :: v_dual_mov_b32 v61, 0
	s_wait_kmcnt 0x0
	s_cmp_lt_u32 ttmp9, s3
	s_cselect_b32 s18, 12, 18
	s_delay_alu instid0(SALU_CYCLE_1)
	s_add_nc_u64 s[34:35], s[20:21], s[18:19]
	s_load_u16 s3, s[34:35], 0x0
	s_wait_dscnt 0x0
	s_wait_kmcnt 0x0
	v_mad_u32_u24 v2, v22, s3, v24
	s_mov_b32 s3, exec_lo
	s_delay_alu instid0(VALU_DEP_1) | instskip(NEXT) | instid1(VALU_DEP_1)
	v_and_b32_e32 v2, 31, v2
	v_cmpx_gt_u32_e32 8, v2
	s_cbranch_execz .LBB86_30
; %bb.27:                               ;   in Loop: Header=BB86_3 Depth=1
	v_add_co_u32 v2, vcc_lo, v20, v2
	s_wait_alu 0xfffd
	v_add_co_ci_u32_e64 v3, null, 0, v21, vcc_lo
	v_dual_mov_b32 v60, 0 :: v_dual_mov_b32 v61, 0
	s_mov_b32 s18, exec_lo
	s_delay_alu instid0(VALU_DEP_2)
	v_cmpx_gt_i64_e64 s[4:5], v[2:3]
	s_cbranch_execz .LBB86_29
; %bb.28:                               ;   in Loop: Header=BB86_3 Depth=1
	v_lshlrev_b64_e32 v[2:3], 2, v[2:3]
	s_delay_alu instid0(VALU_DEP_1) | instskip(SKIP_1) | instid1(VALU_DEP_2)
	v_add_co_u32 v4, vcc_lo, s12, v2
	s_wait_alu 0xfffd
	v_add_co_ci_u32_e64 v5, null, s13, v3, vcc_lo
	v_add_co_u32 v2, vcc_lo, s14, v2
	s_wait_alu 0xfffd
	v_add_co_ci_u32_e64 v3, null, s15, v3, vcc_lo
	global_load_b32 v60, v[4:5], off
	global_load_b32 v61, v[2:3], off
.LBB86_29:                              ;   in Loop: Header=BB86_3 Depth=1
	s_or_b32 exec_lo, exec_lo, s18
.LBB86_30:                              ;   in Loop: Header=BB86_3 Depth=1
	s_wait_alu 0xfffe
	s_or_b32 exec_lo, exec_lo, s3
	v_mov_b32_e32 v8, v1
	v_dual_mov_b32 v2, v1 :: v_dual_mov_b32 v3, v1
	v_dual_mov_b32 v4, v1 :: v_dual_mov_b32 v5, v1
	;; [unrolled: 1-line block ×3, first 2 shown]
	s_delay_alu instid0(VALU_DEP_4) | instskip(NEXT) | instid1(VALU_DEP_3)
	v_mov_b32_e32 v17, v8
	v_dual_mov_b32 v13, v4 :: v_dual_mov_b32 v12, v3
	s_delay_alu instid0(VALU_DEP_3) | instskip(NEXT) | instid1(VALU_DEP_4)
	v_dual_mov_b32 v15, v6 :: v_dual_mov_b32 v14, v5
	v_dual_mov_b32 v16, v7 :: v_dual_mov_b32 v11, v2
	;; [unrolled: 1-line block ×3, first 2 shown]
	v_mov_b32_e32 v8, v7
	v_mov_b32_e32 v7, v6
	;; [unrolled: 1-line block ×7, first 2 shown]
	s_and_saveexec_b32 s3, s2
	s_cbranch_execnz .LBB86_42
; %bb.31:                               ;   in Loop: Header=BB86_3 Depth=1
	s_wait_alu 0xfffe
	s_or_b32 exec_lo, exec_lo, s3
	s_and_saveexec_b32 s3, s2
	s_cbranch_execnz .LBB86_43
.LBB86_32:                              ;   in Loop: Header=BB86_3 Depth=1
	s_wait_alu 0xfffe
	s_or_b32 exec_lo, exec_lo, s3
	s_and_saveexec_b32 s3, s2
	s_cbranch_execnz .LBB86_44
.LBB86_33:                              ;   in Loop: Header=BB86_3 Depth=1
	s_wait_alu 0xfffe
	s_or_b32 exec_lo, exec_lo, s3
	s_and_saveexec_b32 s3, s2
	s_cbranch_execnz .LBB86_45
.LBB86_34:                              ;   in Loop: Header=BB86_3 Depth=1
	s_wait_alu 0xfffe
	s_or_b32 exec_lo, exec_lo, s3
	s_and_saveexec_b32 s3, s2
	s_cbranch_execnz .LBB86_46
.LBB86_35:                              ;   in Loop: Header=BB86_3 Depth=1
	s_wait_alu 0xfffe
	s_or_b32 exec_lo, exec_lo, s3
	s_and_saveexec_b32 s3, s2
	s_cbranch_execnz .LBB86_47
.LBB86_36:                              ;   in Loop: Header=BB86_3 Depth=1
	s_wait_alu 0xfffe
	s_or_b32 exec_lo, exec_lo, s3
	s_and_saveexec_b32 s3, s2
	s_cbranch_execnz .LBB86_48
.LBB86_37:                              ;   in Loop: Header=BB86_3 Depth=1
	s_wait_alu 0xfffe
	s_or_b32 exec_lo, exec_lo, s3
	s_and_saveexec_b32 s3, s2
	s_cbranch_execz .LBB86_39
.LBB86_38:                              ;   in Loop: Header=BB86_3 Depth=1
	v_add_co_u32 v20, vcc_lo, v30, v18
	s_wait_alu 0xfffd
	v_add_co_ci_u32_e64 v21, null, v31, v19, vcc_lo
	v_add_co_u32 v62, vcc_lo, v32, v18
	s_wait_alu 0xfffd
	v_add_co_ci_u32_e64 v63, null, v33, v19, vcc_lo
	global_load_u16 v9, v[20:21], off
	global_load_u16 v17, v[62:63], off
	s_wait_loadcnt 0x1
	v_cvt_f32_f16_e32 v9, v9
	s_wait_loadcnt 0x0
	v_cvt_f32_f16_e32 v17, v17
.LBB86_39:                              ;   in Loop: Header=BB86_3 Depth=1
	s_wait_alu 0xfffe
	s_or_b32 exec_lo, exec_lo, s3
	s_wait_loadcnt 0x1
	ds_bpermute_b32 v20, v1, v60
	ds_bpermute_b32 v21, v1, v60 offset:4
	ds_bpermute_b32 v62, v1, v60 offset:8
	s_wait_loadcnt 0x0
	ds_bpermute_b32 v63, v1, v61
	ds_bpermute_b32 v64, v1, v60 offset:12
	ds_bpermute_b32 v65, v1, v61 offset:4
	;; [unrolled: 1-line block ×5, first 2 shown]
	s_wait_dscnt 0x7
	v_dual_sub_f32 v10, v10, v20 :: v_dual_sub_f32 v11, v11, v21
	ds_bpermute_b32 v20, v1, v61 offset:12
	ds_bpermute_b32 v21, v1, v61 offset:16
	s_wait_dscnt 0x6
	v_dual_sub_f32 v13, v13, v64 :: v_dual_mul_f32 v10, v2, v10
	v_dual_mul_f32 v11, v3, v11 :: v_dual_add_f32 v2, v58, v2
	v_sub_f32_e32 v12, v12, v62
	ds_bpermute_b32 v58, v1, v61 offset:20
	v_fmac_f32_e32 v59, v10, v63
	ds_bpermute_b32 v10, v1, v60 offset:24
	v_add_f32_e32 v2, v3, v2
	s_wait_dscnt 0x7
	v_dual_mul_f32 v12, v4, v12 :: v_dual_fmac_f32 v59, v11, v65
	s_delay_alu instid0(VALU_DEP_2)
	v_dual_mul_f32 v11, v5, v13 :: v_dual_add_f32 v4, v4, v2
	s_wait_dscnt 0x4
	v_sub_f32_e32 v13, v15, v68
	v_sub_f32_e32 v3, v14, v66
	ds_bpermute_b32 v2, v1, v60 offset:28
	v_dual_add_f32 v4, v5, v4 :: v_dual_fmac_f32 v59, v12, v67
	ds_bpermute_b32 v12, v1, v61 offset:24
	ds_bpermute_b32 v61, v1, v61 offset:28
	v_dual_mul_f32 v5, v7, v13 :: v_dual_add_f32 v4, v6, v4
	v_mul_f32_e32 v3, v6, v3
	s_wait_dscnt 0x6
	v_fmac_f32_e32 v59, v11, v20
	s_delay_alu instid0(VALU_DEP_3) | instskip(SKIP_1) | instid1(VALU_DEP_2)
	v_add_f32_e32 v4, v7, v4
	s_wait_dscnt 0x5
	v_fmac_f32_e32 v59, v3, v21
	s_wait_dscnt 0x3
	v_sub_f32_e32 v3, v16, v10
	s_delay_alu instid0(VALU_DEP_2) | instskip(NEXT) | instid1(VALU_DEP_2)
	v_fmac_f32_e32 v59, v5, v58
	v_mul_f32_e32 v3, v8, v3
	s_wait_dscnt 0x1
	s_delay_alu instid0(VALU_DEP_1) | instskip(NEXT) | instid1(VALU_DEP_1)
	v_fmac_f32_e32 v59, v3, v12
	v_dual_add_f32 v3, v8, v4 :: v_dual_mov_b32 v10, v59
.LBB86_40:                              ;   in Loop: Header=BB86_3 Depth=1
	v_add_co_u32 v26, vcc_lo, v26, s24
	s_wait_alu 0xfffd
	v_add_co_ci_u32_e64 v27, null, s25, v27, vcc_lo
	v_add_co_u32 v28, vcc_lo, v28, s24
	s_wait_alu 0xfffd
	v_add_co_ci_u32_e64 v29, null, s25, v29, vcc_lo
	;; [unrolled: 3-line block ×11, first 2 shown]
	v_add_co_u32 v48, vcc_lo, v48, s24
	s_wait_dscnt 0x0
	v_sub_f32_e32 v2, v17, v2
	s_wait_alu 0xfffd
	v_add_co_ci_u32_e64 v49, null, s25, v49, vcc_lo
	v_add_co_u32 v50, vcc_lo, v50, s24
	s_wait_alu 0xfffd
	v_add_co_ci_u32_e64 v51, null, s25, v51, vcc_lo
	v_add_co_u32 v52, vcc_lo, v52, s24
	;; [unrolled: 3-line block ×3, first 2 shown]
	s_add_nc_u64 s[28:29], s[28:29], s[22:23]
	v_mul_f32_e32 v2, v9, v2
	s_wait_alu 0xfffd
	v_add_co_ci_u32_e64 v55, null, s25, v55, vcc_lo
	v_add_co_u32 v56, vcc_lo, v56, s24
	s_wait_alu 0xfffe
	v_cmp_lt_i64_e64 s3, s[28:29], s[4:5]
	s_wait_alu 0xfffd
	v_add_co_ci_u32_e64 v57, null, s25, v57, vcc_lo
	v_add_co_u32 v23, vcc_lo, v23, s22
	v_add_f32_e32 v58, v3, v9
	v_fmac_f32_e32 v10, v2, v61
	s_wait_alu 0xfffd
	v_add_co_ci_u32_e64 v25, null, 0, v25, vcc_lo
	s_and_b32 vcc_lo, exec_lo, s3
	s_add_nc_u64 s[26:27], s[26:27], s[22:23]
	s_wait_alu 0xfffe
	s_cbranch_vccz .LBB86_50
; %bb.41:                               ;   in Loop: Header=BB86_3 Depth=1
	v_mov_b32_e32 v59, v10
	s_branch .LBB86_3
.LBB86_42:                              ;   in Loop: Header=BB86_3 Depth=1
	v_add_co_u32 v2, vcc_lo, v26, v18
	s_wait_alu 0xfffd
	v_add_co_ci_u32_e64 v3, null, v27, v19, vcc_lo
	v_add_co_u32 v4, vcc_lo, v28, v18
	s_wait_alu 0xfffd
	v_add_co_ci_u32_e64 v5, null, v29, v19, vcc_lo
	global_load_u16 v2, v[2:3], off
	global_load_u16 v10, v[4:5], off
	v_dual_mov_b32 v3, v1 :: v_dual_mov_b32 v4, v1
	v_dual_mov_b32 v5, v1 :: v_dual_mov_b32 v6, v1
	;; [unrolled: 1-line block ×6, first 2 shown]
	v_mov_b32_e32 v15, v1
	v_mov_b32_e32 v17, v1
	s_wait_loadcnt 0x1
	v_cvt_f32_f16_e32 v2, v2
	s_wait_loadcnt 0x0
	v_cvt_f32_f16_e32 v10, v10
	s_wait_alu 0xfffe
	s_or_b32 exec_lo, exec_lo, s3
	s_and_saveexec_b32 s3, s2
	s_cbranch_execz .LBB86_32
.LBB86_43:                              ;   in Loop: Header=BB86_3 Depth=1
	v_add_co_u32 v20, vcc_lo, v54, v18
	s_wait_alu 0xfffd
	v_add_co_ci_u32_e64 v21, null, v55, v19, vcc_lo
	v_add_co_u32 v62, vcc_lo, v56, v18
	s_wait_alu 0xfffd
	v_add_co_ci_u32_e64 v63, null, v57, v19, vcc_lo
	global_load_u16 v3, v[20:21], off
	global_load_u16 v11, v[62:63], off
	s_wait_loadcnt 0x1
	v_cvt_f32_f16_e32 v3, v3
	s_wait_loadcnt 0x0
	v_cvt_f32_f16_e32 v11, v11
	s_wait_alu 0xfffe
	s_or_b32 exec_lo, exec_lo, s3
	s_and_saveexec_b32 s3, s2
	s_cbranch_execz .LBB86_33
.LBB86_44:                              ;   in Loop: Header=BB86_3 Depth=1
	v_add_co_u32 v20, vcc_lo, v50, v18
	s_wait_alu 0xfffd
	v_add_co_ci_u32_e64 v21, null, v51, v19, vcc_lo
	v_add_co_u32 v62, vcc_lo, v52, v18
	s_wait_alu 0xfffd
	v_add_co_ci_u32_e64 v63, null, v53, v19, vcc_lo
	global_load_u16 v4, v[20:21], off
	global_load_u16 v12, v[62:63], off
	s_wait_loadcnt 0x1
	v_cvt_f32_f16_e32 v4, v4
	s_wait_loadcnt 0x0
	v_cvt_f32_f16_e32 v12, v12
	s_wait_alu 0xfffe
	s_or_b32 exec_lo, exec_lo, s3
	s_and_saveexec_b32 s3, s2
	s_cbranch_execz .LBB86_34
.LBB86_45:                              ;   in Loop: Header=BB86_3 Depth=1
	v_add_co_u32 v20, vcc_lo, v46, v18
	s_wait_alu 0xfffd
	v_add_co_ci_u32_e64 v21, null, v47, v19, vcc_lo
	v_add_co_u32 v62, vcc_lo, v48, v18
	s_wait_alu 0xfffd
	v_add_co_ci_u32_e64 v63, null, v49, v19, vcc_lo
	global_load_u16 v5, v[20:21], off
	global_load_u16 v13, v[62:63], off
	s_wait_loadcnt 0x1
	v_cvt_f32_f16_e32 v5, v5
	s_wait_loadcnt 0x0
	v_cvt_f32_f16_e32 v13, v13
	s_wait_alu 0xfffe
	s_or_b32 exec_lo, exec_lo, s3
	s_and_saveexec_b32 s3, s2
	s_cbranch_execz .LBB86_35
.LBB86_46:                              ;   in Loop: Header=BB86_3 Depth=1
	v_add_co_u32 v20, vcc_lo, v42, v18
	s_wait_alu 0xfffd
	v_add_co_ci_u32_e64 v21, null, v43, v19, vcc_lo
	v_add_co_u32 v62, vcc_lo, v44, v18
	s_wait_alu 0xfffd
	v_add_co_ci_u32_e64 v63, null, v45, v19, vcc_lo
	global_load_u16 v6, v[20:21], off
	global_load_u16 v14, v[62:63], off
	s_wait_loadcnt 0x1
	v_cvt_f32_f16_e32 v6, v6
	s_wait_loadcnt 0x0
	v_cvt_f32_f16_e32 v14, v14
	s_wait_alu 0xfffe
	s_or_b32 exec_lo, exec_lo, s3
	s_and_saveexec_b32 s3, s2
	s_cbranch_execz .LBB86_36
.LBB86_47:                              ;   in Loop: Header=BB86_3 Depth=1
	v_add_co_u32 v20, vcc_lo, v38, v18
	s_wait_alu 0xfffd
	v_add_co_ci_u32_e64 v21, null, v39, v19, vcc_lo
	v_add_co_u32 v62, vcc_lo, v40, v18
	s_wait_alu 0xfffd
	v_add_co_ci_u32_e64 v63, null, v41, v19, vcc_lo
	global_load_u16 v7, v[20:21], off
	global_load_u16 v15, v[62:63], off
	s_wait_loadcnt 0x1
	v_cvt_f32_f16_e32 v7, v7
	s_wait_loadcnt 0x0
	v_cvt_f32_f16_e32 v15, v15
	s_wait_alu 0xfffe
	s_or_b32 exec_lo, exec_lo, s3
	s_and_saveexec_b32 s3, s2
	s_cbranch_execz .LBB86_37
.LBB86_48:                              ;   in Loop: Header=BB86_3 Depth=1
	v_add_co_u32 v20, vcc_lo, v34, v18
	s_wait_alu 0xfffd
	v_add_co_ci_u32_e64 v21, null, v35, v19, vcc_lo
	v_add_co_u32 v62, vcc_lo, v36, v18
	s_wait_alu 0xfffd
	v_add_co_ci_u32_e64 v63, null, v37, v19, vcc_lo
	global_load_u16 v8, v[20:21], off
	global_load_u16 v16, v[62:63], off
	s_wait_loadcnt 0x1
	v_cvt_f32_f16_e32 v8, v8
	s_wait_loadcnt 0x0
	v_cvt_f32_f16_e32 v16, v16
	s_wait_alu 0xfffe
	s_or_b32 exec_lo, exec_lo, s3
	s_and_saveexec_b32 s3, s2
	s_cbranch_execnz .LBB86_38
	s_branch .LBB86_39
.LBB86_49:
                                        ; implicit-def: $vgpr10
                                        ; implicit-def: $vgpr58
	s_branch .LBB86_51
.LBB86_50:
	s_cbranch_execnz .LBB86_83
.LBB86_51:
	v_mov_b32_e32 v10, 0
	v_mov_b32_e32 v58, 0
	s_and_not1_b32 vcc_lo, exec_lo, s31
	s_wait_alu 0xfffe
	s_cbranch_vccnz .LBB86_83
; %bb.52:
	v_bfe_u32 v50, v0, 10, 10
	v_dual_mov_b32 v1, 0 :: v_dual_and_b32 v52, 0x3ff, v0
	s_lshl_b64 s[22:23], s[16:17], 1
	s_mov_b32 s3, 0
	s_delay_alu instid0(VALU_DEP_2) | instskip(NEXT) | instid1(VALU_DEP_2)
	v_dual_mov_b32 v88, 0 :: v_dual_lshlrev_b32 v51, 3, v50
	v_dual_mov_b32 v53, v1 :: v_dual_lshlrev_b32 v8, 4, v50
	v_dual_mov_b32 v5, v1 :: v_dual_add_nc_u32 v4, s30, v52
	s_delay_alu instid0(VALU_DEP_3) | instskip(SKIP_2) | instid1(VALU_DEP_3)
	v_add_co_u32 v10, s2, v51, s16
	s_wait_alu 0xf1ff
	v_add_co_ci_u32_e64 v11, null, 0, 0, s2
	v_lshlrev_b64_e32 v[18:19], 1, v[4:5]
	s_delay_alu instid0(VALU_DEP_3) | instskip(SKIP_1) | instid1(VALU_DEP_4)
	v_mul_lo_u32 v6, s7, v10
	v_mad_co_u64_u32 v[2:3], null, s6, v10, 0
	v_mul_lo_u32 v7, s6, v11
	s_load_b32 s2, s[0:1], 0x44
	s_mov_b32 s21, s3
	v_mov_b32_e32 v87, 0
	s_add_nc_u64 s[18:19], s[0:1], 64
	s_delay_alu instid0(VALU_DEP_2) | instskip(SKIP_1) | instid1(VALU_DEP_1)
	v_add3_u32 v3, v3, v7, v6
	v_add_co_u32 v6, s20, v8, s22
	v_add_co_ci_u32_e64 v7, null, 0, s23, s20
	s_delay_alu instid0(VALU_DEP_3) | instskip(NEXT) | instid1(VALU_DEP_3)
	v_lshlrev_b64_e32 v[4:5], 1, v[2:3]
	v_add_co_u32 v8, vcc_lo, v6, 2
	s_wait_alu 0xfffd
	s_delay_alu instid0(VALU_DEP_3) | instskip(NEXT) | instid1(VALU_DEP_3)
	v_add_co_ci_u32_e64 v9, null, 0, v7, vcc_lo
	v_add_co_u32 v54, vcc_lo, s8, v4
	s_wait_alu 0xfffd
	v_add_co_ci_u32_e64 v55, null, s9, v5, vcc_lo
	v_add_co_u32 v56, vcc_lo, s10, v4
	s_wait_alu 0xfffd
	;; [unrolled: 3-line block ×5, first 2 shown]
	v_add_co_ci_u32_e64 v28, null, 0, v7, vcc_lo
	v_add_co_u32 v42, vcc_lo, v6, 10
	v_mad_co_u64_u32 v[22:23], null, s6, v4, s[8:9]
	v_mul_lo_u32 v5, s6, v5
	v_mul_lo_u32 v15, s7, v4
	v_mad_co_u64_u32 v[36:37], null, s6, v4, s[10:11]
	s_wait_alu 0xfffd
	v_add_co_ci_u32_e64 v30, null, 0, v7, vcc_lo
	v_add_co_u32 v44, vcc_lo, v6, 12
	s_wait_alu 0xfffd
	v_add_co_ci_u32_e64 v32, null, 0, v7, vcc_lo
	v_add_co_u32 v6, vcc_lo, v6, 14
	v_mad_co_u64_u32 v[20:21], null, s6, v8, s[8:9]
	v_mul_lo_u32 v9, s6, v9
	v_mul_lo_u32 v12, s7, v8
	v_mad_co_u64_u32 v[34:35], null, s6, v8, s[10:11]
	s_wait_alu 0xfffd
	v_add_co_ci_u32_e64 v7, null, 0, v7, vcc_lo
	v_add_co_u32 v4, vcc_lo, v10, 7
	v_add3_u32 v23, v15, v23, v5
	v_add3_u32 v37, v15, v37, v5
	s_wait_alu 0xfffd
	v_add_co_ci_u32_e64 v5, null, 0, v11, vcc_lo
	v_mul_lo_u32 v62, s6, v7
	v_add_co_u32 v7, vcc_lo, v10, 6
	v_add3_u32 v21, v12, v21, v9
	v_add3_u32 v35, v12, v35, v9
	s_wait_alu 0xfffd
	v_add_co_ci_u32_e64 v12, null, 0, v11, vcc_lo
	v_mul_lo_u32 v8, s7, v4
	v_mul_lo_u32 v9, s6, v5
	v_mad_co_u64_u32 v[4:5], null, s6, v4, 0
	v_mad_co_u64_u32 v[24:25], null, s6, v13, s[8:9]
	v_mul_lo_u32 v17, s7, v13
	v_mul_lo_u32 v60, s6, v32
	v_mad_co_u64_u32 v[32:33], null, s6, v6, s[8:9]
	v_mul_lo_u32 v63, s7, v6
	v_mad_co_u64_u32 v[38:39], null, s6, v13, s[10:11]
	v_mad_co_u64_u32 v[46:47], null, s6, v6, s[10:11]
	v_mul_lo_u32 v13, s7, v7
	v_mul_lo_u32 v12, s6, v12
	v_mad_co_u64_u32 v[6:7], null, s6, v7, 0
	v_add3_u32 v5, v5, v9, v8
	v_add_co_u32 v8, vcc_lo, v10, 5
	v_mul_lo_u32 v48, s6, v28
	v_mad_co_u64_u32 v[28:29], null, s6, v42, s[8:9]
	v_mul_lo_u32 v58, s6, v30
	v_mul_lo_u32 v59, s7, v42
	v_mad_co_u64_u32 v[42:43], null, s6, v42, s[10:11]
	s_wait_alu 0xfffd
	v_add_co_ci_u32_e64 v9, null, 0, v11, vcc_lo
	v_add3_u32 v7, v7, v12, v13
	v_mad_co_u64_u32 v[30:31], null, s6, v44, s[8:9]
	v_mul_lo_u32 v61, s7, v44
	v_mad_co_u64_u32 v[44:45], null, s6, v44, s[10:11]
	v_lshlrev_b64_e32 v[4:5], 1, v[4:5]
	v_mul_lo_u32 v12, s7, v8
	v_mul_lo_u32 v13, s6, v9
	v_mad_co_u64_u32 v[8:9], null, s6, v8, 0
	v_lshlrev_b64_e32 v[6:7], 1, v[6:7]
	v_add3_u32 v29, v59, v29, v58
	v_add3_u32 v43, v59, v43, v58
	v_add_co_u32 v59, vcc_lo, s8, v4
	v_add3_u32 v31, v61, v31, v60
	v_add3_u32 v45, v61, v45, v60
	s_wait_alu 0xfffd
	v_add_co_ci_u32_e64 v60, null, s9, v5, vcc_lo
	v_add_co_u32 v61, vcc_lo, s10, v4
	v_add3_u32 v33, v63, v33, v62
	v_add3_u32 v47, v63, v47, v62
	s_wait_alu 0xfffd
	v_add_co_ci_u32_e64 v62, null, s11, v5, vcc_lo
	v_add_co_u32 v63, vcc_lo, s8, v6
	v_mul_lo_u32 v14, s6, v14
	v_add3_u32 v9, v9, v13, v12
	s_wait_alu 0xfffd
	v_add_co_ci_u32_e64 v64, null, s9, v7, vcc_lo
	v_add_co_u32 v12, vcc_lo, v10, 4
	s_wait_kmcnt 0x0
	s_lshl_b32 s20, s2, 3
	v_add_co_u32 v65, s2, s10, v6
	s_wait_alu 0xfffd
	v_add_co_ci_u32_e64 v6, null, 0, v11, vcc_lo
	v_lshlrev_b64_e32 v[4:5], 1, v[8:9]
	v_add_co_u32 v8, vcc_lo, v10, 3
	s_wait_alu 0xfffd
	v_add_co_ci_u32_e64 v9, null, 0, v11, vcc_lo
	v_add3_u32 v25, v17, v25, v14
	v_add3_u32 v39, v17, v39, v14
	s_wait_alu 0xf1ff
	v_add_co_ci_u32_e64 v66, null, s11, v7, s2
	v_mul_lo_u32 v13, s7, v12
	v_mul_lo_u32 v14, s6, v6
	v_mad_co_u64_u32 v[6:7], null, s6, v12, 0
	v_mul_lo_u32 v12, s7, v8
	v_mul_lo_u32 v15, s6, v9
	v_mad_co_u64_u32 v[8:9], null, s6, v8, 0
	v_add_co_u32 v67, vcc_lo, s8, v4
	s_wait_alu 0xfffd
	v_add_co_ci_u32_e64 v68, null, s9, v5, vcc_lo
	v_add3_u32 v7, v7, v14, v13
	v_add_co_u32 v69, vcc_lo, s10, v4
	s_wait_alu 0xfffd
	v_add_co_ci_u32_e64 v70, null, s11, v5, vcc_lo
	v_add_co_u32 v10, vcc_lo, v10, 2
	v_add3_u32 v9, v9, v15, v12
	s_wait_alu 0xfffd
	v_add_co_ci_u32_e64 v11, null, 0, v11, vcc_lo
	v_lshlrev_b64_e32 v[4:5], 1, v[6:7]
	v_mul_lo_u32 v12, s7, v10
	v_lshlrev_b64_e32 v[6:7], 1, v[8:9]
	s_delay_alu instid0(VALU_DEP_4)
	v_mul_lo_u32 v11, s6, v11
	v_mad_co_u64_u32 v[8:9], null, s6, v10, 0
	v_add_co_u32 v71, vcc_lo, s8, v4
	s_wait_alu 0xfffd
	v_add_co_ci_u32_e64 v72, null, s9, v5, vcc_lo
	v_add_co_u32 v73, vcc_lo, s10, v4
	s_wait_alu 0xfffd
	v_add_co_ci_u32_e64 v74, null, s11, v5, vcc_lo
	;; [unrolled: 3-line block ×3, first 2 shown]
	v_add3_u32 v9, v9, v11, v12
	v_add_co_u32 v77, vcc_lo, s10, v6
	s_wait_alu 0xfffd
	v_add_co_ci_u32_e64 v78, null, s11, v7, vcc_lo
	v_add_co_u32 v2, vcc_lo, v2, s6
	s_wait_alu 0xfffd
	v_add_co_ci_u32_e64 v3, null, s7, v3, vcc_lo
	v_lshlrev_b64_e32 v[4:5], 1, v[8:9]
	v_mad_co_u64_u32 v[26:27], null, s6, v16, s[8:9]
	s_delay_alu instid0(VALU_DEP_3)
	v_lshlrev_b64_e32 v[2:3], 1, v[2:3]
	v_mul_lo_u32 v49, s7, v16
	v_mad_co_u64_u32 v[40:41], null, s6, v16, s[10:11]
	v_add_co_u32 v79, vcc_lo, s8, v4
	s_wait_alu 0xfffd
	v_add_co_ci_u32_e64 v80, null, s9, v5, vcc_lo
	v_add_co_u32 v81, vcc_lo, s10, v4
	s_wait_alu 0xfffd
	v_add_co_ci_u32_e64 v82, null, s11, v5, vcc_lo
	;; [unrolled: 3-line block ×3, first 2 shown]
	v_add_co_u32 v85, vcc_lo, s10, v2
	v_add3_u32 v27, v49, v27, v48
	v_add3_u32 v41, v49, v41, v48
	s_wait_alu 0xfffd
	v_add_co_ci_u32_e64 v86, null, s11, v3, vcc_lo
	s_wait_alu 0xfffe
	s_mul_u64 s[22:23], s[6:7], s[20:21]
	s_mov_b64 s[10:11], 7
	s_wait_alu 0xfffe
	s_lshl_b64 s[8:9], s[22:23], 1
	s_mov_b64 s[22:23], s[16:17]
.LBB86_53:                              ; =>This Inner Loop Header: Depth=1
	s_add_nc_u64 s[24:25], s[16:17], s[10:11]
	v_add_co_u32 v48, vcc_lo, s16, v51
	s_wait_alu 0xfffe
	v_cmp_ge_i64_e64 s2, s[24:25], s[4:5]
	s_wait_alu 0xfffd
	v_add_co_ci_u32_e64 v49, null, 0, v53, vcc_lo
                                        ; implicit-def: $vgpr58
                                        ; implicit-def: $vgpr10
	s_and_b32 vcc_lo, exec_lo, s2
	s_mov_b32 s2, -1
	s_wait_alu 0xfffe
	s_cbranch_vccz .LBB86_75
; %bb.54:                               ;   in Loop: Header=BB86_53 Depth=1
	s_load_b32 s2, s[18:19], 0xc
	v_dual_mov_b32 v58, 0 :: v_dual_mov_b32 v89, 0
	s_wait_kmcnt 0x0
	s_and_b32 s2, s2, 0xffff
	s_wait_alu 0xfffe
	v_mad_u32_u24 v2, v50, s2, v52
	s_mov_b32 s2, exec_lo
	s_delay_alu instid0(VALU_DEP_1) | instskip(NEXT) | instid1(VALU_DEP_1)
	v_and_b32_e32 v2, 31, v2
	v_cmpx_gt_u32_e32 8, v2
	s_cbranch_execz .LBB86_58
; %bb.55:                               ;   in Loop: Header=BB86_53 Depth=1
	v_add_co_u32 v2, vcc_lo, v48, v2
	s_wait_alu 0xfffd
	v_add_co_ci_u32_e64 v3, null, 0, v49, vcc_lo
	v_dual_mov_b32 v89, 0 :: v_dual_mov_b32 v58, 0
	s_mov_b32 s24, exec_lo
	s_delay_alu instid0(VALU_DEP_2)
	v_cmpx_gt_i64_e64 s[4:5], v[2:3]
	s_cbranch_execz .LBB86_57
; %bb.56:                               ;   in Loop: Header=BB86_53 Depth=1
	v_lshlrev_b64_e32 v[2:3], 2, v[2:3]
	s_delay_alu instid0(VALU_DEP_1) | instskip(SKIP_1) | instid1(VALU_DEP_2)
	v_add_co_u32 v4, vcc_lo, s12, v2
	s_wait_alu 0xfffd
	v_add_co_ci_u32_e64 v5, null, s13, v3, vcc_lo
	v_add_co_u32 v2, vcc_lo, s14, v2
	s_wait_alu 0xfffd
	v_add_co_ci_u32_e64 v3, null, s15, v3, vcc_lo
	global_load_b32 v89, v[4:5], off
	global_load_b32 v58, v[2:3], off
.LBB86_57:                              ;   in Loop: Header=BB86_53 Depth=1
	s_wait_alu 0xfffe
	s_or_b32 exec_lo, exec_lo, s24
.LBB86_58:                              ;   in Loop: Header=BB86_53 Depth=1
	s_wait_alu 0xfffe
	s_or_b32 exec_lo, exec_lo, s2
	v_mov_b32_e32 v8, v1
	v_dual_mov_b32 v2, v1 :: v_dual_mov_b32 v3, v1
	v_dual_mov_b32 v4, v1 :: v_dual_mov_b32 v5, v1
	;; [unrolled: 1-line block ×3, first 2 shown]
	s_delay_alu instid0(VALU_DEP_4) | instskip(NEXT) | instid1(VALU_DEP_3)
	v_mov_b32_e32 v17, v8
	v_dual_mov_b32 v13, v4 :: v_dual_mov_b32 v12, v3
	s_delay_alu instid0(VALU_DEP_3) | instskip(NEXT) | instid1(VALU_DEP_4)
	v_dual_mov_b32 v15, v6 :: v_dual_mov_b32 v14, v5
	v_dual_mov_b32 v16, v7 :: v_dual_mov_b32 v11, v2
	;; [unrolled: 1-line block ×3, first 2 shown]
	v_mov_b32_e32 v8, v7
	v_mov_b32_e32 v7, v6
	;; [unrolled: 1-line block ×7, first 2 shown]
	s_mov_b32 s2, exec_lo
	v_cmpx_gt_i64_e64 s[4:5], v[48:49]
	s_cbranch_execz .LBB86_60
; %bb.59:                               ;   in Loop: Header=BB86_53 Depth=1
	v_add_co_u32 v2, vcc_lo, v54, v18
	s_wait_alu 0xfffd
	v_add_co_ci_u32_e64 v3, null, v55, v19, vcc_lo
	v_add_co_u32 v4, vcc_lo, v56, v18
	s_wait_alu 0xfffd
	v_add_co_ci_u32_e64 v5, null, v57, v19, vcc_lo
	global_load_u16 v2, v[2:3], off
	global_load_u16 v10, v[4:5], off
	v_dual_mov_b32 v3, v1 :: v_dual_mov_b32 v4, v1
	v_dual_mov_b32 v5, v1 :: v_dual_mov_b32 v6, v1
	;; [unrolled: 1-line block ×6, first 2 shown]
	v_mov_b32_e32 v15, v1
	v_mov_b32_e32 v17, v1
	s_wait_loadcnt 0x1
	v_cvt_f32_f16_e32 v2, v2
	s_wait_loadcnt 0x0
	v_cvt_f32_f16_e32 v10, v10
.LBB86_60:                              ;   in Loop: Header=BB86_53 Depth=1
	s_wait_alu 0xfffe
	s_or_b32 exec_lo, exec_lo, s2
	v_add_co_u32 v90, vcc_lo, v48, 1
	s_wait_alu 0xfffd
	v_add_co_ci_u32_e64 v91, null, 0, v49, vcc_lo
	s_mov_b32 s2, exec_lo
	v_cmpx_gt_i64_e64 s[4:5], v[90:91]
	s_cbranch_execz .LBB86_62
; %bb.61:                               ;   in Loop: Header=BB86_53 Depth=1
	v_add_co_u32 v90, vcc_lo, v83, v18
	s_wait_alu 0xfffd
	v_add_co_ci_u32_e64 v91, null, v84, v19, vcc_lo
	v_add_co_u32 v92, vcc_lo, v85, v18
	s_wait_alu 0xfffd
	v_add_co_ci_u32_e64 v93, null, v86, v19, vcc_lo
	global_load_u16 v3, v[90:91], off
	global_load_u16 v11, v[92:93], off
	s_wait_loadcnt 0x1
	v_cvt_f32_f16_e32 v3, v3
	s_wait_loadcnt 0x0
	v_cvt_f32_f16_e32 v11, v11
.LBB86_62:                              ;   in Loop: Header=BB86_53 Depth=1
	s_wait_alu 0xfffe
	s_or_b32 exec_lo, exec_lo, s2
	v_add_co_u32 v90, vcc_lo, v48, 2
	s_wait_alu 0xfffd
	v_add_co_ci_u32_e64 v91, null, 0, v49, vcc_lo
	s_mov_b32 s2, exec_lo
	v_cmpx_gt_i64_e64 s[4:5], v[90:91]
	s_cbranch_execz .LBB86_64
; %bb.63:                               ;   in Loop: Header=BB86_53 Depth=1
	v_add_co_u32 v90, vcc_lo, v79, v18
	s_wait_alu 0xfffd
	v_add_co_ci_u32_e64 v91, null, v80, v19, vcc_lo
	v_add_co_u32 v92, vcc_lo, v81, v18
	s_wait_alu 0xfffd
	v_add_co_ci_u32_e64 v93, null, v82, v19, vcc_lo
	global_load_u16 v4, v[90:91], off
	global_load_u16 v12, v[92:93], off
	s_wait_loadcnt 0x1
	v_cvt_f32_f16_e32 v4, v4
	s_wait_loadcnt 0x0
	v_cvt_f32_f16_e32 v12, v12
.LBB86_64:                              ;   in Loop: Header=BB86_53 Depth=1
	;; [unrolled: 22-line block ×7, first 2 shown]
	s_wait_alu 0xfffe
	s_or_b32 exec_lo, exec_lo, s2
	s_wait_loadcnt 0x1
	ds_bpermute_b32 v90, v1, v89
	ds_bpermute_b32 v91, v1, v89 offset:4
	ds_bpermute_b32 v92, v1, v89 offset:8
	;; [unrolled: 1-line block ×3, first 2 shown]
	s_wait_loadcnt 0x0
	ds_bpermute_b32 v93, v1, v58
	ds_bpermute_b32 v95, v1, v58 offset:4
	ds_bpermute_b32 v96, v1, v89 offset:16
	;; [unrolled: 1-line block ×7, first 2 shown]
	s_mov_b32 s2, 0
	s_wait_dscnt 0xa
	v_dual_sub_f32 v10, v10, v90 :: v_dual_sub_f32 v11, v11, v91
	v_add_f32_e32 v90, v88, v2
	s_wait_dscnt 0x8
	v_dual_sub_f32 v12, v12, v92 :: v_dual_sub_f32 v13, v13, v94
	s_delay_alu instid0(VALU_DEP_3)
	v_mul_f32_e32 v2, v2, v10
	ds_bpermute_b32 v91, v1, v58 offset:16
	v_dual_mul_f32 v11, v3, v11 :: v_dual_mul_f32 v12, v4, v12
	v_add_f32_e32 v3, v3, v90
	v_mul_f32_e32 v13, v5, v13
	s_wait_dscnt 0x8
	v_fma_f32 v10, v2, v93, v87
	ds_bpermute_b32 v2, v1, v58 offset:20
	s_wait_dscnt 0x7
	v_dual_sub_f32 v14, v14, v96 :: v_dual_add_f32 v3, v4, v3
	ds_bpermute_b32 v4, v1, v58 offset:28
	v_fmac_f32_e32 v10, v11, v95
	ds_bpermute_b32 v11, v1, v58 offset:24
	v_dual_mul_f32 v14, v6, v14 :: v_dual_add_f32 v3, v5, v3
	s_wait_dscnt 0x7
	v_sub_f32_e32 v5, v16, v100
	v_fmac_f32_e32 v10, v12, v97
	s_wait_dscnt 0x5
	v_sub_f32_e32 v12, v15, v99
	s_wait_dscnt 0x4
	v_dual_add_f32 v3, v6, v3 :: v_dual_sub_f32 v6, v17, v89
	v_dual_fmac_f32 v10, v13, v98 :: v_dual_mul_f32 v5, v8, v5
	s_delay_alu instid0(VALU_DEP_3) | instskip(SKIP_1) | instid1(VALU_DEP_2)
	v_mul_f32_e32 v12, v7, v12
	s_wait_dscnt 0x3
	v_fmac_f32_e32 v10, v14, v91
	s_wait_dscnt 0x2
	s_delay_alu instid0(VALU_DEP_1) | instskip(SKIP_2) | instid1(VALU_DEP_2)
	v_fmac_f32_e32 v10, v12, v2
	v_dual_add_f32 v2, v7, v3 :: v_dual_mul_f32 v3, v9, v6
	s_wait_dscnt 0x0
	v_fmac_f32_e32 v10, v5, v11
	s_delay_alu instid0(VALU_DEP_2) | instskip(NEXT) | instid1(VALU_DEP_2)
	v_add_f32_e32 v2, v8, v2
	v_fmac_f32_e32 v10, v3, v4
	s_delay_alu instid0(VALU_DEP_2)
	v_add_f32_e32 v58, v9, v2
.LBB86_75:                              ;   in Loop: Header=BB86_53 Depth=1
	s_wait_alu 0xfffe
	s_and_b32 vcc_lo, exec_lo, s2
	s_wait_alu 0xfffe
	s_cbranch_vccz .LBB86_81
; %bb.76:                               ;   in Loop: Header=BB86_53 Depth=1
	s_load_b32 s2, s[18:19], 0x0
	v_dual_mov_b32 v4, 0 :: v_dual_mov_b32 v5, 0
	s_wait_kmcnt 0x0
	s_cmp_lt_u32 ttmp9, s2
	s_cselect_b32 s2, 12, 18
	s_wait_alu 0xfffe
	s_add_nc_u64 s[24:25], s[18:19], s[2:3]
	s_load_u16 s2, s[24:25], 0x0
	s_wait_kmcnt 0x0
	v_mad_u32_u24 v2, v50, s2, v52
	s_mov_b32 s2, exec_lo
	s_delay_alu instid0(VALU_DEP_1) | instskip(NEXT) | instid1(VALU_DEP_1)
	v_and_b32_e32 v2, 31, v2
	v_cmpx_gt_u32_e32 8, v2
	s_cbranch_execz .LBB86_80
; %bb.77:                               ;   in Loop: Header=BB86_53 Depth=1
	v_add_co_u32 v2, vcc_lo, v48, v2
	s_wait_alu 0xfffd
	v_add_co_ci_u32_e64 v3, null, 0, v49, vcc_lo
	v_dual_mov_b32 v4, 0 :: v_dual_mov_b32 v5, 0
	s_mov_b32 s24, exec_lo
	s_delay_alu instid0(VALU_DEP_2)
	v_cmpx_gt_i64_e64 s[4:5], v[2:3]
	s_cbranch_execz .LBB86_79
; %bb.78:                               ;   in Loop: Header=BB86_53 Depth=1
	v_lshlrev_b64_e32 v[2:3], 2, v[2:3]
	s_delay_alu instid0(VALU_DEP_1) | instskip(SKIP_1) | instid1(VALU_DEP_2)
	v_add_co_u32 v4, vcc_lo, s12, v2
	s_wait_alu 0xfffd
	v_add_co_ci_u32_e64 v5, null, s13, v3, vcc_lo
	v_add_co_u32 v2, vcc_lo, s14, v2
	s_wait_alu 0xfffd
	v_add_co_ci_u32_e64 v3, null, s15, v3, vcc_lo
	global_load_b32 v4, v[4:5], off
	global_load_b32 v5, v[2:3], off
.LBB86_79:                              ;   in Loop: Header=BB86_53 Depth=1
	s_wait_alu 0xfffe
	s_or_b32 exec_lo, exec_lo, s24
.LBB86_80:                              ;   in Loop: Header=BB86_53 Depth=1
	s_wait_alu 0xfffe
	s_or_b32 exec_lo, exec_lo, s2
	v_add_co_u32 v2, vcc_lo, v54, v18
	s_wait_alu 0xfffd
	v_add_co_ci_u32_e64 v3, null, v55, v19, vcc_lo
	s_wait_loadcnt 0x1
	ds_bpermute_b32 v89, v1, v4
	global_load_u16 v2, v[2:3], off
	s_wait_loadcnt 0x0
	v_cvt_f32_f16_e32 v6, v2
	v_add_co_u32 v2, vcc_lo, v56, v18
	s_wait_alu 0xfffd
	v_add_co_ci_u32_e64 v3, null, v57, v19, vcc_lo
	global_load_u16 v2, v[2:3], off
	s_wait_loadcnt 0x0
	v_cvt_f32_f16_e32 v7, v2
	v_add_co_u32 v2, vcc_lo, v20, v18
	s_wait_alu 0xfffd
	v_add_co_ci_u32_e64 v3, null, v21, v19, vcc_lo
	;; [unrolled: 6-line block ×15, first 2 shown]
	global_load_u16 v2, v[2:3], off
	ds_bpermute_b32 v3, v1, v5
	s_wait_loadcnt 0x0
	v_cvt_f32_f16_e32 v2, v2
	s_wait_dscnt 0x1
	v_sub_f32_e32 v7, v7, v89
	s_delay_alu instid0(VALU_DEP_1) | instskip(SKIP_1) | instid1(VALU_DEP_1)
	v_mul_f32_e32 v7, v7, v6
	s_wait_dscnt 0x0
	v_fmac_f32_e32 v87, v7, v3
	v_add_f32_e32 v3, v88, v6
	ds_bpermute_b32 v7, v1, v4 offset:4
	ds_bpermute_b32 v6, v1, v5 offset:4
	v_add_f32_e32 v3, v3, v8
	s_delay_alu instid0(VALU_DEP_1) | instskip(NEXT) | instid1(VALU_DEP_1)
	v_add_f32_e32 v3, v3, v10
	v_add_f32_e32 v3, v3, v12
	s_delay_alu instid0(VALU_DEP_1) | instskip(NEXT) | instid1(VALU_DEP_1)
	v_add_f32_e32 v3, v3, v14
	v_add_f32_e32 v3, v3, v16
	s_delay_alu instid0(VALU_DEP_1) | instskip(SKIP_2) | instid1(VALU_DEP_1)
	v_add_f32_e32 v3, v3, v48
	s_wait_dscnt 0x1
	v_sub_f32_e32 v7, v9, v7
	v_mul_f32_e32 v7, v7, v8
	s_wait_dscnt 0x0
	s_delay_alu instid0(VALU_DEP_1) | instskip(SKIP_4) | instid1(VALU_DEP_1)
	v_fmac_f32_e32 v87, v7, v6
	ds_bpermute_b32 v7, v1, v4 offset:8
	ds_bpermute_b32 v6, v1, v5 offset:8
	s_wait_dscnt 0x1
	v_sub_f32_e32 v7, v11, v7
	v_mul_f32_e32 v7, v7, v10
	s_wait_dscnt 0x0
	s_delay_alu instid0(VALU_DEP_1) | instskip(SKIP_4) | instid1(VALU_DEP_1)
	v_fmac_f32_e32 v87, v7, v6
	ds_bpermute_b32 v7, v1, v4 offset:12
	ds_bpermute_b32 v6, v1, v5 offset:12
	;; [unrolled: 8-line block ×4, first 2 shown]
	s_wait_dscnt 0x1
	v_sub_f32_e32 v7, v17, v7
	v_mul_f32_e32 v7, v7, v16
	s_wait_dscnt 0x0
	s_delay_alu instid0(VALU_DEP_1)
	v_fmac_f32_e32 v87, v7, v6
	ds_bpermute_b32 v7, v1, v4 offset:24
	ds_bpermute_b32 v4, v1, v4 offset:28
	;; [unrolled: 1-line block ×4, first 2 shown]
	s_wait_dscnt 0x2
	v_dual_sub_f32 v7, v49, v7 :: v_dual_sub_f32 v2, v2, v4
	s_delay_alu instid0(VALU_DEP_1) | instskip(SKIP_2) | instid1(VALU_DEP_2)
	v_dual_mul_f32 v7, v7, v48 :: v_dual_mul_f32 v2, v2, v58
	v_add_f32_e32 v58, v3, v58
	s_wait_dscnt 0x1
	v_fmac_f32_e32 v87, v7, v6
	s_wait_dscnt 0x0
	s_delay_alu instid0(VALU_DEP_1) | instskip(NEXT) | instid1(VALU_DEP_1)
	v_fmac_f32_e32 v87, v2, v5
	v_mov_b32_e32 v10, v87
.LBB86_81:                              ;   in Loop: Header=BB86_53 Depth=1
	v_add_co_u32 v54, vcc_lo, v54, s8
	s_wait_alu 0xfffd
	v_add_co_ci_u32_e64 v55, null, s9, v55, vcc_lo
	v_add_co_u32 v56, vcc_lo, v56, s8
	s_wait_alu 0xfffd
	v_add_co_ci_u32_e64 v57, null, s9, v57, vcc_lo
	;; [unrolled: 3-line block ×28, first 2 shown]
	v_add_co_u32 v81, vcc_lo, v81, s8
	s_add_nc_u64 s[22:23], s[22:23], s[20:21]
	s_wait_alu 0xfffd
	v_add_co_ci_u32_e64 v82, null, s9, v82, vcc_lo
	v_add_co_u32 v83, vcc_lo, v83, s8
	s_wait_alu 0xfffe
	v_cmp_ge_i64_e64 s2, s[22:23], s[4:5]
	s_wait_alu 0xfffd
	v_add_co_ci_u32_e64 v84, null, s9, v84, vcc_lo
	v_add_co_u32 v85, vcc_lo, v85, s8
	s_wait_alu 0xfffd
	v_add_co_ci_u32_e64 v86, null, s9, v86, vcc_lo
	s_and_b32 vcc_lo, exec_lo, s2
	s_add_nc_u64 s[10:11], s[10:11], s[20:21]
	s_wait_alu 0xfffe
	s_cbranch_vccnz .LBB86_83
; %bb.82:                               ;   in Loop: Header=BB86_53 Depth=1
	v_dual_mov_b32 v88, v58 :: v_dual_mov_b32 v87, v10
	s_branch .LBB86_53
.LBB86_83:
	s_mov_b32 s2, ttmp9
	s_mov_b32 s3, 0
	s_wait_alu 0xfffe
	s_lshl_b64 s[2:3], s[2:3], 5
	s_wait_alu 0xfffe
	v_and_or_b32 v4, 0x3ff, v0, s2
	v_mov_b32_e32 v5, s3
	s_mov_b32 s2, exec_lo
	s_delay_alu instid0(VALU_DEP_1)
	v_cmpx_gt_i64_e64 s[6:7], v[4:5]
	s_cbranch_execz .LBB86_88
; %bb.84:
	s_clause 0x1
	s_load_u16 s4, s[0:1], 0x4e
	s_load_b128 s[0:3], s[0:1], 0x30
	v_bfe_u32 v0, v0, 10, 10
	v_mov_b32_e32 v1, 0
	s_wait_kmcnt 0x0
	s_delay_alu instid0(VALU_DEP_1) | instskip(SKIP_2) | instid1(VALU_DEP_2)
	v_mad_co_u64_u32 v[2:3], null, s4, ttmp7, v[0:1]
	v_lshlrev_b64_e32 v[0:1], 1, v[4:5]
	s_cmp_eq_u64 s[0:1], 0
	v_mul_lo_u32 v3, v3, s6
	s_delay_alu instid0(VALU_DEP_3)
	v_mul_lo_u32 v6, v2, s7
	s_cbranch_scc1 .LBB86_86
; %bb.85:
	v_mad_co_u64_u32 v[4:5], null, v2, s6, 0
	v_cvt_f16_f32_e32 v7, v10
	s_delay_alu instid0(VALU_DEP_2) | instskip(NEXT) | instid1(VALU_DEP_1)
	v_add3_u32 v5, v5, v6, v3
	v_lshlrev_b64_e32 v[4:5], 1, v[4:5]
	s_delay_alu instid0(VALU_DEP_1) | instskip(SKIP_1) | instid1(VALU_DEP_2)
	v_add_co_u32 v4, vcc_lo, s0, v4
	s_wait_alu 0xfffd
	v_add_co_ci_u32_e64 v5, null, s1, v5, vcc_lo
	s_delay_alu instid0(VALU_DEP_2) | instskip(SKIP_1) | instid1(VALU_DEP_2)
	v_add_co_u32 v4, vcc_lo, v4, v0
	s_wait_alu 0xfffd
	v_add_co_ci_u32_e64 v5, null, v5, v1, vcc_lo
	global_store_b16 v[4:5], v7, off
.LBB86_86:
	s_cmp_eq_u64 s[2:3], 0
	s_cbranch_scc1 .LBB86_88
; %bb.87:
	v_mad_co_u64_u32 v[4:5], null, v2, s6, 0
	s_delay_alu instid0(VALU_DEP_1) | instskip(NEXT) | instid1(VALU_DEP_1)
	v_add3_u32 v5, v5, v6, v3
	v_lshlrev_b64_e32 v[2:3], 1, v[4:5]
	v_cvt_f16_f32_e32 v4, v58
	s_delay_alu instid0(VALU_DEP_2) | instskip(SKIP_1) | instid1(VALU_DEP_3)
	v_add_co_u32 v2, vcc_lo, s2, v2
	s_wait_alu 0xfffd
	v_add_co_ci_u32_e64 v3, null, s3, v3, vcc_lo
	s_delay_alu instid0(VALU_DEP_2) | instskip(SKIP_1) | instid1(VALU_DEP_2)
	v_add_co_u32 v0, vcc_lo, v2, v0
	s_wait_alu 0xfffd
	v_add_co_ci_u32_e64 v1, null, v3, v1, vcc_lo
	global_store_b16 v[0:1], v4, off
.LBB86_88:
	s_nop 0
	s_sendmsg sendmsg(MSG_DEALLOC_VGPRS)
	s_endpgm
	.section	.rodata,"a",@progbits
	.p2align	6, 0x0
	.amdhsa_kernel _ZN2at6native12_GLOBAL__N_135GammaBetaBackwardCUDAKernelTemplateIN3c104HalfEfLj32ELj1ELj8ELb1ELb0ELb0EEEvllPKT_S7_PKT0_SA_PS5_SB_
		.amdhsa_group_segment_fixed_size 0
		.amdhsa_private_segment_fixed_size 0
		.amdhsa_kernarg_size 320
		.amdhsa_user_sgpr_count 2
		.amdhsa_user_sgpr_dispatch_ptr 0
		.amdhsa_user_sgpr_queue_ptr 0
		.amdhsa_user_sgpr_kernarg_segment_ptr 1
		.amdhsa_user_sgpr_dispatch_id 0
		.amdhsa_user_sgpr_private_segment_size 0
		.amdhsa_wavefront_size32 1
		.amdhsa_uses_dynamic_stack 0
		.amdhsa_enable_private_segment 0
		.amdhsa_system_sgpr_workgroup_id_x 1
		.amdhsa_system_sgpr_workgroup_id_y 1
		.amdhsa_system_sgpr_workgroup_id_z 0
		.amdhsa_system_sgpr_workgroup_info 0
		.amdhsa_system_vgpr_workitem_id 1
		.amdhsa_next_free_vgpr 101
		.amdhsa_next_free_sgpr 36
		.amdhsa_reserve_vcc 1
		.amdhsa_float_round_mode_32 0
		.amdhsa_float_round_mode_16_64 0
		.amdhsa_float_denorm_mode_32 3
		.amdhsa_float_denorm_mode_16_64 3
		.amdhsa_fp16_overflow 0
		.amdhsa_workgroup_processor_mode 1
		.amdhsa_memory_ordered 1
		.amdhsa_forward_progress 1
		.amdhsa_inst_pref_size 78
		.amdhsa_round_robin_scheduling 0
		.amdhsa_exception_fp_ieee_invalid_op 0
		.amdhsa_exception_fp_denorm_src 0
		.amdhsa_exception_fp_ieee_div_zero 0
		.amdhsa_exception_fp_ieee_overflow 0
		.amdhsa_exception_fp_ieee_underflow 0
		.amdhsa_exception_fp_ieee_inexact 0
		.amdhsa_exception_int_div_zero 0
	.end_amdhsa_kernel
	.section	.text._ZN2at6native12_GLOBAL__N_135GammaBetaBackwardCUDAKernelTemplateIN3c104HalfEfLj32ELj1ELj8ELb1ELb0ELb0EEEvllPKT_S7_PKT0_SA_PS5_SB_,"axG",@progbits,_ZN2at6native12_GLOBAL__N_135GammaBetaBackwardCUDAKernelTemplateIN3c104HalfEfLj32ELj1ELj8ELb1ELb0ELb0EEEvllPKT_S7_PKT0_SA_PS5_SB_,comdat
.Lfunc_end86:
	.size	_ZN2at6native12_GLOBAL__N_135GammaBetaBackwardCUDAKernelTemplateIN3c104HalfEfLj32ELj1ELj8ELb1ELb0ELb0EEEvllPKT_S7_PKT0_SA_PS5_SB_, .Lfunc_end86-_ZN2at6native12_GLOBAL__N_135GammaBetaBackwardCUDAKernelTemplateIN3c104HalfEfLj32ELj1ELj8ELb1ELb0ELb0EEEvllPKT_S7_PKT0_SA_PS5_SB_
                                        ; -- End function
	.set _ZN2at6native12_GLOBAL__N_135GammaBetaBackwardCUDAKernelTemplateIN3c104HalfEfLj32ELj1ELj8ELb1ELb0ELb0EEEvllPKT_S7_PKT0_SA_PS5_SB_.num_vgpr, 101
	.set _ZN2at6native12_GLOBAL__N_135GammaBetaBackwardCUDAKernelTemplateIN3c104HalfEfLj32ELj1ELj8ELb1ELb0ELb0EEEvllPKT_S7_PKT0_SA_PS5_SB_.num_agpr, 0
	.set _ZN2at6native12_GLOBAL__N_135GammaBetaBackwardCUDAKernelTemplateIN3c104HalfEfLj32ELj1ELj8ELb1ELb0ELb0EEEvllPKT_S7_PKT0_SA_PS5_SB_.numbered_sgpr, 36
	.set _ZN2at6native12_GLOBAL__N_135GammaBetaBackwardCUDAKernelTemplateIN3c104HalfEfLj32ELj1ELj8ELb1ELb0ELb0EEEvllPKT_S7_PKT0_SA_PS5_SB_.num_named_barrier, 0
	.set _ZN2at6native12_GLOBAL__N_135GammaBetaBackwardCUDAKernelTemplateIN3c104HalfEfLj32ELj1ELj8ELb1ELb0ELb0EEEvllPKT_S7_PKT0_SA_PS5_SB_.private_seg_size, 0
	.set _ZN2at6native12_GLOBAL__N_135GammaBetaBackwardCUDAKernelTemplateIN3c104HalfEfLj32ELj1ELj8ELb1ELb0ELb0EEEvllPKT_S7_PKT0_SA_PS5_SB_.uses_vcc, 1
	.set _ZN2at6native12_GLOBAL__N_135GammaBetaBackwardCUDAKernelTemplateIN3c104HalfEfLj32ELj1ELj8ELb1ELb0ELb0EEEvllPKT_S7_PKT0_SA_PS5_SB_.uses_flat_scratch, 0
	.set _ZN2at6native12_GLOBAL__N_135GammaBetaBackwardCUDAKernelTemplateIN3c104HalfEfLj32ELj1ELj8ELb1ELb0ELb0EEEvllPKT_S7_PKT0_SA_PS5_SB_.has_dyn_sized_stack, 0
	.set _ZN2at6native12_GLOBAL__N_135GammaBetaBackwardCUDAKernelTemplateIN3c104HalfEfLj32ELj1ELj8ELb1ELb0ELb0EEEvllPKT_S7_PKT0_SA_PS5_SB_.has_recursion, 0
	.set _ZN2at6native12_GLOBAL__N_135GammaBetaBackwardCUDAKernelTemplateIN3c104HalfEfLj32ELj1ELj8ELb1ELb0ELb0EEEvllPKT_S7_PKT0_SA_PS5_SB_.has_indirect_call, 0
	.section	.AMDGPU.csdata,"",@progbits
; Kernel info:
; codeLenInByte = 9984
; TotalNumSgprs: 38
; NumVgprs: 101
; ScratchSize: 0
; MemoryBound: 0
; FloatMode: 240
; IeeeMode: 1
; LDSByteSize: 0 bytes/workgroup (compile time only)
; SGPRBlocks: 0
; VGPRBlocks: 12
; NumSGPRsForWavesPerEU: 38
; NumVGPRsForWavesPerEU: 101
; Occupancy: 12
; WaveLimiterHint : 0
; COMPUTE_PGM_RSRC2:SCRATCH_EN: 0
; COMPUTE_PGM_RSRC2:USER_SGPR: 2
; COMPUTE_PGM_RSRC2:TRAP_HANDLER: 0
; COMPUTE_PGM_RSRC2:TGID_X_EN: 1
; COMPUTE_PGM_RSRC2:TGID_Y_EN: 1
; COMPUTE_PGM_RSRC2:TGID_Z_EN: 0
; COMPUTE_PGM_RSRC2:TIDIG_COMP_CNT: 1
	.section	.text._ZN2at6native12_GLOBAL__N_135GammaBetaBackwardCUDAKernelTemplateIN3c104HalfEfLj32ELj8ELj64ELb0ELb1ELb0EEEvllPKT_S7_PKT0_SA_PS5_SB_,"axG",@progbits,_ZN2at6native12_GLOBAL__N_135GammaBetaBackwardCUDAKernelTemplateIN3c104HalfEfLj32ELj8ELj64ELb0ELb1ELb0EEEvllPKT_S7_PKT0_SA_PS5_SB_,comdat
	.globl	_ZN2at6native12_GLOBAL__N_135GammaBetaBackwardCUDAKernelTemplateIN3c104HalfEfLj32ELj8ELj64ELb0ELb1ELb0EEEvllPKT_S7_PKT0_SA_PS5_SB_ ; -- Begin function _ZN2at6native12_GLOBAL__N_135GammaBetaBackwardCUDAKernelTemplateIN3c104HalfEfLj32ELj8ELj64ELb0ELb1ELb0EEEvllPKT_S7_PKT0_SA_PS5_SB_
	.p2align	8
	.type	_ZN2at6native12_GLOBAL__N_135GammaBetaBackwardCUDAKernelTemplateIN3c104HalfEfLj32ELj8ELj64ELb0ELb1ELb0EEEvllPKT_S7_PKT0_SA_PS5_SB_,@function
_ZN2at6native12_GLOBAL__N_135GammaBetaBackwardCUDAKernelTemplateIN3c104HalfEfLj32ELj8ELj64ELb0ELb1ELb0EEEvllPKT_S7_PKT0_SA_PS5_SB_: ; @_ZN2at6native12_GLOBAL__N_135GammaBetaBackwardCUDAKernelTemplateIN3c104HalfEfLj32ELj8ELj64ELb0ELb1ELb0EEEvllPKT_S7_PKT0_SA_PS5_SB_
; %bb.0:
	s_load_b128 s[16:19], s[0:1], 0x0
	s_lshl_b32 s2, ttmp7, 6
	s_mov_b32 s3, 0
	v_bfe_u32 v7, v0, 10, 10
	s_wait_kmcnt 0x0
	v_cmp_gt_i64_e64 s4, s[16:17], s[2:3]
	s_and_b32 vcc_lo, exec_lo, s4
	s_cbranch_vccnz .LBB87_2
; %bb.1:
	v_bfe_u32 v1, v0, 10, 10
	s_mov_b32 s4, s3
	s_branch .LBB87_3
.LBB87_2:
	s_mov_b32 s4, -1
                                        ; implicit-def: $vgpr1
.LBB87_3:
	s_load_b128 s[12:15], s[0:1], 0x30
	v_dual_mov_b32 v17, 0 :: v_dual_and_b32 v6, 0x3ff, v0
	v_mov_b32_e32 v0, 0
	s_and_not1_b32 vcc_lo, exec_lo, s4
	s_cbranch_vccnz .LBB87_11
; %bb.4:
	s_load_b32 s20, s[0:1], 0x4c
	v_dual_mov_b32 v1, 0 :: v_dual_lshlrev_b32 v0, 3, v7
	s_clause 0x1
	s_load_b32 s22, s[0:1], 0x44
	s_load_b256 s[4:11], s[0:1], 0x10
	s_mov_b32 s21, 0
	v_dual_mov_b32 v8, 8 :: v_dual_mov_b32 v9, 4
	v_add_co_u32 v2, s0, v0, s2
	s_delay_alu instid0(VALU_DEP_1) | instskip(SKIP_1) | instid1(VALU_DEP_3)
	v_add_co_ci_u32_e64 v3, null, 0, 0, s0
	v_lshl_add_u32 v0, ttmp9, 5, v6
	v_mul_lo_u32 v14, s19, v2
	v_mad_co_u64_u32 v[4:5], null, s18, v2, 0
	s_delay_alu instid0(VALU_DEP_4) | instskip(NEXT) | instid1(VALU_DEP_4)
	v_mul_lo_u32 v17, s18, v3
	v_lshlrev_b64_e32 v[15:16], 1, v[0:1]
	v_dual_mov_b32 v10, 12 :: v_dual_mov_b32 v11, 16
	v_mov_b32_e32 v0, 0
	s_wait_kmcnt 0x0
	s_and_b32 s0, s20, 0xffff
	s_wait_alu 0xfffe
	v_mad_u32_u24 v13, v7, s0, v6
	v_mov_b32_e32 v12, 20
	v_add3_u32 v5, v5, v17, v14
	s_lshl_b32 s20, s22, 6
	s_delay_alu instid0(VALU_DEP_3) | instskip(SKIP_1) | instid1(VALU_DEP_3)
	v_dual_mov_b32 v14, 28 :: v_dual_and_b32 v19, 31, v13
	v_mov_b32_e32 v13, 24
	v_lshlrev_b64_e32 v[17:18], 1, v[4:5]
	s_mul_u64 s[24:25], s[18:19], s[20:21]
	s_lshl_b64 s[22:23], s[20:21], 2
	v_add_co_u32 v2, vcc_lo, v2, v19
	s_delay_alu instid0(VALU_DEP_1) | instskip(NEXT) | instid1(VALU_DEP_3)
	v_add_co_ci_u32_e64 v3, null, 0, v3, vcc_lo
	v_add_co_u32 v15, vcc_lo, v17, v15
	v_cmp_gt_u32_e64 s0, 8, v19
	s_delay_alu instid0(VALU_DEP_3)
	v_lshlrev_b64_e32 v[4:5], 2, v[2:3]
	s_wait_alu 0xfffd
	v_add_co_ci_u32_e64 v16, null, v18, v16, vcc_lo
	v_mov_b32_e32 v17, 0
	s_lshl_b64 s[24:25], s[24:25], 1
	s_lshl_b64 s[18:19], s[18:19], 1
	s_branch .LBB87_7
.LBB87_5:                               ;   in Loop: Header=BB87_7 Depth=1
	s_or_b32 exec_lo, exec_lo, s26
.LBB87_6:                               ;   in Loop: Header=BB87_7 Depth=1
	s_wait_alu 0xfffe
	s_or_b32 exec_lo, exec_lo, s1
	v_add_co_u32 v20, vcc_lo, s4, v15
	s_wait_alu 0xfffd
	v_add_co_ci_u32_e64 v21, null, s5, v16, vcc_lo
	v_add_co_u32 v22, vcc_lo, s6, v15
	s_wait_alu 0xfffd
	v_add_co_ci_u32_e64 v23, null, s7, v16, vcc_lo
	;; [unrolled: 3-line block ×5, first 2 shown]
	global_load_u16 v30, v[20:21], off
	global_load_u16 v31, v[22:23], off
	;; [unrolled: 1-line block ×5, first 2 shown]
	v_add_co_u32 v20, vcc_lo, v26, s18
	s_wait_alu 0xfffd
	v_add_co_ci_u32_e64 v21, null, s19, v27, vcc_lo
	v_add_co_u32 v22, vcc_lo, v28, s18
	s_wait_alu 0xfffd
	v_add_co_ci_u32_e64 v23, null, s19, v29, vcc_lo
	;; [unrolled: 3-line block ×5, first 2 shown]
	global_load_u16 v35, v[20:21], off
	global_load_u16 v36, v[22:23], off
	;; [unrolled: 1-line block ×5, first 2 shown]
	v_add_co_u32 v20, vcc_lo, v26, s18
	s_wait_alu 0xfffd
	v_add_co_ci_u32_e64 v21, null, s19, v27, vcc_lo
	v_add_co_u32 v22, vcc_lo, v28, s18
	s_wait_alu 0xfffd
	v_add_co_ci_u32_e64 v23, null, s19, v29, vcc_lo
	;; [unrolled: 3-line block ×4, first 2 shown]
	global_load_u16 v28, v[20:21], off
	global_load_u16 v29, v[22:23], off
	;; [unrolled: 1-line block ×4, first 2 shown]
	v_add_co_u32 v20, vcc_lo, v26, s18
	s_wait_alu 0xfffd
	v_add_co_ci_u32_e64 v21, null, s19, v27, vcc_lo
	v_add_co_u32 v22, vcc_lo, v24, s18
	s_wait_alu 0xfffd
	v_add_co_ci_u32_e64 v23, null, s19, v25, vcc_lo
	global_load_u16 v20, v[20:21], off
	global_load_u16 v21, v[22:23], off
	s_wait_loadcnt 0x11
	ds_bpermute_b32 v22, v1, v18
	ds_bpermute_b32 v25, v9, v18
	s_wait_loadcnt 0x10
	ds_bpermute_b32 v23, v1, v19
	ds_bpermute_b32 v27, v8, v18
	;; [unrolled: 1-line block ×14, first 2 shown]
	v_add_co_u32 v4, vcc_lo, v4, s22
	s_add_nc_u64 s[2:3], s[2:3], s[20:21]
	s_wait_alu 0xfffd
	v_add_co_ci_u32_e64 v5, null, s23, v5, vcc_lo
	v_add_co_u32 v2, vcc_lo, v2, s20
	s_wait_alu 0xfffe
	v_cmp_lt_i64_e64 s1, s[2:3], s[16:17]
	s_wait_alu 0xfffd
	v_add_co_ci_u32_e64 v3, null, 0, v3, vcc_lo
	v_add_co_u32 v15, vcc_lo, v15, s24
	s_wait_alu 0xfffd
	v_add_co_ci_u32_e64 v16, null, s25, v16, vcc_lo
	s_and_b32 vcc_lo, exec_lo, s1
	s_wait_loadcnt 0xf
	v_cvt_f32_f16_e32 v30, v30
	s_wait_loadcnt 0xe
	v_cvt_f32_f16_e32 v31, v31
	;; [unrolled: 2-line block ×3, first 2 shown]
	s_wait_dscnt 0xf
	s_delay_alu instid0(VALU_DEP_2)
	v_sub_f32_e32 v22, v31, v22
	v_cvt_f32_f16_e32 v31, v32
	s_wait_dscnt 0xe
	v_sub_f32_e32 v25, v33, v25
	s_wait_loadcnt 0xa
	v_cvt_f32_f16_e32 v32, v35
	v_mul_f32_e32 v22, v22, v30
	v_add_f32_e32 v17, v17, v30
	v_cvt_f32_f16_e32 v30, v34
	s_wait_dscnt 0xd
	s_delay_alu instid0(VALU_DEP_3)
	v_fmac_f32_e32 v0, v22, v23
	v_mul_f32_e32 v22, v25, v31
	s_wait_dscnt 0xc
	v_sub_f32_e32 v23, v32, v27
	s_wait_loadcnt 0x8
	v_cvt_f32_f16_e32 v25, v37
	v_add_f32_e32 v17, v17, v31
	v_cvt_f32_f16_e32 v27, v36
	s_wait_dscnt 0xb
	v_fmac_f32_e32 v0, v22, v24
	s_wait_dscnt 0xa
	v_dual_mul_f32 v22, v23, v30 :: v_dual_sub_f32 v23, v25, v43
	s_wait_loadcnt 0x6
	v_cvt_f32_f16_e32 v24, v39
	v_add_f32_e32 v17, v17, v30
	v_cvt_f32_f16_e32 v25, v38
	s_wait_dscnt 0x9
	v_fmac_f32_e32 v0, v22, v26
	s_wait_dscnt 0x8
	v_dual_mul_f32 v22, v23, v27 :: v_dual_sub_f32 v23, v24, v45
	s_wait_loadcnt 0x4
	v_cvt_f32_f16_e32 v24, v29
	v_add_f32_e32 v17, v17, v27
	v_cvt_f32_f16_e32 v26, v28
	s_wait_dscnt 0x7
	s_delay_alu instid0(VALU_DEP_2)
	v_dual_fmac_f32 v0, v22, v42 :: v_dual_add_f32 v17, v17, v25
	s_wait_dscnt 0x6
	v_dual_mul_f32 v22, v23, v25 :: v_dual_sub_f32 v23, v24, v47
	s_wait_loadcnt 0x2
	v_cvt_f32_f16_e32 v24, v41
	v_cvt_f32_f16_e32 v25, v40
	s_wait_loadcnt 0x1
	v_cvt_f32_f16_e32 v20, v20
	s_wait_dscnt 0x5
	v_dual_add_f32 v17, v17, v26 :: v_dual_fmac_f32 v0, v22, v44
	s_wait_dscnt 0x4
	v_dual_mul_f32 v22, v23, v26 :: v_dual_sub_f32 v23, v24, v49
	s_wait_loadcnt 0x0
	v_cvt_f32_f16_e32 v21, v21
	s_wait_dscnt 0x2
	v_dual_add_f32 v17, v17, v25 :: v_dual_sub_f32 v18, v20, v18
	v_fmac_f32_e32 v0, v22, v46
	v_mul_f32_e32 v22, v23, v25
	s_delay_alu instid0(VALU_DEP_3) | instskip(NEXT) | instid1(VALU_DEP_4)
	v_add_f32_e32 v17, v17, v21
	v_mul_f32_e32 v18, v18, v21
	s_wait_dscnt 0x1
	s_delay_alu instid0(VALU_DEP_3) | instskip(SKIP_1) | instid1(VALU_DEP_1)
	v_fmac_f32_e32 v0, v22, v48
	s_wait_dscnt 0x0
	v_fmac_f32_e32 v0, v18, v19
	s_wait_alu 0xfffe
	s_cbranch_vccz .LBB87_10
.LBB87_7:                               ; =>This Inner Loop Header: Depth=1
	v_dual_mov_b32 v19, 0 :: v_dual_mov_b32 v18, 0
	s_and_saveexec_b32 s1, s0
	s_cbranch_execz .LBB87_6
; %bb.8:                                ;   in Loop: Header=BB87_7 Depth=1
	v_dual_mov_b32 v18, 0 :: v_dual_mov_b32 v19, 0
	s_mov_b32 s26, exec_lo
	v_cmpx_gt_i64_e64 s[16:17], v[2:3]
	s_cbranch_execz .LBB87_5
; %bb.9:                                ;   in Loop: Header=BB87_7 Depth=1
	v_add_co_u32 v18, vcc_lo, s8, v4
	s_wait_alu 0xfffd
	v_add_co_ci_u32_e64 v19, null, s9, v5, vcc_lo
	v_add_co_u32 v20, vcc_lo, s10, v4
	s_wait_alu 0xfffd
	v_add_co_ci_u32_e64 v21, null, s11, v5, vcc_lo
	global_load_b32 v18, v[18:19], off
	global_load_b32 v19, v[20:21], off
	s_branch .LBB87_5
.LBB87_10:
	v_mov_b32_e32 v1, v7
.LBB87_11:
	s_delay_alu instid0(VALU_DEP_1) | instskip(SKIP_2) | instid1(VALU_DEP_2)
	v_mad_u32_u24 v2, v1, 33, v6
	v_lshrrev_b32_e32 v3, 5, v6
	s_mov_b32 s0, exec_lo
	v_lshl_add_u32 v4, v2, 2, 0
	s_delay_alu instid0(VALU_DEP_2)
	v_add_nc_u32_e32 v2, v3, v1
	ds_store_b32 v4, v0
	ds_store_b32 v4, v17 offset:1056
	s_wait_dscnt 0x0
	s_barrier_signal -1
	s_barrier_wait -1
	global_inv scope:SCOPE_SE
	v_cmpx_gt_u32_e32 32, v2
	s_cbranch_execz .LBB87_43
; %bb.12:
	v_and_b32_e32 v0, 31, v6
                                        ; implicit-def: $vgpr1
	s_delay_alu instid0(VALU_DEP_1)
	v_cmp_gt_u32_e64 s0, 8, v0
	v_mul_u32_u24_e32 v3, 33, v0
                                        ; implicit-def: $vgpr0
	s_wait_alu 0xfffe
	s_and_saveexec_b32 s1, s0
	s_cbranch_execz .LBB87_14
; %bb.13:
	s_delay_alu instid0(VALU_DEP_1) | instskip(NEXT) | instid1(VALU_DEP_1)
	v_add_nc_u32_e32 v0, v2, v3
	v_lshl_add_u32 v0, v0, 2, 0
	ds_load_b32 v1, v0
	ds_load_b32 v0, v0 offset:1056
.LBB87_14:
	s_wait_alu 0xfffe
	s_or_b32 exec_lo, exec_lo, s1
	v_mbcnt_lo_u32_b32 v7, -1, 0
	s_mov_b32 s2, ttmp9
	s_mov_b32 s3, 0
	v_cmp_eq_u32_e64 s1, 0, v6
	s_wait_alu 0xfffe
	s_lshl_b64 s[2:3], s[2:3], 5
	v_xor_b32_e32 v4, 4, v7
	v_xor_b32_e32 v5, 2, v7
	v_xor_b32_e32 v10, 1, v7
	s_wait_kmcnt 0x0
	s_cmp_lg_u64 s[12:13], 0
	s_cselect_b32 s5, -1, 0
	v_cmp_gt_i32_e32 vcc_lo, 32, v4
	s_cmp_lg_u64 s[14:15], 0
	s_cselect_b32 s4, -1, 0
	s_wait_alu 0xfffd
	v_cndmask_b32_e32 v4, v7, v4, vcc_lo
	v_cmp_gt_i32_e32 vcc_lo, 32, v5
	s_wait_alu 0xfffd
	v_cndmask_b32_e32 v5, v7, v5, vcc_lo
	v_cmp_gt_i32_e32 vcc_lo, 32, v10
	s_delay_alu instid0(VALU_DEP_2)
	v_lshlrev_b32_e32 v5, 2, v5
	s_wait_alu 0xfffd
	v_dual_cndmask_b32 v7, v7, v10 :: v_dual_lshlrev_b32 v4, 2, v4
	s_wait_dscnt 0x1
	ds_bpermute_b32 v8, v4, v1
	s_wait_dscnt 0x1
	ds_bpermute_b32 v9, v4, v0
	s_wait_dscnt 0x0
	v_dual_add_f32 v1, v1, v8 :: v_dual_add_f32 v0, v0, v9
	ds_bpermute_b32 v8, v5, v1
	ds_bpermute_b32 v9, v5, v0
	s_wait_dscnt 0x0
	v_dual_add_f32 v0, v0, v9 :: v_dual_lshlrev_b32 v7, 2, v7
	ds_bpermute_b32 v9, v7, v0
	v_add_f32_e32 v1, v1, v8
	ds_bpermute_b32 v8, v7, v1
	s_wait_dscnt 0x0
	v_add_f32_e32 v6, v1, v8
	v_add_f32_e32 v8, v0, v9
	s_and_saveexec_b32 s6, s1
	s_cbranch_execz .LBB87_19
; %bb.15:
	s_wait_alu 0xfffe
	v_mov_b32_e32 v1, s3
	v_or_b32_e32 v0, s2, v2
	s_and_not1_b32 vcc_lo, exec_lo, s5
	s_delay_alu instid0(VALU_DEP_1)
	v_lshlrev_b64_e32 v[0:1], 1, v[0:1]
	s_wait_alu 0xfffe
	s_cbranch_vccnz .LBB87_17
; %bb.16:
	s_delay_alu instid0(VALU_DEP_1) | instskip(SKIP_1) | instid1(VALU_DEP_2)
	v_add_co_u32 v9, vcc_lo, s12, v0
	s_wait_alu 0xfffd
	v_add_co_ci_u32_e64 v10, null, s13, v1, vcc_lo
	v_cvt_f16_f32_e32 v11, v6
	global_store_b16 v[9:10], v11, off
.LBB87_17:
	s_and_not1_b32 vcc_lo, exec_lo, s4
	s_wait_alu 0xfffe
	s_cbranch_vccnz .LBB87_19
; %bb.18:
	v_add_co_u32 v0, vcc_lo, s14, v0
	s_wait_alu 0xfffd
	v_add_co_ci_u32_e64 v1, null, s15, v1, vcc_lo
	v_cvt_f16_f32_e32 v9, v8
	global_store_b16 v[0:1], v9, off
.LBB87_19:
	s_wait_alu 0xfffe
	s_or_b32 exec_lo, exec_lo, s6
	v_cmp_gt_u32_e32 vcc_lo, 24, v2
	s_and_b32 exec_lo, exec_lo, vcc_lo
	s_cbranch_execz .LBB87_43
; %bb.20:
	s_and_saveexec_b32 s6, s0
	s_cbranch_execz .LBB87_22
; %bb.21:
	v_add_nc_u32_e32 v0, v2, v3
	s_delay_alu instid0(VALU_DEP_1)
	v_lshl_add_u32 v0, v0, 2, 0
	ds_load_b32 v6, v0 offset:32
	ds_load_b32 v8, v0 offset:1088
.LBB87_22:
	s_wait_alu 0xfffe
	s_or_b32 exec_lo, exec_lo, s6
	s_wait_dscnt 0x1
	ds_bpermute_b32 v0, v4, v6
	s_wait_dscnt 0x1
	ds_bpermute_b32 v1, v4, v8
	s_wait_dscnt 0x0
	v_dual_add_f32 v0, v6, v0 :: v_dual_add_f32 v1, v8, v1
	ds_bpermute_b32 v6, v5, v0
	ds_bpermute_b32 v8, v5, v1
	s_wait_dscnt 0x0
	v_dual_add_f32 v0, v0, v6 :: v_dual_add_f32 v1, v1, v8
	ds_bpermute_b32 v6, v7, v0
	ds_bpermute_b32 v8, v7, v1
	s_wait_dscnt 0x0
	v_dual_add_f32 v0, v0, v6 :: v_dual_add_f32 v1, v1, v8
	s_and_saveexec_b32 s6, s1
	s_cbranch_execz .LBB87_27
; %bb.23:
	s_and_not1_b32 vcc_lo, exec_lo, s5
	s_wait_alu 0xfffe
	s_cbranch_vccnz .LBB87_25
; %bb.24:
	v_add_co_u32 v8, s7, s2, v2
	s_wait_alu 0xf1ff
	v_add_co_ci_u32_e64 v9, null, s3, 0, s7
	v_cvt_f16_f32_e32 v6, v0
	s_delay_alu instid0(VALU_DEP_2) | instskip(NEXT) | instid1(VALU_DEP_1)
	v_lshlrev_b64_e32 v[8:9], 1, v[8:9]
	v_add_co_u32 v8, vcc_lo, s12, v8
	s_wait_alu 0xfffd
	s_delay_alu instid0(VALU_DEP_2)
	v_add_co_ci_u32_e64 v9, null, s13, v9, vcc_lo
	global_store_b16 v[8:9], v6, off offset:16
.LBB87_25:
	s_and_not1_b32 vcc_lo, exec_lo, s4
	s_wait_alu 0xfffe
	s_cbranch_vccnz .LBB87_27
; %bb.26:
	v_add_co_u32 v8, s7, s2, v2
	s_wait_alu 0xf1ff
	v_add_co_ci_u32_e64 v9, null, s3, 0, s7
	v_cvt_f16_f32_e32 v6, v1
	s_delay_alu instid0(VALU_DEP_2) | instskip(NEXT) | instid1(VALU_DEP_1)
	v_lshlrev_b64_e32 v[8:9], 1, v[8:9]
	v_add_co_u32 v8, vcc_lo, s14, v8
	s_wait_alu 0xfffd
	s_delay_alu instid0(VALU_DEP_2)
	v_add_co_ci_u32_e64 v9, null, s15, v9, vcc_lo
	global_store_b16 v[8:9], v6, off offset:16
.LBB87_27:
	s_wait_alu 0xfffe
	s_or_b32 exec_lo, exec_lo, s6
	v_cmp_gt_u32_e32 vcc_lo, 16, v2
	s_and_b32 exec_lo, exec_lo, vcc_lo
	s_cbranch_execz .LBB87_43
; %bb.28:
	s_and_saveexec_b32 s6, s0
	s_cbranch_execz .LBB87_30
; %bb.29:
	v_add_nc_u32_e32 v0, v2, v3
	s_delay_alu instid0(VALU_DEP_1)
	v_lshl_add_u32 v1, v0, 2, 0
	ds_load_b32 v0, v1 offset:64
	ds_load_b32 v1, v1 offset:1120
.LBB87_30:
	s_wait_alu 0xfffe
	s_or_b32 exec_lo, exec_lo, s6
	s_wait_dscnt 0x1
	ds_bpermute_b32 v6, v4, v0
	s_wait_dscnt 0x1
	ds_bpermute_b32 v8, v4, v1
	s_wait_dscnt 0x0
	v_dual_add_f32 v0, v0, v6 :: v_dual_add_f32 v1, v1, v8
	ds_bpermute_b32 v6, v5, v0
	ds_bpermute_b32 v8, v5, v1
	s_wait_dscnt 0x0
	v_dual_add_f32 v0, v0, v6 :: v_dual_add_f32 v1, v1, v8
	ds_bpermute_b32 v6, v7, v0
	ds_bpermute_b32 v8, v7, v1
	s_wait_dscnt 0x0
	v_dual_add_f32 v0, v0, v6 :: v_dual_add_f32 v1, v1, v8
	s_and_saveexec_b32 s6, s1
	s_cbranch_execz .LBB87_35
; %bb.31:
	s_and_not1_b32 vcc_lo, exec_lo, s5
	s_wait_alu 0xfffe
	s_cbranch_vccnz .LBB87_33
; %bb.32:
	v_add_co_u32 v8, s7, s2, v2
	s_wait_alu 0xf1ff
	v_add_co_ci_u32_e64 v9, null, s3, 0, s7
	v_cvt_f16_f32_e32 v6, v0
	s_delay_alu instid0(VALU_DEP_2) | instskip(NEXT) | instid1(VALU_DEP_1)
	v_lshlrev_b64_e32 v[8:9], 1, v[8:9]
	v_add_co_u32 v8, vcc_lo, s12, v8
	s_wait_alu 0xfffd
	s_delay_alu instid0(VALU_DEP_2)
	v_add_co_ci_u32_e64 v9, null, s13, v9, vcc_lo
	global_store_b16 v[8:9], v6, off offset:32
.LBB87_33:
	s_and_not1_b32 vcc_lo, exec_lo, s4
	s_wait_alu 0xfffe
	s_cbranch_vccnz .LBB87_35
; %bb.34:
	v_add_co_u32 v8, s7, s2, v2
	s_wait_alu 0xf1ff
	v_add_co_ci_u32_e64 v9, null, s3, 0, s7
	v_cvt_f16_f32_e32 v6, v1
	s_delay_alu instid0(VALU_DEP_2) | instskip(NEXT) | instid1(VALU_DEP_1)
	v_lshlrev_b64_e32 v[8:9], 1, v[8:9]
	v_add_co_u32 v8, vcc_lo, s14, v8
	s_wait_alu 0xfffd
	s_delay_alu instid0(VALU_DEP_2)
	v_add_co_ci_u32_e64 v9, null, s15, v9, vcc_lo
	global_store_b16 v[8:9], v6, off offset:32
.LBB87_35:
	s_wait_alu 0xfffe
	s_or_b32 exec_lo, exec_lo, s6
	v_cmp_gt_u32_e32 vcc_lo, 8, v2
	s_and_b32 exec_lo, exec_lo, vcc_lo
	s_cbranch_execz .LBB87_43
; %bb.36:
	s_and_saveexec_b32 s6, s0
	s_cbranch_execz .LBB87_38
; %bb.37:
	v_add_nc_u32_e32 v0, v2, v3
	s_delay_alu instid0(VALU_DEP_1)
	v_lshl_add_u32 v1, v0, 2, 0
	ds_load_b32 v0, v1 offset:96
	ds_load_b32 v1, v1 offset:1152
.LBB87_38:
	s_wait_alu 0xfffe
	s_or_b32 exec_lo, exec_lo, s6
	s_wait_dscnt 0x1
	ds_bpermute_b32 v3, v4, v0
	s_wait_dscnt 0x1
	ds_bpermute_b32 v4, v4, v1
	s_wait_dscnt 0x0
	v_dual_add_f32 v0, v0, v3 :: v_dual_add_f32 v1, v1, v4
	ds_bpermute_b32 v3, v5, v0
	ds_bpermute_b32 v4, v5, v1
	s_wait_dscnt 0x0
	v_dual_add_f32 v3, v0, v3 :: v_dual_add_f32 v0, v1, v4
	ds_bpermute_b32 v4, v7, v3
	ds_bpermute_b32 v1, v7, v0
	s_and_b32 exec_lo, exec_lo, s1
	s_cbranch_execz .LBB87_43
; %bb.39:
	s_and_not1_b32 vcc_lo, exec_lo, s5
	s_wait_alu 0xfffe
	s_cbranch_vccnz .LBB87_41
; %bb.40:
	v_add_co_u32 v5, s0, s2, v2
	s_wait_alu 0xf1ff
	v_add_co_ci_u32_e64 v6, null, s3, 0, s0
	s_wait_dscnt 0x1
	v_add_f32_e32 v7, v3, v4
	s_delay_alu instid0(VALU_DEP_2) | instskip(NEXT) | instid1(VALU_DEP_1)
	v_lshlrev_b64_e32 v[5:6], 1, v[5:6]
	v_add_co_u32 v3, vcc_lo, s12, v5
	s_wait_alu 0xfffd
	s_delay_alu instid0(VALU_DEP_2)
	v_add_co_ci_u32_e64 v4, null, s13, v6, vcc_lo
	v_cvt_f16_f32_e32 v5, v7
	global_store_b16 v[3:4], v5, off offset:48
.LBB87_41:
	s_and_not1_b32 vcc_lo, exec_lo, s4
	s_wait_alu 0xfffe
	s_cbranch_vccnz .LBB87_43
; %bb.42:
	v_add_co_u32 v2, s0, s2, v2
	s_wait_alu 0xf1ff
	v_add_co_ci_u32_e64 v3, null, s3, 0, s0
	s_wait_dscnt 0x0
	v_add_f32_e32 v4, v0, v1
	s_delay_alu instid0(VALU_DEP_2) | instskip(NEXT) | instid1(VALU_DEP_1)
	v_lshlrev_b64_e32 v[2:3], 1, v[2:3]
	v_add_co_u32 v0, vcc_lo, s14, v2
	s_wait_alu 0xfffd
	s_delay_alu instid0(VALU_DEP_2)
	v_add_co_ci_u32_e64 v1, null, s15, v3, vcc_lo
	v_cvt_f16_f32_e32 v2, v4
	global_store_b16 v[0:1], v2, off offset:48
.LBB87_43:
	s_endpgm
	.section	.rodata,"a",@progbits
	.p2align	6, 0x0
	.amdhsa_kernel _ZN2at6native12_GLOBAL__N_135GammaBetaBackwardCUDAKernelTemplateIN3c104HalfEfLj32ELj8ELj64ELb0ELb1ELb0EEEvllPKT_S7_PKT0_SA_PS5_SB_
		.amdhsa_group_segment_fixed_size 0
		.amdhsa_private_segment_fixed_size 0
		.amdhsa_kernarg_size 320
		.amdhsa_user_sgpr_count 2
		.amdhsa_user_sgpr_dispatch_ptr 0
		.amdhsa_user_sgpr_queue_ptr 0
		.amdhsa_user_sgpr_kernarg_segment_ptr 1
		.amdhsa_user_sgpr_dispatch_id 0
		.amdhsa_user_sgpr_private_segment_size 0
		.amdhsa_wavefront_size32 1
		.amdhsa_uses_dynamic_stack 0
		.amdhsa_enable_private_segment 0
		.amdhsa_system_sgpr_workgroup_id_x 1
		.amdhsa_system_sgpr_workgroup_id_y 1
		.amdhsa_system_sgpr_workgroup_id_z 0
		.amdhsa_system_sgpr_workgroup_info 0
		.amdhsa_system_vgpr_workitem_id 1
		.amdhsa_next_free_vgpr 50
		.amdhsa_next_free_sgpr 27
		.amdhsa_reserve_vcc 1
		.amdhsa_float_round_mode_32 0
		.amdhsa_float_round_mode_16_64 0
		.amdhsa_float_denorm_mode_32 3
		.amdhsa_float_denorm_mode_16_64 3
		.amdhsa_fp16_overflow 0
		.amdhsa_workgroup_processor_mode 1
		.amdhsa_memory_ordered 1
		.amdhsa_forward_progress 1
		.amdhsa_inst_pref_size 24
		.amdhsa_round_robin_scheduling 0
		.amdhsa_exception_fp_ieee_invalid_op 0
		.amdhsa_exception_fp_denorm_src 0
		.amdhsa_exception_fp_ieee_div_zero 0
		.amdhsa_exception_fp_ieee_overflow 0
		.amdhsa_exception_fp_ieee_underflow 0
		.amdhsa_exception_fp_ieee_inexact 0
		.amdhsa_exception_int_div_zero 0
	.end_amdhsa_kernel
	.section	.text._ZN2at6native12_GLOBAL__N_135GammaBetaBackwardCUDAKernelTemplateIN3c104HalfEfLj32ELj8ELj64ELb0ELb1ELb0EEEvllPKT_S7_PKT0_SA_PS5_SB_,"axG",@progbits,_ZN2at6native12_GLOBAL__N_135GammaBetaBackwardCUDAKernelTemplateIN3c104HalfEfLj32ELj8ELj64ELb0ELb1ELb0EEEvllPKT_S7_PKT0_SA_PS5_SB_,comdat
.Lfunc_end87:
	.size	_ZN2at6native12_GLOBAL__N_135GammaBetaBackwardCUDAKernelTemplateIN3c104HalfEfLj32ELj8ELj64ELb0ELb1ELb0EEEvllPKT_S7_PKT0_SA_PS5_SB_, .Lfunc_end87-_ZN2at6native12_GLOBAL__N_135GammaBetaBackwardCUDAKernelTemplateIN3c104HalfEfLj32ELj8ELj64ELb0ELb1ELb0EEEvllPKT_S7_PKT0_SA_PS5_SB_
                                        ; -- End function
	.set _ZN2at6native12_GLOBAL__N_135GammaBetaBackwardCUDAKernelTemplateIN3c104HalfEfLj32ELj8ELj64ELb0ELb1ELb0EEEvllPKT_S7_PKT0_SA_PS5_SB_.num_vgpr, 50
	.set _ZN2at6native12_GLOBAL__N_135GammaBetaBackwardCUDAKernelTemplateIN3c104HalfEfLj32ELj8ELj64ELb0ELb1ELb0EEEvllPKT_S7_PKT0_SA_PS5_SB_.num_agpr, 0
	.set _ZN2at6native12_GLOBAL__N_135GammaBetaBackwardCUDAKernelTemplateIN3c104HalfEfLj32ELj8ELj64ELb0ELb1ELb0EEEvllPKT_S7_PKT0_SA_PS5_SB_.numbered_sgpr, 27
	.set _ZN2at6native12_GLOBAL__N_135GammaBetaBackwardCUDAKernelTemplateIN3c104HalfEfLj32ELj8ELj64ELb0ELb1ELb0EEEvllPKT_S7_PKT0_SA_PS5_SB_.num_named_barrier, 0
	.set _ZN2at6native12_GLOBAL__N_135GammaBetaBackwardCUDAKernelTemplateIN3c104HalfEfLj32ELj8ELj64ELb0ELb1ELb0EEEvllPKT_S7_PKT0_SA_PS5_SB_.private_seg_size, 0
	.set _ZN2at6native12_GLOBAL__N_135GammaBetaBackwardCUDAKernelTemplateIN3c104HalfEfLj32ELj8ELj64ELb0ELb1ELb0EEEvllPKT_S7_PKT0_SA_PS5_SB_.uses_vcc, 1
	.set _ZN2at6native12_GLOBAL__N_135GammaBetaBackwardCUDAKernelTemplateIN3c104HalfEfLj32ELj8ELj64ELb0ELb1ELb0EEEvllPKT_S7_PKT0_SA_PS5_SB_.uses_flat_scratch, 0
	.set _ZN2at6native12_GLOBAL__N_135GammaBetaBackwardCUDAKernelTemplateIN3c104HalfEfLj32ELj8ELj64ELb0ELb1ELb0EEEvllPKT_S7_PKT0_SA_PS5_SB_.has_dyn_sized_stack, 0
	.set _ZN2at6native12_GLOBAL__N_135GammaBetaBackwardCUDAKernelTemplateIN3c104HalfEfLj32ELj8ELj64ELb0ELb1ELb0EEEvllPKT_S7_PKT0_SA_PS5_SB_.has_recursion, 0
	.set _ZN2at6native12_GLOBAL__N_135GammaBetaBackwardCUDAKernelTemplateIN3c104HalfEfLj32ELj8ELj64ELb0ELb1ELb0EEEvllPKT_S7_PKT0_SA_PS5_SB_.has_indirect_call, 0
	.section	.AMDGPU.csdata,"",@progbits
; Kernel info:
; codeLenInByte = 3012
; TotalNumSgprs: 29
; NumVgprs: 50
; ScratchSize: 0
; MemoryBound: 0
; FloatMode: 240
; IeeeMode: 1
; LDSByteSize: 0 bytes/workgroup (compile time only)
; SGPRBlocks: 0
; VGPRBlocks: 6
; NumSGPRsForWavesPerEU: 29
; NumVGPRsForWavesPerEU: 50
; Occupancy: 16
; WaveLimiterHint : 0
; COMPUTE_PGM_RSRC2:SCRATCH_EN: 0
; COMPUTE_PGM_RSRC2:USER_SGPR: 2
; COMPUTE_PGM_RSRC2:TRAP_HANDLER: 0
; COMPUTE_PGM_RSRC2:TGID_X_EN: 1
; COMPUTE_PGM_RSRC2:TGID_Y_EN: 1
; COMPUTE_PGM_RSRC2:TGID_Z_EN: 0
; COMPUTE_PGM_RSRC2:TIDIG_COMP_CNT: 1
	.section	.text._ZN2at6native12_GLOBAL__N_135GammaBetaBackwardCUDAKernelTemplateIN3c104HalfEfLj32ELj8ELj64ELb0ELb0ELb0EEEvllPKT_S7_PKT0_SA_PS5_SB_,"axG",@progbits,_ZN2at6native12_GLOBAL__N_135GammaBetaBackwardCUDAKernelTemplateIN3c104HalfEfLj32ELj8ELj64ELb0ELb0ELb0EEEvllPKT_S7_PKT0_SA_PS5_SB_,comdat
	.globl	_ZN2at6native12_GLOBAL__N_135GammaBetaBackwardCUDAKernelTemplateIN3c104HalfEfLj32ELj8ELj64ELb0ELb0ELb0EEEvllPKT_S7_PKT0_SA_PS5_SB_ ; -- Begin function _ZN2at6native12_GLOBAL__N_135GammaBetaBackwardCUDAKernelTemplateIN3c104HalfEfLj32ELj8ELj64ELb0ELb0ELb0EEEvllPKT_S7_PKT0_SA_PS5_SB_
	.p2align	8
	.type	_ZN2at6native12_GLOBAL__N_135GammaBetaBackwardCUDAKernelTemplateIN3c104HalfEfLj32ELj8ELj64ELb0ELb0ELb0EEEvllPKT_S7_PKT0_SA_PS5_SB_,@function
_ZN2at6native12_GLOBAL__N_135GammaBetaBackwardCUDAKernelTemplateIN3c104HalfEfLj32ELj8ELj64ELb0ELb0ELb0EEEvllPKT_S7_PKT0_SA_PS5_SB_: ; @_ZN2at6native12_GLOBAL__N_135GammaBetaBackwardCUDAKernelTemplateIN3c104HalfEfLj32ELj8ELj64ELb0ELb0ELb0EEEvllPKT_S7_PKT0_SA_PS5_SB_
; %bb.0:
	s_clause 0x1
	s_load_b256 s[4:11], s[0:1], 0x0
	s_load_b128 s[12:15], s[0:1], 0x20
	s_lshl_b32 s30, ttmp9, 5
	s_mov_b32 s17, 0
	s_or_b32 s16, s30, 31
	s_wait_kmcnt 0x0
	v_cmp_le_i64_e64 s2, s[6:7], s[16:17]
	s_lshl_b32 s16, ttmp7, 6
	s_wait_alu 0xfffe
	v_cmp_gt_i64_e64 s31, s[4:5], s[16:17]
	s_and_b32 vcc_lo, exec_lo, s2
	v_cndmask_b32_e64 v1, 0, 1, s31
	s_delay_alu instid0(VALU_DEP_1)
	v_cmp_ne_u32_e64 s2, 1, v1
	s_cbranch_vccz .LBB88_49
; %bb.1:
	v_dual_mov_b32 v10, 0 :: v_dual_mov_b32 v55, 0
	s_and_b32 vcc_lo, exec_lo, s2
	s_cbranch_vccnz .LBB88_50
; %bb.2:
	v_bfe_u32 v20, v0, 10, 10
	v_dual_mov_b32 v1, 0 :: v_dual_and_b32 v22, 0x3ff, v0
	s_load_b32 s3, s[0:1], 0x44
	s_mov_b32 s19, 0
	s_delay_alu instid0(VALU_DEP_2) | instskip(NEXT) | instid1(VALU_DEP_2)
	v_dual_mov_b32 v56, 0 :: v_dual_lshlrev_b32 v21, 3, v20
	v_dual_mov_b32 v3, v1 :: v_dual_add_nc_u32 v2, s30, v22
	s_mov_b32 s23, s19
	s_delay_alu instid0(VALU_DEP_2) | instskip(NEXT) | instid1(VALU_DEP_1)
	v_add_co_u32 v10, s2, v21, s16
	v_add_co_ci_u32_e64 v11, null, 0, 0, s2
	s_delay_alu instid0(VALU_DEP_3) | instskip(NEXT) | instid1(VALU_DEP_3)
	v_cmp_gt_i64_e64 s2, s[6:7], v[2:3]
	v_mul_lo_u32 v6, s7, v10
	v_mad_co_u64_u32 v[4:5], null, s6, v10, 0
	s_delay_alu instid0(VALU_DEP_4) | instskip(SKIP_1) | instid1(VALU_DEP_1)
	v_mul_lo_u32 v7, s6, v11
	v_add_co_u32 v8, vcc_lo, v10, 7
	v_add_co_ci_u32_e64 v9, null, 0, v11, vcc_lo
	v_lshlrev_b64_e32 v[18:19], 1, v[2:3]
	s_delay_alu instid0(VALU_DEP_3)
	v_mul_lo_u32 v12, s7, v8
	s_wait_kmcnt 0x0
	s_lshl_b32 s22, s3, 6
	v_add3_u32 v5, v5, v7, v6
	v_mad_co_u64_u32 v[6:7], null, s6, v8, 0
	v_add_co_u32 v8, vcc_lo, v10, 6
	v_mul_lo_u32 v13, s6, v9
	s_wait_alu 0xfffd
	v_add_co_ci_u32_e64 v9, null, 0, v11, vcc_lo
	v_lshlrev_b64_e32 v[2:3], 1, v[4:5]
	v_mul_lo_u32 v14, s7, v8
	v_mov_b32_e32 v55, 0
	s_delay_alu instid0(VALU_DEP_4)
	v_mul_lo_u32 v15, s6, v9
	v_mad_co_u64_u32 v[8:9], null, s6, v8, 0
	v_add_co_u32 v23, vcc_lo, s8, v2
	s_wait_alu 0xfffd
	v_add_co_ci_u32_e64 v24, null, s9, v3, vcc_lo
	v_add_co_u32 v25, vcc_lo, s10, v2
	v_add3_u32 v7, v7, v13, v12
	s_wait_alu 0xfffd
	v_add_co_ci_u32_e64 v26, null, s11, v3, vcc_lo
	v_add_co_u32 v12, vcc_lo, v10, 5
	v_add3_u32 v9, v9, v15, v14
	s_wait_alu 0xfffd
	v_add_co_ci_u32_e64 v13, null, 0, v11, vcc_lo
	v_lshlrev_b64_e32 v[2:3], 1, v[6:7]
	v_mul_lo_u32 v14, s7, v12
	v_lshlrev_b64_e32 v[6:7], 1, v[8:9]
	s_delay_alu instid0(VALU_DEP_4)
	v_mul_lo_u32 v13, s6, v13
	v_mad_co_u64_u32 v[8:9], null, s6, v12, 0
	v_add_co_u32 v27, vcc_lo, s8, v2
	s_wait_alu 0xfffd
	v_add_co_ci_u32_e64 v28, null, s9, v3, vcc_lo
	v_add_co_u32 v29, vcc_lo, s10, v2
	s_wait_alu 0xfffd
	v_add_co_ci_u32_e64 v30, null, s11, v3, vcc_lo
	v_add_co_u32 v31, vcc_lo, s8, v6
	v_add3_u32 v9, v9, v13, v14
	s_wait_alu 0xfffd
	v_add_co_ci_u32_e64 v32, null, s9, v7, vcc_lo
	v_add_co_u32 v12, vcc_lo, v10, 4
	v_add_co_u32 v33, s3, s10, v6
	s_wait_alu 0xfffd
	v_add_co_ci_u32_e64 v6, null, 0, v11, vcc_lo
	v_lshlrev_b64_e32 v[2:3], 1, v[8:9]
	v_add_co_u32 v8, vcc_lo, v10, 3
	s_wait_alu 0xfffd
	v_add_co_ci_u32_e64 v9, null, 0, v11, vcc_lo
	s_wait_alu 0xf1ff
	v_add_co_ci_u32_e64 v34, null, s11, v7, s3
	v_mul_lo_u32 v13, s7, v12
	v_mul_lo_u32 v14, s6, v6
	v_mad_co_u64_u32 v[6:7], null, s6, v12, 0
	v_mul_lo_u32 v12, s7, v8
	v_mul_lo_u32 v15, s6, v9
	v_mad_co_u64_u32 v[8:9], null, s6, v8, 0
	v_add_co_u32 v35, vcc_lo, s8, v2
	s_wait_alu 0xfffd
	v_add_co_ci_u32_e64 v36, null, s9, v3, vcc_lo
	v_add3_u32 v7, v7, v14, v13
	v_add_co_u32 v37, vcc_lo, s10, v2
	s_wait_alu 0xfffd
	v_add_co_ci_u32_e64 v38, null, s11, v3, vcc_lo
	v_add_co_u32 v10, vcc_lo, v10, 2
	v_add3_u32 v9, v9, v15, v12
	s_wait_alu 0xfffd
	v_add_co_ci_u32_e64 v11, null, 0, v11, vcc_lo
	v_lshlrev_b64_e32 v[2:3], 1, v[6:7]
	v_mul_lo_u32 v12, s7, v10
	v_lshlrev_b64_e32 v[6:7], 1, v[8:9]
	s_delay_alu instid0(VALU_DEP_4)
	v_mul_lo_u32 v11, s6, v11
	v_mad_co_u64_u32 v[8:9], null, s6, v10, 0
	v_add_co_u32 v39, vcc_lo, s8, v2
	s_wait_alu 0xfffd
	v_add_co_ci_u32_e64 v40, null, s9, v3, vcc_lo
	v_add_co_u32 v41, vcc_lo, s10, v2
	s_wait_alu 0xfffd
	v_add_co_ci_u32_e64 v42, null, s11, v3, vcc_lo
	;; [unrolled: 3-line block ×3, first 2 shown]
	v_add3_u32 v9, v9, v11, v12
	v_add_co_u32 v45, vcc_lo, s10, v6
	s_wait_alu 0xfffd
	v_add_co_ci_u32_e64 v46, null, s11, v7, vcc_lo
	v_add_co_u32 v4, vcc_lo, v4, s6
	s_wait_alu 0xfffd
	v_add_co_ci_u32_e64 v5, null, s7, v5, vcc_lo
	v_lshlrev_b64_e32 v[2:3], 1, v[8:9]
	s_mul_u64 s[24:25], s[6:7], s[22:23]
	s_add_nc_u64 s[20:21], s[0:1], 64
	s_delay_alu instid0(VALU_DEP_2)
	v_lshlrev_b64_e32 v[4:5], 1, v[4:5]
	s_lshl_b64 s[24:25], s[24:25], 1
	s_add_nc_u64 s[26:27], s[16:17], 63
	v_add_co_u32 v47, vcc_lo, s8, v2
	s_wait_alu 0xfffd
	v_add_co_ci_u32_e64 v48, null, s9, v3, vcc_lo
	v_add_co_u32 v49, vcc_lo, s10, v2
	s_wait_alu 0xfffd
	v_add_co_ci_u32_e64 v50, null, s11, v3, vcc_lo
	;; [unrolled: 3-line block ×4, first 2 shown]
	s_mov_b64 s[28:29], s[16:17]
.LBB88_3:                               ; =>This Inner Loop Header: Depth=1
	v_cmp_ge_i64_e64 s3, s[26:27], s[4:5]
	v_add_co_u32 v57, s18, v21, s26
	s_wait_alu 0xf1ff
	v_add_co_ci_u32_e64 v58, null, 0, s27, s18
                                        ; implicit-def: $vgpr10_vgpr11_vgpr12_vgpr13_vgpr14_vgpr15_vgpr16_vgpr17
                                        ; implicit-def: $vgpr2_vgpr3_vgpr4_vgpr5_vgpr6_vgpr7_vgpr8_vgpr9
                                        ; implicit-def: $vgpr60
                                        ; implicit-def: $vgpr2
	s_and_b32 vcc_lo, exec_lo, s3
	s_mov_b32 s3, -1
                                        ; implicit-def: $vgpr10
                                        ; implicit-def: $vgpr3
	s_wait_alu 0xfffe
	s_cbranch_vccz .LBB88_25
; %bb.4:                                ;   in Loop: Header=BB88_3 Depth=1
	s_load_b32 s3, s[20:21], 0xc
	v_dual_mov_b32 v60, 0 :: v_dual_mov_b32 v59, 0
	s_wait_kmcnt 0x0
	s_and_b32 s3, s3, 0xffff
	s_wait_alu 0xfffe
	v_mad_u32_u24 v2, v20, s3, v22
	s_mov_b32 s3, exec_lo
	s_delay_alu instid0(VALU_DEP_1) | instskip(NEXT) | instid1(VALU_DEP_1)
	v_and_b32_e32 v2, 31, v2
	v_cmpx_gt_u32_e32 8, v2
	s_cbranch_execz .LBB88_8
; %bb.5:                                ;   in Loop: Header=BB88_3 Depth=1
	v_add_co_u32 v2, vcc_lo, v57, v2
	s_wait_alu 0xfffd
	v_add_co_ci_u32_e64 v3, null, 0, v58, vcc_lo
	v_dual_mov_b32 v59, 0 :: v_dual_mov_b32 v60, 0
	s_delay_alu instid0(VALU_DEP_3) | instskip(SKIP_1) | instid1(VALU_DEP_3)
	v_add_co_u32 v2, vcc_lo, 0xffffffc1, v2
	s_wait_alu 0xfffd
	v_add_co_ci_u32_e64 v3, null, -1, v3, vcc_lo
	s_mov_b32 s18, exec_lo
	v_cmpx_gt_i64_e64 s[4:5], v[2:3]
	s_cbranch_execz .LBB88_7
; %bb.6:                                ;   in Loop: Header=BB88_3 Depth=1
	v_lshlrev_b64_e32 v[2:3], 2, v[2:3]
	s_delay_alu instid0(VALU_DEP_1) | instskip(SKIP_1) | instid1(VALU_DEP_2)
	v_add_co_u32 v4, vcc_lo, s12, v2
	s_wait_alu 0xfffd
	v_add_co_ci_u32_e64 v5, null, s13, v3, vcc_lo
	v_add_co_u32 v2, vcc_lo, s14, v2
	s_wait_alu 0xfffd
	v_add_co_ci_u32_e64 v3, null, s15, v3, vcc_lo
	global_load_b32 v59, v[4:5], off
	global_load_b32 v60, v[2:3], off
.LBB88_7:                               ;   in Loop: Header=BB88_3 Depth=1
	s_wait_alu 0xfffe
	s_or_b32 exec_lo, exec_lo, s18
.LBB88_8:                               ;   in Loop: Header=BB88_3 Depth=1
	s_wait_alu 0xfffe
	s_or_b32 exec_lo, exec_lo, s3
	v_add_co_u32 v9, vcc_lo, 0xffffffc1, v57
	s_wait_alu 0xfffd
	v_add_co_ci_u32_e64 v10, null, -1, v58, vcc_lo
	v_mov_b32_e32 v8, v1
	v_dual_mov_b32 v2, v1 :: v_dual_mov_b32 v3, v1
	v_dual_mov_b32 v4, v1 :: v_dual_mov_b32 v5, v1
	;; [unrolled: 1-line block ×3, first 2 shown]
	v_cmp_gt_i64_e32 vcc_lo, s[4:5], v[9:10]
	s_delay_alu instid0(VALU_DEP_3) | instskip(NEXT) | instid1(VALU_DEP_3)
	v_dual_mov_b32 v17, v8 :: v_dual_mov_b32 v14, v5
	v_dual_mov_b32 v15, v6 :: v_dual_mov_b32 v16, v7
	;; [unrolled: 1-line block ×4, first 2 shown]
	v_mov_b32_e32 v9, v8
	v_mov_b32_e32 v8, v7
	;; [unrolled: 1-line block ×8, first 2 shown]
	s_and_b32 s18, s2, vcc_lo
	s_wait_alu 0xfffe
	s_and_saveexec_b32 s3, s18
	s_cbranch_execz .LBB88_10
; %bb.9:                                ;   in Loop: Header=BB88_3 Depth=1
	v_add_co_u32 v2, vcc_lo, v23, v18
	s_wait_alu 0xfffd
	v_add_co_ci_u32_e64 v3, null, v24, v19, vcc_lo
	v_add_co_u32 v4, vcc_lo, v25, v18
	s_wait_alu 0xfffd
	v_add_co_ci_u32_e64 v5, null, v26, v19, vcc_lo
	global_load_u16 v2, v[2:3], off
	global_load_u16 v10, v[4:5], off
	v_dual_mov_b32 v3, v1 :: v_dual_mov_b32 v4, v1
	v_dual_mov_b32 v5, v1 :: v_dual_mov_b32 v6, v1
	;; [unrolled: 1-line block ×6, first 2 shown]
	v_mov_b32_e32 v15, v1
	v_mov_b32_e32 v17, v1
	s_wait_loadcnt 0x1
	v_cvt_f32_f16_e32 v2, v2
	s_wait_loadcnt 0x0
	v_cvt_f32_f16_e32 v10, v10
.LBB88_10:                              ;   in Loop: Header=BB88_3 Depth=1
	s_wait_alu 0xfffe
	s_or_b32 exec_lo, exec_lo, s3
	v_add_co_u32 v61, vcc_lo, 0xffffffc2, v57
	s_wait_alu 0xfffd
	v_add_co_ci_u32_e64 v62, null, -1, v58, vcc_lo
	s_delay_alu instid0(VALU_DEP_1)
	v_cmp_gt_i64_e32 vcc_lo, s[4:5], v[61:62]
	s_and_b32 s18, s2, vcc_lo
	s_wait_alu 0xfffe
	s_and_saveexec_b32 s3, s18
	s_cbranch_execz .LBB88_12
; %bb.11:                               ;   in Loop: Header=BB88_3 Depth=1
	v_add_co_u32 v61, vcc_lo, v51, v18
	s_wait_alu 0xfffd
	v_add_co_ci_u32_e64 v62, null, v52, v19, vcc_lo
	v_add_co_u32 v63, vcc_lo, v53, v18
	s_wait_alu 0xfffd
	v_add_co_ci_u32_e64 v64, null, v54, v19, vcc_lo
	global_load_u16 v3, v[61:62], off
	global_load_u16 v11, v[63:64], off
	s_wait_loadcnt 0x1
	v_cvt_f32_f16_e32 v3, v3
	s_wait_loadcnt 0x0
	v_cvt_f32_f16_e32 v11, v11
.LBB88_12:                              ;   in Loop: Header=BB88_3 Depth=1
	s_wait_alu 0xfffe
	s_or_b32 exec_lo, exec_lo, s3
	v_add_co_u32 v61, vcc_lo, 0xffffffc3, v57
	s_wait_alu 0xfffd
	v_add_co_ci_u32_e64 v62, null, -1, v58, vcc_lo
	s_delay_alu instid0(VALU_DEP_1)
	v_cmp_gt_i64_e32 vcc_lo, s[4:5], v[61:62]
	s_and_b32 s18, s2, vcc_lo
	s_wait_alu 0xfffe
	s_and_saveexec_b32 s3, s18
	s_cbranch_execz .LBB88_14
; %bb.13:                               ;   in Loop: Header=BB88_3 Depth=1
	v_add_co_u32 v61, vcc_lo, v47, v18
	s_wait_alu 0xfffd
	v_add_co_ci_u32_e64 v62, null, v48, v19, vcc_lo
	v_add_co_u32 v63, vcc_lo, v49, v18
	s_wait_alu 0xfffd
	v_add_co_ci_u32_e64 v64, null, v50, v19, vcc_lo
	global_load_u16 v4, v[61:62], off
	global_load_u16 v12, v[63:64], off
	s_wait_loadcnt 0x1
	v_cvt_f32_f16_e32 v4, v4
	s_wait_loadcnt 0x0
	v_cvt_f32_f16_e32 v12, v12
.LBB88_14:                              ;   in Loop: Header=BB88_3 Depth=1
	;; [unrolled: 25-line block ×7, first 2 shown]
	s_wait_alu 0xfffe
	s_or_b32 exec_lo, exec_lo, s3
	s_wait_loadcnt 0x1
	ds_bpermute_b32 v61, v1, v59
	ds_bpermute_b32 v62, v1, v59 offset:4
	ds_bpermute_b32 v63, v1, v59 offset:8
	s_wait_loadcnt 0x0
	ds_bpermute_b32 v64, v1, v60
	ds_bpermute_b32 v65, v1, v59 offset:12
	ds_bpermute_b32 v66, v1, v60 offset:4
	;; [unrolled: 1-line block ×7, first 2 shown]
	s_mov_b32 s3, 0
	s_wait_dscnt 0xa
	v_dual_sub_f32 v10, v10, v61 :: v_dual_add_f32 v61, v55, v2
	s_wait_dscnt 0x8
	v_dual_sub_f32 v11, v11, v62 :: v_dual_sub_f32 v12, v12, v63
	ds_bpermute_b32 v62, v1, v60 offset:16
	v_mul_f32_e32 v2, v2, v10
	ds_bpermute_b32 v63, v1, v60 offset:20
	v_dual_mul_f32 v11, v3, v11 :: v_dual_mul_f32 v12, v4, v12
	v_add_f32_e32 v3, v3, v61
	s_wait_dscnt 0x9
	v_fma_f32 v10, v2, v64, v56
	s_wait_dscnt 0x8
	v_sub_f32_e32 v2, v13, v65
	ds_bpermute_b32 v64, v1, v60 offset:24
	ds_bpermute_b32 v60, v1, v60 offset:28
	s_wait_dscnt 0x9
	v_dual_add_f32 v3, v4, v3 :: v_dual_fmac_f32 v10, v11, v66
	s_wait_dscnt 0x8
	v_sub_f32_e32 v11, v14, v67
	v_mul_f32_e32 v13, v5, v2
	ds_bpermute_b32 v2, v1, v59 offset:28
	s_wait_dscnt 0x6
	v_sub_f32_e32 v4, v15, v70
	v_dual_fmac_f32 v10, v12, v68 :: v_dual_mul_f32 v11, v6, v11
	v_add_f32_e32 v3, v5, v3
	s_wait_dscnt 0x5
	s_delay_alu instid0(VALU_DEP_3) | instskip(NEXT) | instid1(VALU_DEP_2)
	v_dual_sub_f32 v5, v16, v71 :: v_dual_mul_f32 v4, v7, v4
	v_dual_fmac_f32 v10, v13, v69 :: v_dual_add_f32 v3, v6, v3
	s_wait_dscnt 0x4
	s_delay_alu instid0(VALU_DEP_1) | instskip(SKIP_1) | instid1(VALU_DEP_1)
	v_dual_mul_f32 v5, v8, v5 :: v_dual_fmac_f32 v10, v11, v62
	s_wait_dscnt 0x3
	v_fmac_f32_e32 v10, v4, v63
	s_wait_dscnt 0x2
	s_delay_alu instid0(VALU_DEP_1) | instskip(NEXT) | instid1(VALU_DEP_1)
	v_dual_add_f32 v3, v7, v3 :: v_dual_fmac_f32 v10, v5, v64
	v_add_f32_e32 v3, v8, v3
.LBB88_25:                              ;   in Loop: Header=BB88_3 Depth=1
	s_wait_alu 0xfffe
	s_and_b32 vcc_lo, exec_lo, s3
	s_wait_alu 0xfffe
	s_cbranch_vccz .LBB88_40
; %bb.26:                               ;   in Loop: Header=BB88_3 Depth=1
	s_load_b32 s3, s[20:21], 0x0
	s_wait_dscnt 0x1
	v_dual_mov_b32 v60, 0 :: v_dual_mov_b32 v59, 0
	s_wait_kmcnt 0x0
	s_cmp_lt_u32 ttmp9, s3
	s_cselect_b32 s18, 12, 18
	s_wait_alu 0xfffe
	s_add_nc_u64 s[34:35], s[20:21], s[18:19]
	s_load_u16 s3, s[34:35], 0x0
	s_wait_dscnt 0x0
	s_wait_kmcnt 0x0
	v_mad_u32_u24 v2, v20, s3, v22
	s_mov_b32 s3, exec_lo
	s_delay_alu instid0(VALU_DEP_1) | instskip(NEXT) | instid1(VALU_DEP_1)
	v_and_b32_e32 v2, 31, v2
	v_cmpx_gt_u32_e32 8, v2
	s_cbranch_execz .LBB88_30
; %bb.27:                               ;   in Loop: Header=BB88_3 Depth=1
	v_add_co_u32 v2, vcc_lo, v57, v2
	s_wait_alu 0xfffd
	v_add_co_ci_u32_e64 v3, null, 0, v58, vcc_lo
	v_dual_mov_b32 v59, 0 :: v_dual_mov_b32 v60, 0
	s_delay_alu instid0(VALU_DEP_3) | instskip(SKIP_1) | instid1(VALU_DEP_3)
	v_add_co_u32 v2, vcc_lo, 0xffffffc1, v2
	s_wait_alu 0xfffd
	v_add_co_ci_u32_e64 v3, null, -1, v3, vcc_lo
	s_mov_b32 s18, exec_lo
	v_cmpx_gt_i64_e64 s[4:5], v[2:3]
	s_cbranch_execz .LBB88_29
; %bb.28:                               ;   in Loop: Header=BB88_3 Depth=1
	v_lshlrev_b64_e32 v[2:3], 2, v[2:3]
	s_delay_alu instid0(VALU_DEP_1) | instskip(SKIP_1) | instid1(VALU_DEP_2)
	v_add_co_u32 v4, vcc_lo, s12, v2
	s_wait_alu 0xfffd
	v_add_co_ci_u32_e64 v5, null, s13, v3, vcc_lo
	v_add_co_u32 v2, vcc_lo, s14, v2
	s_wait_alu 0xfffd
	v_add_co_ci_u32_e64 v3, null, s15, v3, vcc_lo
	global_load_b32 v59, v[4:5], off
	global_load_b32 v60, v[2:3], off
.LBB88_29:                              ;   in Loop: Header=BB88_3 Depth=1
	s_wait_alu 0xfffe
	s_or_b32 exec_lo, exec_lo, s18
.LBB88_30:                              ;   in Loop: Header=BB88_3 Depth=1
	s_wait_alu 0xfffe
	s_or_b32 exec_lo, exec_lo, s3
	v_mov_b32_e32 v8, v1
	v_dual_mov_b32 v2, v1 :: v_dual_mov_b32 v3, v1
	v_dual_mov_b32 v4, v1 :: v_dual_mov_b32 v5, v1
	;; [unrolled: 1-line block ×3, first 2 shown]
	s_delay_alu instid0(VALU_DEP_4) | instskip(NEXT) | instid1(VALU_DEP_3)
	v_mov_b32_e32 v17, v8
	v_dual_mov_b32 v13, v4 :: v_dual_mov_b32 v12, v3
	s_delay_alu instid0(VALU_DEP_3) | instskip(NEXT) | instid1(VALU_DEP_4)
	v_dual_mov_b32 v15, v6 :: v_dual_mov_b32 v14, v5
	v_dual_mov_b32 v16, v7 :: v_dual_mov_b32 v11, v2
	;; [unrolled: 1-line block ×3, first 2 shown]
	v_mov_b32_e32 v8, v7
	v_mov_b32_e32 v7, v6
	;; [unrolled: 1-line block ×7, first 2 shown]
	s_and_saveexec_b32 s3, s2
	s_cbranch_execnz .LBB88_42
; %bb.31:                               ;   in Loop: Header=BB88_3 Depth=1
	s_wait_alu 0xfffe
	s_or_b32 exec_lo, exec_lo, s3
	s_and_saveexec_b32 s3, s2
	s_cbranch_execnz .LBB88_43
.LBB88_32:                              ;   in Loop: Header=BB88_3 Depth=1
	s_wait_alu 0xfffe
	s_or_b32 exec_lo, exec_lo, s3
	s_and_saveexec_b32 s3, s2
	s_cbranch_execnz .LBB88_44
.LBB88_33:                              ;   in Loop: Header=BB88_3 Depth=1
	s_wait_alu 0xfffe
	s_or_b32 exec_lo, exec_lo, s3
	s_and_saveexec_b32 s3, s2
	s_cbranch_execnz .LBB88_45
.LBB88_34:                              ;   in Loop: Header=BB88_3 Depth=1
	s_wait_alu 0xfffe
	s_or_b32 exec_lo, exec_lo, s3
	s_and_saveexec_b32 s3, s2
	s_cbranch_execnz .LBB88_46
.LBB88_35:                              ;   in Loop: Header=BB88_3 Depth=1
	s_wait_alu 0xfffe
	s_or_b32 exec_lo, exec_lo, s3
	s_and_saveexec_b32 s3, s2
	s_cbranch_execnz .LBB88_47
.LBB88_36:                              ;   in Loop: Header=BB88_3 Depth=1
	s_wait_alu 0xfffe
	s_or_b32 exec_lo, exec_lo, s3
	s_and_saveexec_b32 s3, s2
	s_cbranch_execnz .LBB88_48
.LBB88_37:                              ;   in Loop: Header=BB88_3 Depth=1
	s_wait_alu 0xfffe
	s_or_b32 exec_lo, exec_lo, s3
	s_and_saveexec_b32 s3, s2
	s_cbranch_execz .LBB88_39
.LBB88_38:                              ;   in Loop: Header=BB88_3 Depth=1
	v_add_co_u32 v57, vcc_lo, v27, v18
	s_wait_alu 0xfffd
	v_add_co_ci_u32_e64 v58, null, v28, v19, vcc_lo
	v_add_co_u32 v61, vcc_lo, v29, v18
	s_wait_alu 0xfffd
	v_add_co_ci_u32_e64 v62, null, v30, v19, vcc_lo
	global_load_u16 v9, v[57:58], off
	global_load_u16 v17, v[61:62], off
	s_wait_loadcnt 0x1
	v_cvt_f32_f16_e32 v9, v9
	s_wait_loadcnt 0x0
	v_cvt_f32_f16_e32 v17, v17
.LBB88_39:                              ;   in Loop: Header=BB88_3 Depth=1
	s_wait_alu 0xfffe
	s_or_b32 exec_lo, exec_lo, s3
	s_wait_loadcnt 0x1
	ds_bpermute_b32 v57, v1, v59
	ds_bpermute_b32 v58, v1, v59 offset:4
	ds_bpermute_b32 v61, v1, v59 offset:8
	s_wait_loadcnt 0x0
	ds_bpermute_b32 v62, v1, v60
	ds_bpermute_b32 v63, v1, v59 offset:12
	ds_bpermute_b32 v64, v1, v60 offset:4
	ds_bpermute_b32 v65, v1, v59 offset:16
	ds_bpermute_b32 v67, v1, v59 offset:20
	ds_bpermute_b32 v66, v1, v60 offset:8
	s_wait_dscnt 0x7
	v_dual_sub_f32 v10, v10, v57 :: v_dual_sub_f32 v11, v11, v58
	ds_bpermute_b32 v57, v1, v60 offset:12
	s_wait_dscnt 0x7
	v_sub_f32_e32 v12, v12, v61
	ds_bpermute_b32 v58, v1, v60 offset:20
	v_dual_mul_f32 v10, v2, v10 :: v_dual_mul_f32 v11, v3, v11
	s_wait_dscnt 0x6
	v_dual_add_f32 v2, v55, v2 :: v_dual_sub_f32 v13, v13, v63
	ds_bpermute_b32 v55, v1, v60 offset:16
	v_fmac_f32_e32 v56, v10, v62
	ds_bpermute_b32 v10, v1, v59 offset:24
	s_wait_dscnt 0x6
	v_dual_add_f32 v2, v3, v2 :: v_dual_sub_f32 v3, v14, v65
	v_dual_fmac_f32 v56, v11, v64 :: v_dual_mul_f32 v11, v5, v13
	s_wait_dscnt 0x5
	v_dual_sub_f32 v13, v15, v67 :: v_dual_mul_f32 v12, v4, v12
	s_wait_dscnt 0x4
	s_delay_alu instid0(VALU_DEP_1)
	v_dual_mul_f32 v3, v6, v3 :: v_dual_fmac_f32 v56, v12, v66
	ds_bpermute_b32 v12, v1, v60 offset:24
	ds_bpermute_b32 v60, v1, v60 offset:28
	s_wait_dscnt 0x5
	v_fmac_f32_e32 v56, v11, v57
	s_wait_dscnt 0x2
	s_delay_alu instid0(VALU_DEP_1) | instskip(NEXT) | instid1(VALU_DEP_1)
	v_dual_fmac_f32 v56, v3, v55 :: v_dual_sub_f32 v3, v16, v10
	v_mul_f32_e32 v3, v8, v3
	v_add_f32_e32 v4, v4, v2
	ds_bpermute_b32 v2, v1, v59 offset:28
	v_dual_add_f32 v4, v5, v4 :: v_dual_mul_f32 v5, v7, v13
	s_delay_alu instid0(VALU_DEP_1) | instskip(NEXT) | instid1(VALU_DEP_2)
	v_add_f32_e32 v4, v6, v4
	v_fmac_f32_e32 v56, v5, v58
	s_delay_alu instid0(VALU_DEP_2) | instskip(SKIP_1) | instid1(VALU_DEP_2)
	v_add_f32_e32 v4, v7, v4
	s_wait_dscnt 0x2
	v_fmac_f32_e32 v56, v3, v12
	s_delay_alu instid0(VALU_DEP_2) | instskip(NEXT) | instid1(VALU_DEP_2)
	v_add_f32_e32 v3, v8, v4
	v_mov_b32_e32 v10, v56
.LBB88_40:                              ;   in Loop: Header=BB88_3 Depth=1
	v_add_co_u32 v23, vcc_lo, v23, s24
	s_wait_alu 0xfffd
	v_add_co_ci_u32_e64 v24, null, s25, v24, vcc_lo
	v_add_co_u32 v25, vcc_lo, v25, s24
	s_wait_alu 0xfffd
	v_add_co_ci_u32_e64 v26, null, s25, v26, vcc_lo
	;; [unrolled: 3-line block ×10, first 2 shown]
	v_add_co_u32 v43, vcc_lo, v43, s24
	s_wait_dscnt 0x0
	v_dual_sub_f32 v2, v17, v2 :: v_dual_add_f32 v55, v3, v9
	s_wait_alu 0xfffd
	v_add_co_ci_u32_e64 v44, null, s25, v44, vcc_lo
	v_add_co_u32 v45, vcc_lo, v45, s24
	s_wait_alu 0xfffd
	v_add_co_ci_u32_e64 v46, null, s25, v46, vcc_lo
	v_add_co_u32 v47, vcc_lo, v47, s24
	s_wait_alu 0xfffd
	v_add_co_ci_u32_e64 v48, null, s25, v48, vcc_lo
	v_add_co_u32 v49, vcc_lo, v49, s24
	s_add_nc_u64 s[28:29], s[28:29], s[22:23]
	v_mul_f32_e32 v2, v9, v2
	s_wait_alu 0xfffd
	v_add_co_ci_u32_e64 v50, null, s25, v50, vcc_lo
	v_add_co_u32 v51, vcc_lo, v51, s24
	s_wait_alu 0xfffe
	v_cmp_lt_i64_e64 s3, s[28:29], s[4:5]
	s_wait_alu 0xfffd
	v_add_co_ci_u32_e64 v52, null, s25, v52, vcc_lo
	v_add_co_u32 v53, vcc_lo, v53, s24
	v_fmac_f32_e32 v10, v2, v60
	s_wait_alu 0xfffd
	v_add_co_ci_u32_e64 v54, null, s25, v54, vcc_lo
	s_and_b32 vcc_lo, exec_lo, s3
	s_add_nc_u64 s[26:27], s[26:27], s[22:23]
	s_wait_alu 0xfffe
	s_cbranch_vccz .LBB88_50
; %bb.41:                               ;   in Loop: Header=BB88_3 Depth=1
	v_mov_b32_e32 v56, v10
	s_branch .LBB88_3
.LBB88_42:                              ;   in Loop: Header=BB88_3 Depth=1
	v_add_co_u32 v2, vcc_lo, v23, v18
	s_wait_alu 0xfffd
	v_add_co_ci_u32_e64 v3, null, v24, v19, vcc_lo
	v_add_co_u32 v4, vcc_lo, v25, v18
	s_wait_alu 0xfffd
	v_add_co_ci_u32_e64 v5, null, v26, v19, vcc_lo
	global_load_u16 v2, v[2:3], off
	global_load_u16 v10, v[4:5], off
	v_dual_mov_b32 v3, v1 :: v_dual_mov_b32 v4, v1
	v_dual_mov_b32 v5, v1 :: v_dual_mov_b32 v6, v1
	;; [unrolled: 1-line block ×6, first 2 shown]
	v_mov_b32_e32 v15, v1
	v_mov_b32_e32 v17, v1
	s_wait_loadcnt 0x1
	v_cvt_f32_f16_e32 v2, v2
	s_wait_loadcnt 0x0
	v_cvt_f32_f16_e32 v10, v10
	s_wait_alu 0xfffe
	s_or_b32 exec_lo, exec_lo, s3
	s_and_saveexec_b32 s3, s2
	s_cbranch_execz .LBB88_32
.LBB88_43:                              ;   in Loop: Header=BB88_3 Depth=1
	v_add_co_u32 v57, vcc_lo, v51, v18
	s_wait_alu 0xfffd
	v_add_co_ci_u32_e64 v58, null, v52, v19, vcc_lo
	v_add_co_u32 v61, vcc_lo, v53, v18
	s_wait_alu 0xfffd
	v_add_co_ci_u32_e64 v62, null, v54, v19, vcc_lo
	global_load_u16 v3, v[57:58], off
	global_load_u16 v11, v[61:62], off
	s_wait_loadcnt 0x1
	v_cvt_f32_f16_e32 v3, v3
	s_wait_loadcnt 0x0
	v_cvt_f32_f16_e32 v11, v11
	s_wait_alu 0xfffe
	s_or_b32 exec_lo, exec_lo, s3
	s_and_saveexec_b32 s3, s2
	s_cbranch_execz .LBB88_33
.LBB88_44:                              ;   in Loop: Header=BB88_3 Depth=1
	v_add_co_u32 v57, vcc_lo, v47, v18
	s_wait_alu 0xfffd
	v_add_co_ci_u32_e64 v58, null, v48, v19, vcc_lo
	v_add_co_u32 v61, vcc_lo, v49, v18
	s_wait_alu 0xfffd
	v_add_co_ci_u32_e64 v62, null, v50, v19, vcc_lo
	global_load_u16 v4, v[57:58], off
	global_load_u16 v12, v[61:62], off
	s_wait_loadcnt 0x1
	v_cvt_f32_f16_e32 v4, v4
	s_wait_loadcnt 0x0
	v_cvt_f32_f16_e32 v12, v12
	s_wait_alu 0xfffe
	s_or_b32 exec_lo, exec_lo, s3
	s_and_saveexec_b32 s3, s2
	s_cbranch_execz .LBB88_34
.LBB88_45:                              ;   in Loop: Header=BB88_3 Depth=1
	v_add_co_u32 v57, vcc_lo, v43, v18
	s_wait_alu 0xfffd
	v_add_co_ci_u32_e64 v58, null, v44, v19, vcc_lo
	v_add_co_u32 v61, vcc_lo, v45, v18
	s_wait_alu 0xfffd
	v_add_co_ci_u32_e64 v62, null, v46, v19, vcc_lo
	global_load_u16 v5, v[57:58], off
	global_load_u16 v13, v[61:62], off
	s_wait_loadcnt 0x1
	v_cvt_f32_f16_e32 v5, v5
	s_wait_loadcnt 0x0
	v_cvt_f32_f16_e32 v13, v13
	s_wait_alu 0xfffe
	s_or_b32 exec_lo, exec_lo, s3
	s_and_saveexec_b32 s3, s2
	s_cbranch_execz .LBB88_35
.LBB88_46:                              ;   in Loop: Header=BB88_3 Depth=1
	v_add_co_u32 v57, vcc_lo, v39, v18
	s_wait_alu 0xfffd
	v_add_co_ci_u32_e64 v58, null, v40, v19, vcc_lo
	v_add_co_u32 v61, vcc_lo, v41, v18
	s_wait_alu 0xfffd
	v_add_co_ci_u32_e64 v62, null, v42, v19, vcc_lo
	global_load_u16 v6, v[57:58], off
	global_load_u16 v14, v[61:62], off
	s_wait_loadcnt 0x1
	v_cvt_f32_f16_e32 v6, v6
	s_wait_loadcnt 0x0
	v_cvt_f32_f16_e32 v14, v14
	s_wait_alu 0xfffe
	s_or_b32 exec_lo, exec_lo, s3
	s_and_saveexec_b32 s3, s2
	s_cbranch_execz .LBB88_36
.LBB88_47:                              ;   in Loop: Header=BB88_3 Depth=1
	v_add_co_u32 v57, vcc_lo, v35, v18
	s_wait_alu 0xfffd
	v_add_co_ci_u32_e64 v58, null, v36, v19, vcc_lo
	v_add_co_u32 v61, vcc_lo, v37, v18
	s_wait_alu 0xfffd
	v_add_co_ci_u32_e64 v62, null, v38, v19, vcc_lo
	global_load_u16 v7, v[57:58], off
	global_load_u16 v15, v[61:62], off
	s_wait_loadcnt 0x1
	v_cvt_f32_f16_e32 v7, v7
	s_wait_loadcnt 0x0
	v_cvt_f32_f16_e32 v15, v15
	s_wait_alu 0xfffe
	s_or_b32 exec_lo, exec_lo, s3
	s_and_saveexec_b32 s3, s2
	s_cbranch_execz .LBB88_37
.LBB88_48:                              ;   in Loop: Header=BB88_3 Depth=1
	v_add_co_u32 v57, vcc_lo, v31, v18
	s_wait_alu 0xfffd
	v_add_co_ci_u32_e64 v58, null, v32, v19, vcc_lo
	v_add_co_u32 v61, vcc_lo, v33, v18
	s_wait_alu 0xfffd
	v_add_co_ci_u32_e64 v62, null, v34, v19, vcc_lo
	global_load_u16 v8, v[57:58], off
	global_load_u16 v16, v[61:62], off
	s_wait_loadcnt 0x1
	v_cvt_f32_f16_e32 v8, v8
	s_wait_loadcnt 0x0
	v_cvt_f32_f16_e32 v16, v16
	s_wait_alu 0xfffe
	s_or_b32 exec_lo, exec_lo, s3
	s_and_saveexec_b32 s3, s2
	s_cbranch_execnz .LBB88_38
	s_branch .LBB88_39
.LBB88_49:
                                        ; implicit-def: $vgpr10
                                        ; implicit-def: $vgpr55
	s_branch .LBB88_51
.LBB88_50:
	s_cbranch_execnz .LBB88_83
.LBB88_51:
	v_dual_mov_b32 v10, 0 :: v_dual_mov_b32 v55, 0
	s_and_not1_b32 vcc_lo, exec_lo, s31
	s_wait_alu 0xfffe
	s_cbranch_vccnz .LBB88_83
; %bb.52:
	v_bfe_u32 v48, v0, 10, 10
	v_dual_mov_b32 v1, 0 :: v_dual_and_b32 v50, 0x3ff, v0
	s_lshl_b64 s[20:21], s[16:17], 1
	s_mov_b32 s3, 0
	s_delay_alu instid0(VALU_DEP_2) | instskip(SKIP_2) | instid1(VALU_DEP_3)
	v_dual_mov_b32 v84, 0 :: v_dual_lshlrev_b32 v49, 3, v48
	v_dual_mov_b32 v85, 0 :: v_dual_lshlrev_b32 v8, 4, v48
	v_dual_mov_b32 v5, v1 :: v_dual_add_nc_u32 v4, s30, v50
	v_add_co_u32 v10, s2, v49, s16
	s_wait_alu 0xf1ff
	v_add_co_ci_u32_e64 v11, null, 0, 0, s2
	s_delay_alu instid0(VALU_DEP_3) | instskip(NEXT) | instid1(VALU_DEP_3)
	v_lshlrev_b64_e32 v[18:19], 1, v[4:5]
	v_mul_lo_u32 v6, s7, v10
	v_mad_co_u64_u32 v[2:3], null, s6, v10, 0
	s_delay_alu instid0(VALU_DEP_4) | instskip(SKIP_2) | instid1(VALU_DEP_1)
	v_mul_lo_u32 v7, s6, v11
	s_load_b32 s2, s[0:1], 0x44
	s_mov_b32 s19, s3
	v_add3_u32 v3, v3, v7, v6
	v_add_co_u32 v6, s18, v8, s20
	s_wait_alu 0xf1ff
	v_add_co_ci_u32_e64 v7, null, 0, s21, s18
	s_delay_alu instid0(VALU_DEP_3) | instskip(NEXT) | instid1(VALU_DEP_3)
	v_lshlrev_b64_e32 v[4:5], 1, v[2:3]
	v_add_co_u32 v8, vcc_lo, v6, 2
	s_wait_alu 0xfffd
	s_delay_alu instid0(VALU_DEP_3) | instskip(NEXT) | instid1(VALU_DEP_3)
	v_add_co_ci_u32_e64 v9, null, 0, v7, vcc_lo
	v_add_co_u32 v51, vcc_lo, s8, v4
	s_wait_alu 0xfffd
	v_add_co_ci_u32_e64 v52, null, s9, v5, vcc_lo
	v_add_co_u32 v53, vcc_lo, s10, v4
	s_wait_alu 0xfffd
	;; [unrolled: 3-line block ×5, first 2 shown]
	v_add_co_ci_u32_e64 v28, null, 0, v7, vcc_lo
	v_add_co_u32 v42, vcc_lo, v6, 10
	v_mad_co_u64_u32 v[22:23], null, s6, v4, s[8:9]
	v_mul_lo_u32 v5, s6, v5
	v_mul_lo_u32 v15, s7, v4
	v_mad_co_u64_u32 v[36:37], null, s6, v4, s[10:11]
	s_wait_alu 0xfffd
	v_add_co_ci_u32_e64 v30, null, 0, v7, vcc_lo
	v_add_co_u32 v44, vcc_lo, v6, 12
	s_wait_alu 0xfffd
	v_add_co_ci_u32_e64 v32, null, 0, v7, vcc_lo
	v_add_co_u32 v6, vcc_lo, v6, 14
	v_mad_co_u64_u32 v[20:21], null, s6, v8, s[8:9]
	v_mul_lo_u32 v9, s6, v9
	v_mul_lo_u32 v12, s7, v8
	v_mad_co_u64_u32 v[34:35], null, s6, v8, s[10:11]
	s_wait_alu 0xfffd
	v_add_co_ci_u32_e64 v7, null, 0, v7, vcc_lo
	v_add_co_u32 v4, vcc_lo, v10, 7
	v_add3_u32 v23, v15, v23, v5
	v_add3_u32 v37, v15, v37, v5
	s_wait_alu 0xfffd
	v_add_co_ci_u32_e64 v5, null, 0, v11, vcc_lo
	v_mul_lo_u32 v61, s6, v7
	v_add_co_u32 v7, vcc_lo, v10, 6
	v_add3_u32 v21, v12, v21, v9
	v_add3_u32 v35, v12, v35, v9
	s_wait_alu 0xfffd
	v_add_co_ci_u32_e64 v12, null, 0, v11, vcc_lo
	v_mul_lo_u32 v8, s7, v4
	v_mul_lo_u32 v9, s6, v5
	v_mad_co_u64_u32 v[4:5], null, s6, v4, 0
	v_mad_co_u64_u32 v[24:25], null, s6, v13, s[8:9]
	v_mul_lo_u32 v17, s7, v13
	v_mul_lo_u32 v59, s6, v32
	v_mad_co_u64_u32 v[32:33], null, s6, v6, s[8:9]
	v_mul_lo_u32 v62, s7, v6
	v_mad_co_u64_u32 v[38:39], null, s6, v13, s[10:11]
	v_mad_co_u64_u32 v[46:47], null, s6, v6, s[10:11]
	v_mul_lo_u32 v13, s7, v7
	v_mul_lo_u32 v12, s6, v12
	v_mad_co_u64_u32 v[6:7], null, s6, v7, 0
	v_add3_u32 v5, v5, v9, v8
	v_add_co_u32 v8, vcc_lo, v10, 5
	v_mad_co_u64_u32 v[26:27], null, s6, v16, s[8:9]
	v_mul_lo_u32 v55, s6, v28
	v_mul_lo_u32 v56, s7, v16
	v_mad_co_u64_u32 v[40:41], null, s6, v16, s[10:11]
	s_wait_alu 0xfffd
	v_add_co_ci_u32_e64 v9, null, 0, v11, vcc_lo
	v_add3_u32 v7, v7, v12, v13
	v_mad_co_u64_u32 v[28:29], null, s6, v42, s[8:9]
	v_mul_lo_u32 v57, s6, v30
	v_mul_lo_u32 v58, s7, v42
	v_mad_co_u64_u32 v[42:43], null, s6, v42, s[10:11]
	v_lshlrev_b64_e32 v[4:5], 1, v[4:5]
	v_mad_co_u64_u32 v[30:31], null, s6, v44, s[8:9]
	v_mul_lo_u32 v60, s7, v44
	v_mad_co_u64_u32 v[44:45], null, s6, v44, s[10:11]
	v_mul_lo_u32 v12, s7, v8
	v_mul_lo_u32 v13, s6, v9
	v_mad_co_u64_u32 v[8:9], null, s6, v8, 0
	v_lshlrev_b64_e32 v[6:7], 1, v[6:7]
	v_add3_u32 v27, v56, v27, v55
	v_add3_u32 v41, v56, v41, v55
	v_add_co_u32 v56, vcc_lo, s8, v4
	v_add3_u32 v29, v58, v29, v57
	v_add3_u32 v43, v58, v43, v57
	s_wait_alu 0xfffd
	v_add_co_ci_u32_e64 v57, null, s9, v5, vcc_lo
	v_add_co_u32 v58, vcc_lo, s10, v4
	v_add3_u32 v31, v60, v31, v59
	v_add3_u32 v45, v60, v45, v59
	s_wait_alu 0xfffd
	v_add_co_ci_u32_e64 v59, null, s11, v5, vcc_lo
	v_add_co_u32 v60, vcc_lo, s8, v6
	v_mul_lo_u32 v14, s6, v14
	v_add3_u32 v9, v9, v13, v12
	v_add3_u32 v33, v62, v33, v61
	;; [unrolled: 1-line block ×3, first 2 shown]
	s_wait_alu 0xfffd
	v_add_co_ci_u32_e64 v61, null, s9, v7, vcc_lo
	v_add_co_u32 v12, vcc_lo, v10, 4
	s_wait_kmcnt 0x0
	s_lshl_b32 s18, s2, 6
	v_add_co_u32 v62, s2, s10, v6
	s_wait_alu 0xfffd
	v_add_co_ci_u32_e64 v6, null, 0, v11, vcc_lo
	v_lshlrev_b64_e32 v[4:5], 1, v[8:9]
	v_add_co_u32 v8, vcc_lo, v10, 3
	s_wait_alu 0xfffd
	v_add_co_ci_u32_e64 v9, null, 0, v11, vcc_lo
	v_add3_u32 v25, v17, v25, v14
	v_add3_u32 v39, v17, v39, v14
	s_wait_alu 0xf1ff
	v_add_co_ci_u32_e64 v63, null, s11, v7, s2
	v_mul_lo_u32 v13, s7, v12
	v_mul_lo_u32 v14, s6, v6
	v_mad_co_u64_u32 v[6:7], null, s6, v12, 0
	v_mul_lo_u32 v12, s7, v8
	v_mul_lo_u32 v15, s6, v9
	v_mad_co_u64_u32 v[8:9], null, s6, v8, 0
	v_add_co_u32 v64, vcc_lo, s8, v4
	s_wait_alu 0xfffd
	v_add_co_ci_u32_e64 v65, null, s9, v5, vcc_lo
	v_add3_u32 v7, v7, v14, v13
	v_add_co_u32 v66, vcc_lo, s10, v4
	s_wait_alu 0xfffd
	v_add_co_ci_u32_e64 v67, null, s11, v5, vcc_lo
	v_add_co_u32 v10, vcc_lo, v10, 2
	v_add3_u32 v9, v9, v15, v12
	s_wait_alu 0xfffd
	v_add_co_ci_u32_e64 v11, null, 0, v11, vcc_lo
	v_lshlrev_b64_e32 v[4:5], 1, v[6:7]
	v_mul_lo_u32 v12, s7, v10
	v_lshlrev_b64_e32 v[6:7], 1, v[8:9]
	s_delay_alu instid0(VALU_DEP_4)
	v_mul_lo_u32 v11, s6, v11
	v_mad_co_u64_u32 v[8:9], null, s6, v10, 0
	v_add_co_u32 v68, vcc_lo, s8, v4
	s_wait_alu 0xfffd
	v_add_co_ci_u32_e64 v69, null, s9, v5, vcc_lo
	v_add_co_u32 v70, vcc_lo, s10, v4
	s_wait_alu 0xfffd
	v_add_co_ci_u32_e64 v71, null, s11, v5, vcc_lo
	;; [unrolled: 3-line block ×3, first 2 shown]
	v_add3_u32 v9, v9, v11, v12
	v_add_co_u32 v74, vcc_lo, s10, v6
	s_wait_alu 0xfffd
	v_add_co_ci_u32_e64 v75, null, s11, v7, vcc_lo
	v_add_co_u32 v2, vcc_lo, v2, s6
	s_wait_alu 0xfffd
	v_add_co_ci_u32_e64 v3, null, s7, v3, vcc_lo
	v_lshlrev_b64_e32 v[4:5], 1, v[8:9]
	s_wait_alu 0xfffe
	s_mul_u64 s[20:21], s[6:7], s[18:19]
	s_delay_alu instid0(VALU_DEP_2) | instskip(NEXT) | instid1(VALU_DEP_2)
	v_lshlrev_b64_e32 v[2:3], 1, v[2:3]
	v_add_co_u32 v76, vcc_lo, s8, v4
	s_wait_alu 0xfffd
	v_add_co_ci_u32_e64 v77, null, s9, v5, vcc_lo
	v_add_co_u32 v78, vcc_lo, s10, v4
	s_wait_alu 0xfffd
	v_add_co_ci_u32_e64 v79, null, s11, v5, vcc_lo
	;; [unrolled: 3-line block ×4, first 2 shown]
	s_add_nc_u64 s[8:9], s[0:1], 64
	s_wait_alu 0xfffe
	s_lshl_b64 s[10:11], s[20:21], 1
	s_add_nc_u64 s[20:21], s[16:17], 63
.LBB88_53:                              ; =>This Inner Loop Header: Depth=1
	s_wait_alu 0xfffe
	v_cmp_ge_i64_e64 s2, s[20:21], s[4:5]
	v_add_co_u32 v86, s22, v49, s20
	s_wait_alu 0xf1ff
	v_add_co_ci_u32_e64 v87, null, 0, s21, s22
                                        ; implicit-def: $vgpr55
                                        ; implicit-def: $vgpr10
	s_and_b32 vcc_lo, exec_lo, s2
	s_mov_b32 s2, -1
	s_wait_alu 0xfffe
	s_cbranch_vccz .LBB88_75
; %bb.54:                               ;   in Loop: Header=BB88_53 Depth=1
	s_load_b32 s2, s[8:9], 0xc
	v_dual_mov_b32 v88, 0 :: v_dual_mov_b32 v55, 0
	s_wait_kmcnt 0x0
	s_and_b32 s2, s2, 0xffff
	s_wait_alu 0xfffe
	v_mad_u32_u24 v2, v48, s2, v50
	s_mov_b32 s2, exec_lo
	s_delay_alu instid0(VALU_DEP_1) | instskip(NEXT) | instid1(VALU_DEP_1)
	v_and_b32_e32 v2, 31, v2
	v_cmpx_gt_u32_e32 8, v2
	s_cbranch_execz .LBB88_58
; %bb.55:                               ;   in Loop: Header=BB88_53 Depth=1
	v_add_co_u32 v2, vcc_lo, v86, v2
	s_wait_alu 0xfffd
	v_add_co_ci_u32_e64 v3, null, 0, v87, vcc_lo
	v_dual_mov_b32 v55, 0 :: v_dual_mov_b32 v88, 0
	s_delay_alu instid0(VALU_DEP_3) | instskip(SKIP_1) | instid1(VALU_DEP_3)
	v_add_co_u32 v2, vcc_lo, 0xffffffc1, v2
	s_wait_alu 0xfffd
	v_add_co_ci_u32_e64 v3, null, -1, v3, vcc_lo
	s_mov_b32 s22, exec_lo
	v_cmpx_gt_i64_e64 s[4:5], v[2:3]
	s_cbranch_execz .LBB88_57
; %bb.56:                               ;   in Loop: Header=BB88_53 Depth=1
	v_lshlrev_b64_e32 v[2:3], 2, v[2:3]
	s_delay_alu instid0(VALU_DEP_1) | instskip(SKIP_1) | instid1(VALU_DEP_2)
	v_add_co_u32 v4, vcc_lo, s12, v2
	s_wait_alu 0xfffd
	v_add_co_ci_u32_e64 v5, null, s13, v3, vcc_lo
	v_add_co_u32 v2, vcc_lo, s14, v2
	s_wait_alu 0xfffd
	v_add_co_ci_u32_e64 v3, null, s15, v3, vcc_lo
	global_load_b32 v55, v[4:5], off
	global_load_b32 v88, v[2:3], off
.LBB88_57:                              ;   in Loop: Header=BB88_53 Depth=1
	s_wait_alu 0xfffe
	s_or_b32 exec_lo, exec_lo, s22
.LBB88_58:                              ;   in Loop: Header=BB88_53 Depth=1
	s_wait_alu 0xfffe
	s_or_b32 exec_lo, exec_lo, s2
	v_add_co_u32 v9, vcc_lo, 0xffffffc1, v86
	s_wait_alu 0xfffd
	v_add_co_ci_u32_e64 v10, null, -1, v87, vcc_lo
	v_mov_b32_e32 v8, v1
	v_dual_mov_b32 v2, v1 :: v_dual_mov_b32 v3, v1
	v_dual_mov_b32 v4, v1 :: v_dual_mov_b32 v5, v1
	;; [unrolled: 1-line block ×3, first 2 shown]
	v_cmp_gt_i64_e32 vcc_lo, s[4:5], v[9:10]
	s_delay_alu instid0(VALU_DEP_3) | instskip(NEXT) | instid1(VALU_DEP_3)
	v_dual_mov_b32 v17, v8 :: v_dual_mov_b32 v14, v5
	v_dual_mov_b32 v15, v6 :: v_dual_mov_b32 v16, v7
	;; [unrolled: 1-line block ×4, first 2 shown]
	v_mov_b32_e32 v9, v8
	v_mov_b32_e32 v8, v7
	;; [unrolled: 1-line block ×8, first 2 shown]
	s_and_saveexec_b32 s2, vcc_lo
	s_cbranch_execz .LBB88_60
; %bb.59:                               ;   in Loop: Header=BB88_53 Depth=1
	v_add_co_u32 v2, vcc_lo, v51, v18
	s_wait_alu 0xfffd
	v_add_co_ci_u32_e64 v3, null, v52, v19, vcc_lo
	v_add_co_u32 v4, vcc_lo, v53, v18
	s_wait_alu 0xfffd
	v_add_co_ci_u32_e64 v5, null, v54, v19, vcc_lo
	global_load_u16 v2, v[2:3], off
	global_load_u16 v10, v[4:5], off
	v_dual_mov_b32 v3, v1 :: v_dual_mov_b32 v4, v1
	v_dual_mov_b32 v5, v1 :: v_dual_mov_b32 v6, v1
	;; [unrolled: 1-line block ×6, first 2 shown]
	v_mov_b32_e32 v15, v1
	v_mov_b32_e32 v17, v1
	s_wait_loadcnt 0x1
	v_cvt_f32_f16_e32 v2, v2
	s_wait_loadcnt 0x0
	v_cvt_f32_f16_e32 v10, v10
.LBB88_60:                              ;   in Loop: Header=BB88_53 Depth=1
	s_wait_alu 0xfffe
	s_or_b32 exec_lo, exec_lo, s2
	v_add_co_u32 v89, vcc_lo, 0xffffffc2, v86
	s_wait_alu 0xfffd
	v_add_co_ci_u32_e64 v90, null, -1, v87, vcc_lo
	s_mov_b32 s2, exec_lo
	v_cmpx_gt_i64_e64 s[4:5], v[89:90]
	s_cbranch_execz .LBB88_62
; %bb.61:                               ;   in Loop: Header=BB88_53 Depth=1
	v_add_co_u32 v89, vcc_lo, v80, v18
	s_wait_alu 0xfffd
	v_add_co_ci_u32_e64 v90, null, v81, v19, vcc_lo
	v_add_co_u32 v91, vcc_lo, v82, v18
	s_wait_alu 0xfffd
	v_add_co_ci_u32_e64 v92, null, v83, v19, vcc_lo
	global_load_u16 v3, v[89:90], off
	global_load_u16 v11, v[91:92], off
	s_wait_loadcnt 0x1
	v_cvt_f32_f16_e32 v3, v3
	s_wait_loadcnt 0x0
	v_cvt_f32_f16_e32 v11, v11
.LBB88_62:                              ;   in Loop: Header=BB88_53 Depth=1
	s_wait_alu 0xfffe
	s_or_b32 exec_lo, exec_lo, s2
	v_add_co_u32 v89, vcc_lo, 0xffffffc3, v86
	s_wait_alu 0xfffd
	v_add_co_ci_u32_e64 v90, null, -1, v87, vcc_lo
	s_mov_b32 s2, exec_lo
	v_cmpx_gt_i64_e64 s[4:5], v[89:90]
	s_cbranch_execz .LBB88_64
; %bb.63:                               ;   in Loop: Header=BB88_53 Depth=1
	v_add_co_u32 v89, vcc_lo, v76, v18
	s_wait_alu 0xfffd
	v_add_co_ci_u32_e64 v90, null, v77, v19, vcc_lo
	v_add_co_u32 v91, vcc_lo, v78, v18
	s_wait_alu 0xfffd
	v_add_co_ci_u32_e64 v92, null, v79, v19, vcc_lo
	global_load_u16 v4, v[89:90], off
	global_load_u16 v12, v[91:92], off
	s_wait_loadcnt 0x1
	v_cvt_f32_f16_e32 v4, v4
	s_wait_loadcnt 0x0
	v_cvt_f32_f16_e32 v12, v12
.LBB88_64:                              ;   in Loop: Header=BB88_53 Depth=1
	;; [unrolled: 22-line block ×7, first 2 shown]
	s_wait_alu 0xfffe
	s_or_b32 exec_lo, exec_lo, s2
	s_wait_loadcnt 0x1
	ds_bpermute_b32 v90, v1, v55
	s_wait_loadcnt 0x0
	ds_bpermute_b32 v89, v1, v88
	s_mov_b32 s2, 0
	s_wait_dscnt 0x1
	v_sub_f32_e32 v10, v10, v90
	ds_bpermute_b32 v90, v1, v55 offset:4
	s_wait_dscnt 0x0
	v_sub_f32_e32 v11, v11, v90
	s_delay_alu instid0(VALU_DEP_1) | instskip(NEXT) | instid1(VALU_DEP_1)
	v_dual_mul_f32 v11, v3, v11 :: v_dual_mul_f32 v10, v2, v10
	v_fma_f32 v10, v10, v89, v84
	ds_bpermute_b32 v89, v1, v88 offset:4
	s_wait_dscnt 0x0
	v_fmac_f32_e32 v10, v11, v89
	ds_bpermute_b32 v11, v1, v55 offset:8
	s_wait_dscnt 0x0
	v_dual_sub_f32 v11, v12, v11 :: v_dual_add_f32 v2, v85, v2
	s_delay_alu instid0(VALU_DEP_1) | instskip(SKIP_4) | instid1(VALU_DEP_1)
	v_dual_mul_f32 v11, v4, v11 :: v_dual_add_f32 v2, v3, v2
	ds_bpermute_b32 v3, v1, v88 offset:8
	v_add_f32_e32 v2, v4, v2
	ds_bpermute_b32 v4, v1, v55 offset:12
	v_add_f32_e32 v2, v5, v2
	v_add_f32_e32 v2, v6, v2
	s_delay_alu instid0(VALU_DEP_1)
	v_add_f32_e32 v2, v7, v2
	s_wait_dscnt 0x1
	v_fmac_f32_e32 v10, v11, v3
	ds_bpermute_b32 v3, v1, v88 offset:12
	v_add_f32_e32 v2, v8, v2
	s_wait_dscnt 0x1
	v_sub_f32_e32 v4, v13, v4
	s_delay_alu instid0(VALU_DEP_1) | instskip(SKIP_1) | instid1(VALU_DEP_1)
	v_mul_f32_e32 v4, v5, v4
	s_wait_dscnt 0x0
	v_fmac_f32_e32 v10, v4, v3
	ds_bpermute_b32 v4, v1, v55 offset:16
	ds_bpermute_b32 v3, v1, v88 offset:16
	s_wait_dscnt 0x1
	v_sub_f32_e32 v4, v14, v4
	s_delay_alu instid0(VALU_DEP_1) | instskip(SKIP_1) | instid1(VALU_DEP_1)
	v_mul_f32_e32 v4, v6, v4
	s_wait_dscnt 0x0
	v_fmac_f32_e32 v10, v4, v3
	ds_bpermute_b32 v4, v1, v55 offset:20
	ds_bpermute_b32 v3, v1, v88 offset:20
	;; [unrolled: 8-line block ×4, first 2 shown]
	v_add_f32_e32 v55, v9, v2
	s_wait_dscnt 0x1
	v_sub_f32_e32 v4, v17, v4
	s_delay_alu instid0(VALU_DEP_1) | instskip(SKIP_1) | instid1(VALU_DEP_1)
	v_mul_f32_e32 v4, v9, v4
	s_wait_dscnt 0x0
	v_fmac_f32_e32 v10, v4, v3
.LBB88_75:                              ;   in Loop: Header=BB88_53 Depth=1
	s_wait_alu 0xfffe
	s_and_b32 vcc_lo, exec_lo, s2
	s_wait_alu 0xfffe
	s_cbranch_vccz .LBB88_81
; %bb.76:                               ;   in Loop: Header=BB88_53 Depth=1
	s_load_b32 s2, s[8:9], 0x0
	v_dual_mov_b32 v4, 0 :: v_dual_mov_b32 v5, 0
	s_wait_kmcnt 0x0
	s_cmp_lt_u32 ttmp9, s2
	s_cselect_b32 s2, 12, 18
	s_wait_alu 0xfffe
	s_add_nc_u64 s[22:23], s[8:9], s[2:3]
	s_load_u16 s2, s[22:23], 0x0
	s_wait_kmcnt 0x0
	v_mad_u32_u24 v2, v48, s2, v50
	s_mov_b32 s2, exec_lo
	s_delay_alu instid0(VALU_DEP_1) | instskip(NEXT) | instid1(VALU_DEP_1)
	v_and_b32_e32 v2, 31, v2
	v_cmpx_gt_u32_e32 8, v2
	s_cbranch_execz .LBB88_80
; %bb.77:                               ;   in Loop: Header=BB88_53 Depth=1
	v_add_co_u32 v2, vcc_lo, v86, v2
	s_wait_alu 0xfffd
	v_add_co_ci_u32_e64 v3, null, 0, v87, vcc_lo
	v_dual_mov_b32 v4, 0 :: v_dual_mov_b32 v5, 0
	s_delay_alu instid0(VALU_DEP_3) | instskip(SKIP_1) | instid1(VALU_DEP_3)
	v_add_co_u32 v2, vcc_lo, 0xffffffc1, v2
	s_wait_alu 0xfffd
	v_add_co_ci_u32_e64 v3, null, -1, v3, vcc_lo
	s_mov_b32 s22, exec_lo
	v_cmpx_gt_i64_e64 s[4:5], v[2:3]
	s_cbranch_execz .LBB88_79
; %bb.78:                               ;   in Loop: Header=BB88_53 Depth=1
	v_lshlrev_b64_e32 v[2:3], 2, v[2:3]
	s_delay_alu instid0(VALU_DEP_1) | instskip(SKIP_1) | instid1(VALU_DEP_2)
	v_add_co_u32 v4, vcc_lo, s12, v2
	s_wait_alu 0xfffd
	v_add_co_ci_u32_e64 v5, null, s13, v3, vcc_lo
	v_add_co_u32 v2, vcc_lo, s14, v2
	s_wait_alu 0xfffd
	v_add_co_ci_u32_e64 v3, null, s15, v3, vcc_lo
	global_load_b32 v4, v[4:5], off
	global_load_b32 v5, v[2:3], off
.LBB88_79:                              ;   in Loop: Header=BB88_53 Depth=1
	s_wait_alu 0xfffe
	s_or_b32 exec_lo, exec_lo, s22
.LBB88_80:                              ;   in Loop: Header=BB88_53 Depth=1
	s_wait_alu 0xfffe
	s_or_b32 exec_lo, exec_lo, s2
	v_add_co_u32 v2, vcc_lo, v51, v18
	s_wait_alu 0xfffd
	v_add_co_ci_u32_e64 v3, null, v52, v19, vcc_lo
	s_wait_loadcnt 0x1
	ds_bpermute_b32 v88, v1, v4
	global_load_u16 v2, v[2:3], off
	s_wait_loadcnt 0x0
	v_cvt_f32_f16_e32 v6, v2
	v_add_co_u32 v2, vcc_lo, v53, v18
	s_wait_alu 0xfffd
	v_add_co_ci_u32_e64 v3, null, v54, v19, vcc_lo
	global_load_u16 v2, v[2:3], off
	s_wait_loadcnt 0x0
	v_cvt_f32_f16_e32 v7, v2
	v_add_co_u32 v2, vcc_lo, v20, v18
	s_wait_alu 0xfffd
	v_add_co_ci_u32_e64 v3, null, v21, v19, vcc_lo
	;; [unrolled: 6-line block ×15, first 2 shown]
	s_wait_dscnt 0x0
	v_sub_f32_e32 v7, v7, v88
	global_load_u16 v2, v[2:3], off
	ds_bpermute_b32 v3, v1, v5
	s_wait_loadcnt 0x0
	v_cvt_f32_f16_e32 v2, v2
	v_mul_f32_e32 v7, v7, v6
	s_wait_dscnt 0x0
	s_delay_alu instid0(VALU_DEP_1) | instskip(SKIP_3) | instid1(VALU_DEP_1)
	v_dual_fmac_f32 v84, v7, v3 :: v_dual_add_f32 v3, v85, v6
	ds_bpermute_b32 v7, v1, v4 offset:4
	ds_bpermute_b32 v6, v1, v5 offset:4
	v_add_f32_e32 v3, v3, v8
	v_add_f32_e32 v3, v3, v10
	s_delay_alu instid0(VALU_DEP_1) | instskip(NEXT) | instid1(VALU_DEP_1)
	v_add_f32_e32 v3, v3, v12
	v_add_f32_e32 v3, v3, v14
	s_wait_dscnt 0x1
	v_sub_f32_e32 v7, v9, v7
	s_delay_alu instid0(VALU_DEP_2) | instskip(NEXT) | instid1(VALU_DEP_2)
	v_add_f32_e32 v3, v3, v16
	v_mul_f32_e32 v7, v7, v8
	s_delay_alu instid0(VALU_DEP_2) | instskip(SKIP_1) | instid1(VALU_DEP_2)
	v_add_f32_e32 v3, v3, v55
	s_wait_dscnt 0x0
	v_fmac_f32_e32 v84, v7, v6
	ds_bpermute_b32 v7, v1, v4 offset:8
	ds_bpermute_b32 v6, v1, v5 offset:8
	s_wait_dscnt 0x1
	v_sub_f32_e32 v7, v11, v7
	s_delay_alu instid0(VALU_DEP_1) | instskip(SKIP_1) | instid1(VALU_DEP_1)
	v_mul_f32_e32 v7, v7, v10
	s_wait_dscnt 0x0
	v_fmac_f32_e32 v84, v7, v6
	ds_bpermute_b32 v7, v1, v4 offset:12
	ds_bpermute_b32 v6, v1, v5 offset:12
	s_wait_dscnt 0x1
	v_sub_f32_e32 v7, v13, v7
	s_delay_alu instid0(VALU_DEP_1) | instskip(SKIP_1) | instid1(VALU_DEP_1)
	v_mul_f32_e32 v7, v7, v12
	;; [unrolled: 8-line block ×4, first 2 shown]
	s_wait_dscnt 0x0
	v_fmac_f32_e32 v84, v7, v6
	ds_bpermute_b32 v7, v1, v4 offset:24
	ds_bpermute_b32 v4, v1, v4 offset:28
	;; [unrolled: 1-line block ×4, first 2 shown]
	s_wait_dscnt 0x3
	v_sub_f32_e32 v7, v86, v7
	s_wait_dscnt 0x2
	s_delay_alu instid0(VALU_DEP_1) | instskip(NEXT) | instid1(VALU_DEP_1)
	v_dual_sub_f32 v2, v2, v4 :: v_dual_mul_f32 v7, v7, v55
	v_mul_f32_e32 v2, v2, v87
	v_add_f32_e32 v55, v3, v87
	s_wait_dscnt 0x1
	s_delay_alu instid0(VALU_DEP_3) | instskip(SKIP_1) | instid1(VALU_DEP_1)
	v_fmac_f32_e32 v84, v7, v6
	s_wait_dscnt 0x0
	v_fmac_f32_e32 v84, v2, v5
	s_delay_alu instid0(VALU_DEP_1)
	v_mov_b32_e32 v10, v84
.LBB88_81:                              ;   in Loop: Header=BB88_53 Depth=1
	v_add_co_u32 v51, vcc_lo, v51, s10
	s_wait_alu 0xfffd
	v_add_co_ci_u32_e64 v52, null, s11, v52, vcc_lo
	v_add_co_u32 v53, vcc_lo, v53, s10
	s_wait_alu 0xfffd
	v_add_co_ci_u32_e64 v54, null, s11, v54, vcc_lo
	;; [unrolled: 3-line block ×27, first 2 shown]
	v_add_co_u32 v78, vcc_lo, v78, s10
	s_add_nc_u64 s[16:17], s[16:17], s[18:19]
	s_wait_alu 0xfffd
	v_add_co_ci_u32_e64 v79, null, s11, v79, vcc_lo
	v_add_co_u32 v80, vcc_lo, v80, s10
	s_wait_alu 0xfffe
	v_cmp_ge_i64_e64 s2, s[16:17], s[4:5]
	s_wait_alu 0xfffd
	v_add_co_ci_u32_e64 v81, null, s11, v81, vcc_lo
	v_add_co_u32 v82, vcc_lo, v82, s10
	s_wait_alu 0xfffd
	v_add_co_ci_u32_e64 v83, null, s11, v83, vcc_lo
	s_and_b32 vcc_lo, exec_lo, s2
	s_add_nc_u64 s[20:21], s[20:21], s[18:19]
	s_wait_alu 0xfffe
	s_cbranch_vccnz .LBB88_83
; %bb.82:                               ;   in Loop: Header=BB88_53 Depth=1
	v_dual_mov_b32 v85, v55 :: v_dual_mov_b32 v84, v10
	s_branch .LBB88_53
.LBB88_83:
	v_and_b32_e32 v7, 0x3ff, v0
	v_bfe_u32 v1, v0, 10, 10
	v_bfe_u32 v0, v0, 5, 5
	s_mov_b32 s2, exec_lo
	s_delay_alu instid0(VALU_DEP_2) | instskip(NEXT) | instid1(VALU_DEP_2)
	v_mad_u32_u24 v3, v1, 33, v7
	v_add_nc_u32_e32 v2, v0, v1
	s_delay_alu instid0(VALU_DEP_2)
	v_lshl_add_u32 v0, v3, 2, 0
	ds_store_b32 v0, v10
	ds_store_b32 v0, v55 offset:1056
	s_wait_dscnt 0x0
	s_barrier_signal -1
	s_barrier_wait -1
	global_inv scope:SCOPE_SE
	v_cmpx_gt_u32_e32 32, v2
	s_cbranch_execz .LBB88_115
; %bb.84:
	s_load_b128 s[8:11], s[0:1], 0x30
	v_and_b32_e32 v0, 31, v7
                                        ; implicit-def: $vgpr1
	s_delay_alu instid0(VALU_DEP_1)
	v_cmp_gt_u32_e64 s0, 8, v0
	v_mul_u32_u24_e32 v3, 33, v0
                                        ; implicit-def: $vgpr0
	s_and_saveexec_b32 s1, s0
	s_cbranch_execz .LBB88_86
; %bb.85:
	s_delay_alu instid0(VALU_DEP_1) | instskip(NEXT) | instid1(VALU_DEP_1)
	v_add_nc_u32_e32 v0, v2, v3
	v_lshl_add_u32 v0, v0, 2, 0
	ds_load_b32 v1, v0
	ds_load_b32 v0, v0 offset:1056
.LBB88_86:
	s_or_b32 exec_lo, exec_lo, s1
	v_mbcnt_lo_u32_b32 v6, -1, 0
	s_mov_b32 s2, ttmp9
	s_mov_b32 s3, 0
	v_cmp_eq_u32_e64 s1, 0, v7
	s_wait_alu 0xfffe
	s_lshl_b64 s[2:3], s[2:3], 5
	v_xor_b32_e32 v4, 4, v6
	v_xor_b32_e32 v5, 2, v6
	;; [unrolled: 1-line block ×3, first 2 shown]
	s_wait_kmcnt 0x0
	s_cmp_lg_u64 s[8:9], 0
	s_cselect_b32 s5, -1, 0
	v_cmp_gt_i32_e32 vcc_lo, 32, v4
	s_cmp_lg_u64 s[10:11], 0
	s_cselect_b32 s4, -1, 0
	s_wait_alu 0xfffd
	v_cndmask_b32_e32 v4, v6, v4, vcc_lo
	v_cmp_gt_i32_e32 vcc_lo, 32, v5
	s_wait_alu 0xfffd
	v_cndmask_b32_e32 v5, v6, v5, vcc_lo
	v_cmp_gt_i32_e32 vcc_lo, 32, v10
	s_wait_alu 0xfffd
	v_cndmask_b32_e32 v6, v6, v10, vcc_lo
	s_delay_alu instid0(VALU_DEP_1)
	v_lshlrev_b32_e32 v6, 2, v6
	v_lshlrev_b32_e32 v5, 2, v5
	;; [unrolled: 1-line block ×3, first 2 shown]
	s_wait_dscnt 0x0
	ds_bpermute_b32 v9, v4, v0
	s_wait_dscnt 0x0
	v_add_f32_e32 v0, v0, v9
	ds_bpermute_b32 v9, v5, v0
	s_wait_dscnt 0x0
	v_add_f32_e32 v9, v0, v9
	ds_bpermute_b32 v8, v4, v1
	s_wait_alu 0xfffe
	v_or_b32_e32 v0, s2, v2
	ds_bpermute_b32 v11, v6, v9
	s_wait_dscnt 0x1
	v_add_f32_e32 v1, v1, v8
	ds_bpermute_b32 v8, v5, v1
	s_wait_dscnt 0x0
	v_dual_add_f32 v8, v1, v8 :: v_dual_mov_b32 v1, s3
	ds_bpermute_b32 v10, v6, v8
	v_cmp_gt_i64_e32 vcc_lo, s[6:7], v[0:1]
	s_and_b32 s13, s1, vcc_lo
	s_wait_dscnt 0x0
	v_dual_add_f32 v7, v8, v10 :: v_dual_add_f32 v8, v9, v11
	s_wait_alu 0xfffe
	s_and_saveexec_b32 s12, s13
	s_cbranch_execz .LBB88_91
; %bb.87:
	v_lshlrev_b64_e32 v[0:1], 1, v[0:1]
	s_and_not1_b32 vcc_lo, exec_lo, s5
	s_wait_alu 0xfffe
	s_cbranch_vccnz .LBB88_89
; %bb.88:
	s_delay_alu instid0(VALU_DEP_1)
	v_add_co_u32 v9, vcc_lo, s8, v0
	s_wait_alu 0xfffd
	v_add_co_ci_u32_e64 v10, null, s9, v1, vcc_lo
	v_cvt_f16_f32_e32 v11, v7
	global_store_b16 v[9:10], v11, off
.LBB88_89:
	s_and_not1_b32 vcc_lo, exec_lo, s4
	s_wait_alu 0xfffe
	s_cbranch_vccnz .LBB88_91
; %bb.90:
	v_add_co_u32 v0, vcc_lo, s10, v0
	s_wait_alu 0xfffd
	v_add_co_ci_u32_e64 v1, null, s11, v1, vcc_lo
	v_cvt_f16_f32_e32 v9, v8
	global_store_b16 v[0:1], v9, off
.LBB88_91:
	s_wait_alu 0xfffe
	s_or_b32 exec_lo, exec_lo, s12
	v_cmp_gt_u32_e32 vcc_lo, 24, v2
	s_and_b32 exec_lo, exec_lo, vcc_lo
	s_cbranch_execz .LBB88_115
; %bb.92:
	s_and_saveexec_b32 s12, s0
	s_cbranch_execz .LBB88_94
; %bb.93:
	v_add_nc_u32_e32 v0, v2, v3
	s_delay_alu instid0(VALU_DEP_1)
	v_lshl_add_u32 v0, v0, 2, 0
	ds_load_b32 v7, v0 offset:32
	ds_load_b32 v8, v0 offset:1088
.LBB88_94:
	s_wait_alu 0xfffe
	s_or_b32 exec_lo, exec_lo, s12
	s_wait_dscnt 0x1
	ds_bpermute_b32 v0, v4, v7
	s_wait_dscnt 0x1
	ds_bpermute_b32 v1, v4, v8
	s_wait_dscnt 0x0
	v_dual_add_f32 v0, v7, v0 :: v_dual_add_f32 v1, v8, v1
	ds_bpermute_b32 v7, v5, v0
	ds_bpermute_b32 v8, v5, v1
	s_wait_dscnt 0x0
	v_dual_add_f32 v7, v0, v7 :: v_dual_add_f32 v8, v1, v8
	v_add_nc_u32_e32 v0, 8, v2
	ds_bpermute_b32 v9, v6, v7
	ds_bpermute_b32 v10, v6, v8
	v_add_co_u32 v0, s12, s2, v0
	s_wait_alu 0xf1ff
	v_add_co_ci_u32_e64 v1, null, s3, 0, s12
	s_delay_alu instid0(VALU_DEP_1)
	v_cmp_gt_i64_e32 vcc_lo, s[6:7], v[0:1]
	s_and_b32 s13, s1, vcc_lo
	s_wait_dscnt 0x0
	v_dual_add_f32 v0, v7, v9 :: v_dual_add_f32 v1, v8, v10
	s_wait_alu 0xfffe
	s_and_saveexec_b32 s12, s13
	s_cbranch_execz .LBB88_99
; %bb.95:
	s_and_not1_b32 vcc_lo, exec_lo, s5
	s_wait_alu 0xfffe
	s_cbranch_vccnz .LBB88_97
; %bb.96:
	v_add_co_u32 v7, s13, s2, v2
	s_wait_alu 0xf1ff
	v_add_co_ci_u32_e64 v8, null, s3, 0, s13
	v_cvt_f16_f32_e32 v9, v0
	s_delay_alu instid0(VALU_DEP_2) | instskip(NEXT) | instid1(VALU_DEP_1)
	v_lshlrev_b64_e32 v[7:8], 1, v[7:8]
	v_add_co_u32 v7, vcc_lo, s8, v7
	s_wait_alu 0xfffd
	s_delay_alu instid0(VALU_DEP_2)
	v_add_co_ci_u32_e64 v8, null, s9, v8, vcc_lo
	global_store_b16 v[7:8], v9, off offset:16
.LBB88_97:
	s_and_not1_b32 vcc_lo, exec_lo, s4
	s_wait_alu 0xfffe
	s_cbranch_vccnz .LBB88_99
; %bb.98:
	v_add_co_u32 v7, s13, s2, v2
	s_wait_alu 0xf1ff
	v_add_co_ci_u32_e64 v8, null, s3, 0, s13
	v_cvt_f16_f32_e32 v9, v1
	s_delay_alu instid0(VALU_DEP_2) | instskip(NEXT) | instid1(VALU_DEP_1)
	v_lshlrev_b64_e32 v[7:8], 1, v[7:8]
	v_add_co_u32 v7, vcc_lo, s10, v7
	s_wait_alu 0xfffd
	s_delay_alu instid0(VALU_DEP_2)
	v_add_co_ci_u32_e64 v8, null, s11, v8, vcc_lo
	global_store_b16 v[7:8], v9, off offset:16
.LBB88_99:
	s_wait_alu 0xfffe
	s_or_b32 exec_lo, exec_lo, s12
	v_cmp_gt_u32_e32 vcc_lo, 16, v2
	s_and_b32 exec_lo, exec_lo, vcc_lo
	s_cbranch_execz .LBB88_115
; %bb.100:
	s_and_saveexec_b32 s12, s0
	s_cbranch_execz .LBB88_102
; %bb.101:
	v_add_nc_u32_e32 v0, v2, v3
	s_delay_alu instid0(VALU_DEP_1)
	v_lshl_add_u32 v1, v0, 2, 0
	ds_load_b32 v0, v1 offset:64
	ds_load_b32 v1, v1 offset:1120
.LBB88_102:
	s_wait_alu 0xfffe
	s_or_b32 exec_lo, exec_lo, s12
	s_wait_dscnt 0x1
	ds_bpermute_b32 v7, v4, v0
	s_wait_dscnt 0x1
	ds_bpermute_b32 v8, v4, v1
	s_wait_dscnt 0x0
	v_dual_add_f32 v0, v0, v7 :: v_dual_add_f32 v1, v1, v8
	ds_bpermute_b32 v7, v5, v0
	ds_bpermute_b32 v8, v5, v1
	s_wait_dscnt 0x0
	v_dual_add_f32 v7, v0, v7 :: v_dual_add_f32 v8, v1, v8
	v_dual_mov_b32 v1, s3 :: v_dual_add_nc_u32 v0, 16, v2
	ds_bpermute_b32 v9, v6, v7
	ds_bpermute_b32 v10, v6, v8
	v_or_b32_e32 v0, s2, v0
	s_delay_alu instid0(VALU_DEP_1)
	v_cmp_gt_i64_e32 vcc_lo, s[6:7], v[0:1]
	s_and_b32 s13, s1, vcc_lo
	s_wait_dscnt 0x0
	v_dual_add_f32 v0, v7, v9 :: v_dual_add_f32 v1, v8, v10
	s_wait_alu 0xfffe
	s_and_saveexec_b32 s12, s13
	s_cbranch_execz .LBB88_107
; %bb.103:
	s_and_not1_b32 vcc_lo, exec_lo, s5
	s_wait_alu 0xfffe
	s_cbranch_vccnz .LBB88_105
; %bb.104:
	v_add_co_u32 v7, s13, s2, v2
	s_wait_alu 0xf1ff
	v_add_co_ci_u32_e64 v8, null, s3, 0, s13
	v_cvt_f16_f32_e32 v9, v0
	s_delay_alu instid0(VALU_DEP_2) | instskip(NEXT) | instid1(VALU_DEP_1)
	v_lshlrev_b64_e32 v[7:8], 1, v[7:8]
	v_add_co_u32 v7, vcc_lo, s8, v7
	s_wait_alu 0xfffd
	s_delay_alu instid0(VALU_DEP_2)
	v_add_co_ci_u32_e64 v8, null, s9, v8, vcc_lo
	global_store_b16 v[7:8], v9, off offset:32
.LBB88_105:
	s_and_not1_b32 vcc_lo, exec_lo, s4
	s_wait_alu 0xfffe
	s_cbranch_vccnz .LBB88_107
; %bb.106:
	v_add_co_u32 v7, s13, s2, v2
	s_wait_alu 0xf1ff
	v_add_co_ci_u32_e64 v8, null, s3, 0, s13
	v_cvt_f16_f32_e32 v9, v1
	s_delay_alu instid0(VALU_DEP_2) | instskip(NEXT) | instid1(VALU_DEP_1)
	v_lshlrev_b64_e32 v[7:8], 1, v[7:8]
	v_add_co_u32 v7, vcc_lo, s10, v7
	s_wait_alu 0xfffd
	s_delay_alu instid0(VALU_DEP_2)
	v_add_co_ci_u32_e64 v8, null, s11, v8, vcc_lo
	global_store_b16 v[7:8], v9, off offset:32
.LBB88_107:
	s_wait_alu 0xfffe
	s_or_b32 exec_lo, exec_lo, s12
	v_cmp_gt_u32_e32 vcc_lo, 8, v2
	s_and_b32 exec_lo, exec_lo, vcc_lo
	s_cbranch_execz .LBB88_115
; %bb.108:
	s_and_saveexec_b32 s12, s0
	s_cbranch_execz .LBB88_110
; %bb.109:
	v_add_nc_u32_e32 v0, v2, v3
	s_delay_alu instid0(VALU_DEP_1)
	v_lshl_add_u32 v1, v0, 2, 0
	ds_load_b32 v0, v1 offset:96
	ds_load_b32 v1, v1 offset:1152
.LBB88_110:
	s_wait_alu 0xfffe
	s_or_b32 exec_lo, exec_lo, s12
	s_wait_dscnt 0x1
	ds_bpermute_b32 v3, v4, v0
	s_wait_dscnt 0x1
	ds_bpermute_b32 v4, v4, v1
	s_wait_dscnt 0x0
	v_dual_add_f32 v0, v0, v3 :: v_dual_add_f32 v1, v1, v4
	ds_bpermute_b32 v3, v5, v0
	ds_bpermute_b32 v4, v5, v1
	v_add_nc_u32_e32 v5, 24, v2
	s_wait_dscnt 0x0
	v_dual_add_f32 v3, v0, v3 :: v_dual_add_f32 v0, v1, v4
	ds_bpermute_b32 v4, v6, v3
	ds_bpermute_b32 v1, v6, v0
	v_mov_b32_e32 v6, s3
	v_or_b32_e32 v5, s2, v5
	s_delay_alu instid0(VALU_DEP_1) | instskip(SKIP_1) | instid1(SALU_CYCLE_1)
	v_cmp_gt_i64_e32 vcc_lo, s[6:7], v[5:6]
	s_and_b32 s0, s1, vcc_lo
	s_and_b32 exec_lo, exec_lo, s0
	s_cbranch_execz .LBB88_115
; %bb.111:
	s_and_not1_b32 vcc_lo, exec_lo, s5
	s_wait_alu 0xfffe
	s_cbranch_vccnz .LBB88_113
; %bb.112:
	v_add_co_u32 v5, s0, s2, v2
	s_delay_alu instid0(VALU_DEP_1) | instskip(SKIP_2) | instid1(VALU_DEP_2)
	v_add_co_ci_u32_e64 v6, null, s3, 0, s0
	s_wait_dscnt 0x1
	v_add_f32_e32 v7, v3, v4
	v_lshlrev_b64_e32 v[5:6], 1, v[5:6]
	s_delay_alu instid0(VALU_DEP_1) | instskip(SKIP_1) | instid1(VALU_DEP_2)
	v_add_co_u32 v3, vcc_lo, s8, v5
	s_wait_alu 0xfffd
	v_add_co_ci_u32_e64 v4, null, s9, v6, vcc_lo
	v_cvt_f16_f32_e32 v5, v7
	global_store_b16 v[3:4], v5, off offset:48
.LBB88_113:
	s_and_not1_b32 vcc_lo, exec_lo, s4
	s_wait_alu 0xfffe
	s_cbranch_vccnz .LBB88_115
; %bb.114:
	v_add_co_u32 v2, s0, s2, v2
	s_wait_alu 0xf1ff
	v_add_co_ci_u32_e64 v3, null, s3, 0, s0
	s_wait_dscnt 0x0
	v_add_f32_e32 v4, v0, v1
	s_delay_alu instid0(VALU_DEP_2) | instskip(NEXT) | instid1(VALU_DEP_1)
	v_lshlrev_b64_e32 v[2:3], 1, v[2:3]
	v_add_co_u32 v0, vcc_lo, s10, v2
	s_wait_alu 0xfffd
	s_delay_alu instid0(VALU_DEP_2)
	v_add_co_ci_u32_e64 v1, null, s11, v3, vcc_lo
	v_cvt_f16_f32_e32 v2, v4
	global_store_b16 v[0:1], v2, off offset:48
.LBB88_115:
	s_endpgm
	.section	.rodata,"a",@progbits
	.p2align	6, 0x0
	.amdhsa_kernel _ZN2at6native12_GLOBAL__N_135GammaBetaBackwardCUDAKernelTemplateIN3c104HalfEfLj32ELj8ELj64ELb0ELb0ELb0EEEvllPKT_S7_PKT0_SA_PS5_SB_
		.amdhsa_group_segment_fixed_size 0
		.amdhsa_private_segment_fixed_size 0
		.amdhsa_kernarg_size 320
		.amdhsa_user_sgpr_count 2
		.amdhsa_user_sgpr_dispatch_ptr 0
		.amdhsa_user_sgpr_queue_ptr 0
		.amdhsa_user_sgpr_kernarg_segment_ptr 1
		.amdhsa_user_sgpr_dispatch_id 0
		.amdhsa_user_sgpr_private_segment_size 0
		.amdhsa_wavefront_size32 1
		.amdhsa_uses_dynamic_stack 0
		.amdhsa_enable_private_segment 0
		.amdhsa_system_sgpr_workgroup_id_x 1
		.amdhsa_system_sgpr_workgroup_id_y 1
		.amdhsa_system_sgpr_workgroup_id_z 0
		.amdhsa_system_sgpr_workgroup_info 0
		.amdhsa_system_vgpr_workitem_id 1
		.amdhsa_next_free_vgpr 93
		.amdhsa_next_free_sgpr 36
		.amdhsa_reserve_vcc 1
		.amdhsa_float_round_mode_32 0
		.amdhsa_float_round_mode_16_64 0
		.amdhsa_float_denorm_mode_32 3
		.amdhsa_float_denorm_mode_16_64 3
		.amdhsa_fp16_overflow 0
		.amdhsa_workgroup_processor_mode 1
		.amdhsa_memory_ordered 1
		.amdhsa_forward_progress 1
		.amdhsa_inst_pref_size 90
		.amdhsa_round_robin_scheduling 0
		.amdhsa_exception_fp_ieee_invalid_op 0
		.amdhsa_exception_fp_denorm_src 0
		.amdhsa_exception_fp_ieee_div_zero 0
		.amdhsa_exception_fp_ieee_overflow 0
		.amdhsa_exception_fp_ieee_underflow 0
		.amdhsa_exception_fp_ieee_inexact 0
		.amdhsa_exception_int_div_zero 0
	.end_amdhsa_kernel
	.section	.text._ZN2at6native12_GLOBAL__N_135GammaBetaBackwardCUDAKernelTemplateIN3c104HalfEfLj32ELj8ELj64ELb0ELb0ELb0EEEvllPKT_S7_PKT0_SA_PS5_SB_,"axG",@progbits,_ZN2at6native12_GLOBAL__N_135GammaBetaBackwardCUDAKernelTemplateIN3c104HalfEfLj32ELj8ELj64ELb0ELb0ELb0EEEvllPKT_S7_PKT0_SA_PS5_SB_,comdat
.Lfunc_end88:
	.size	_ZN2at6native12_GLOBAL__N_135GammaBetaBackwardCUDAKernelTemplateIN3c104HalfEfLj32ELj8ELj64ELb0ELb0ELb0EEEvllPKT_S7_PKT0_SA_PS5_SB_, .Lfunc_end88-_ZN2at6native12_GLOBAL__N_135GammaBetaBackwardCUDAKernelTemplateIN3c104HalfEfLj32ELj8ELj64ELb0ELb0ELb0EEEvllPKT_S7_PKT0_SA_PS5_SB_
                                        ; -- End function
	.set _ZN2at6native12_GLOBAL__N_135GammaBetaBackwardCUDAKernelTemplateIN3c104HalfEfLj32ELj8ELj64ELb0ELb0ELb0EEEvllPKT_S7_PKT0_SA_PS5_SB_.num_vgpr, 93
	.set _ZN2at6native12_GLOBAL__N_135GammaBetaBackwardCUDAKernelTemplateIN3c104HalfEfLj32ELj8ELj64ELb0ELb0ELb0EEEvllPKT_S7_PKT0_SA_PS5_SB_.num_agpr, 0
	.set _ZN2at6native12_GLOBAL__N_135GammaBetaBackwardCUDAKernelTemplateIN3c104HalfEfLj32ELj8ELj64ELb0ELb0ELb0EEEvllPKT_S7_PKT0_SA_PS5_SB_.numbered_sgpr, 36
	.set _ZN2at6native12_GLOBAL__N_135GammaBetaBackwardCUDAKernelTemplateIN3c104HalfEfLj32ELj8ELj64ELb0ELb0ELb0EEEvllPKT_S7_PKT0_SA_PS5_SB_.num_named_barrier, 0
	.set _ZN2at6native12_GLOBAL__N_135GammaBetaBackwardCUDAKernelTemplateIN3c104HalfEfLj32ELj8ELj64ELb0ELb0ELb0EEEvllPKT_S7_PKT0_SA_PS5_SB_.private_seg_size, 0
	.set _ZN2at6native12_GLOBAL__N_135GammaBetaBackwardCUDAKernelTemplateIN3c104HalfEfLj32ELj8ELj64ELb0ELb0ELb0EEEvllPKT_S7_PKT0_SA_PS5_SB_.uses_vcc, 1
	.set _ZN2at6native12_GLOBAL__N_135GammaBetaBackwardCUDAKernelTemplateIN3c104HalfEfLj32ELj8ELj64ELb0ELb0ELb0EEEvllPKT_S7_PKT0_SA_PS5_SB_.uses_flat_scratch, 0
	.set _ZN2at6native12_GLOBAL__N_135GammaBetaBackwardCUDAKernelTemplateIN3c104HalfEfLj32ELj8ELj64ELb0ELb0ELb0EEEvllPKT_S7_PKT0_SA_PS5_SB_.has_dyn_sized_stack, 0
	.set _ZN2at6native12_GLOBAL__N_135GammaBetaBackwardCUDAKernelTemplateIN3c104HalfEfLj32ELj8ELj64ELb0ELb0ELb0EEEvllPKT_S7_PKT0_SA_PS5_SB_.has_recursion, 0
	.set _ZN2at6native12_GLOBAL__N_135GammaBetaBackwardCUDAKernelTemplateIN3c104HalfEfLj32ELj8ELj64ELb0ELb0ELb0EEEvllPKT_S7_PKT0_SA_PS5_SB_.has_indirect_call, 0
	.section	.AMDGPU.csdata,"",@progbits
; Kernel info:
; codeLenInByte = 11468
; TotalNumSgprs: 38
; NumVgprs: 93
; ScratchSize: 0
; MemoryBound: 0
; FloatMode: 240
; IeeeMode: 1
; LDSByteSize: 0 bytes/workgroup (compile time only)
; SGPRBlocks: 0
; VGPRBlocks: 11
; NumSGPRsForWavesPerEU: 38
; NumVGPRsForWavesPerEU: 93
; Occupancy: 16
; WaveLimiterHint : 0
; COMPUTE_PGM_RSRC2:SCRATCH_EN: 0
; COMPUTE_PGM_RSRC2:USER_SGPR: 2
; COMPUTE_PGM_RSRC2:TRAP_HANDLER: 0
; COMPUTE_PGM_RSRC2:TGID_X_EN: 1
; COMPUTE_PGM_RSRC2:TGID_Y_EN: 1
; COMPUTE_PGM_RSRC2:TGID_Z_EN: 0
; COMPUTE_PGM_RSRC2:TIDIG_COMP_CNT: 1
	.section	.text._ZN2at6native12_GLOBAL__N_135GammaBetaBackwardCUDAKernelTemplateIN3c104HalfEfLj32ELj16ELj128ELb0ELb1ELb0EEEvllPKT_S7_PKT0_SA_PS5_SB_,"axG",@progbits,_ZN2at6native12_GLOBAL__N_135GammaBetaBackwardCUDAKernelTemplateIN3c104HalfEfLj32ELj16ELj128ELb0ELb1ELb0EEEvllPKT_S7_PKT0_SA_PS5_SB_,comdat
	.globl	_ZN2at6native12_GLOBAL__N_135GammaBetaBackwardCUDAKernelTemplateIN3c104HalfEfLj32ELj16ELj128ELb0ELb1ELb0EEEvllPKT_S7_PKT0_SA_PS5_SB_ ; -- Begin function _ZN2at6native12_GLOBAL__N_135GammaBetaBackwardCUDAKernelTemplateIN3c104HalfEfLj32ELj16ELj128ELb0ELb1ELb0EEEvllPKT_S7_PKT0_SA_PS5_SB_
	.p2align	8
	.type	_ZN2at6native12_GLOBAL__N_135GammaBetaBackwardCUDAKernelTemplateIN3c104HalfEfLj32ELj16ELj128ELb0ELb1ELb0EEEvllPKT_S7_PKT0_SA_PS5_SB_,@function
_ZN2at6native12_GLOBAL__N_135GammaBetaBackwardCUDAKernelTemplateIN3c104HalfEfLj32ELj16ELj128ELb0ELb1ELb0EEEvllPKT_S7_PKT0_SA_PS5_SB_: ; @_ZN2at6native12_GLOBAL__N_135GammaBetaBackwardCUDAKernelTemplateIN3c104HalfEfLj32ELj16ELj128ELb0ELb1ELb0EEEvllPKT_S7_PKT0_SA_PS5_SB_
; %bb.0:
	s_load_b128 s[16:19], s[0:1], 0x0
	s_lshl_b32 s2, ttmp7, 7
	s_mov_b32 s3, 0
	v_bfe_u32 v7, v0, 10, 10
	s_wait_kmcnt 0x0
	v_cmp_gt_i64_e64 s4, s[16:17], s[2:3]
	s_and_b32 vcc_lo, exec_lo, s4
	s_cbranch_vccnz .LBB89_2
; %bb.1:
	v_bfe_u32 v1, v0, 10, 10
	s_mov_b32 s4, s3
	s_branch .LBB89_3
.LBB89_2:
	s_mov_b32 s4, -1
                                        ; implicit-def: $vgpr1
.LBB89_3:
	s_load_b128 s[12:15], s[0:1], 0x30
	v_dual_mov_b32 v17, 0 :: v_dual_and_b32 v6, 0x3ff, v0
	v_mov_b32_e32 v0, 0
	s_and_not1_b32 vcc_lo, exec_lo, s4
	s_cbranch_vccnz .LBB89_11
; %bb.4:
	s_load_b32 s20, s[0:1], 0x4c
	v_dual_mov_b32 v1, 0 :: v_dual_lshlrev_b32 v0, 3, v7
	s_clause 0x1
	s_load_b32 s22, s[0:1], 0x44
	s_load_b256 s[4:11], s[0:1], 0x10
	s_mov_b32 s21, 0
	v_dual_mov_b32 v8, 8 :: v_dual_mov_b32 v9, 4
	v_add_co_u32 v2, s0, v0, s2
	s_delay_alu instid0(VALU_DEP_1) | instskip(SKIP_1) | instid1(VALU_DEP_3)
	v_add_co_ci_u32_e64 v3, null, 0, 0, s0
	v_lshl_add_u32 v0, ttmp9, 5, v6
	v_mul_lo_u32 v14, s19, v2
	v_mad_co_u64_u32 v[4:5], null, s18, v2, 0
	s_delay_alu instid0(VALU_DEP_4) | instskip(NEXT) | instid1(VALU_DEP_4)
	v_mul_lo_u32 v17, s18, v3
	v_lshlrev_b64_e32 v[15:16], 1, v[0:1]
	v_dual_mov_b32 v10, 12 :: v_dual_mov_b32 v11, 16
	v_mov_b32_e32 v0, 0
	s_wait_kmcnt 0x0
	s_and_b32 s0, s20, 0xffff
	s_wait_alu 0xfffe
	v_mad_u32_u24 v13, v7, s0, v6
	v_mov_b32_e32 v12, 20
	v_add3_u32 v5, v5, v17, v14
	s_lshl_b32 s20, s22, 7
	s_delay_alu instid0(VALU_DEP_3) | instskip(SKIP_1) | instid1(VALU_DEP_3)
	v_dual_mov_b32 v14, 28 :: v_dual_and_b32 v19, 31, v13
	v_mov_b32_e32 v13, 24
	v_lshlrev_b64_e32 v[17:18], 1, v[4:5]
	s_mul_u64 s[24:25], s[18:19], s[20:21]
	s_lshl_b64 s[22:23], s[20:21], 2
	v_add_co_u32 v2, vcc_lo, v2, v19
	s_delay_alu instid0(VALU_DEP_1) | instskip(NEXT) | instid1(VALU_DEP_3)
	v_add_co_ci_u32_e64 v3, null, 0, v3, vcc_lo
	v_add_co_u32 v15, vcc_lo, v17, v15
	v_cmp_gt_u32_e64 s0, 8, v19
	s_delay_alu instid0(VALU_DEP_3)
	v_lshlrev_b64_e32 v[4:5], 2, v[2:3]
	s_wait_alu 0xfffd
	v_add_co_ci_u32_e64 v16, null, v18, v16, vcc_lo
	v_mov_b32_e32 v17, 0
	s_lshl_b64 s[24:25], s[24:25], 1
	s_lshl_b64 s[18:19], s[18:19], 1
	s_branch .LBB89_7
.LBB89_5:                               ;   in Loop: Header=BB89_7 Depth=1
	s_or_b32 exec_lo, exec_lo, s26
.LBB89_6:                               ;   in Loop: Header=BB89_7 Depth=1
	s_wait_alu 0xfffe
	s_or_b32 exec_lo, exec_lo, s1
	v_add_co_u32 v20, vcc_lo, s4, v15
	s_wait_alu 0xfffd
	v_add_co_ci_u32_e64 v21, null, s5, v16, vcc_lo
	v_add_co_u32 v22, vcc_lo, s6, v15
	s_wait_alu 0xfffd
	v_add_co_ci_u32_e64 v23, null, s7, v16, vcc_lo
	;; [unrolled: 3-line block ×5, first 2 shown]
	global_load_u16 v30, v[20:21], off
	global_load_u16 v31, v[22:23], off
	;; [unrolled: 1-line block ×5, first 2 shown]
	v_add_co_u32 v20, vcc_lo, v26, s18
	s_wait_alu 0xfffd
	v_add_co_ci_u32_e64 v21, null, s19, v27, vcc_lo
	v_add_co_u32 v22, vcc_lo, v28, s18
	s_wait_alu 0xfffd
	v_add_co_ci_u32_e64 v23, null, s19, v29, vcc_lo
	;; [unrolled: 3-line block ×5, first 2 shown]
	global_load_u16 v35, v[20:21], off
	global_load_u16 v36, v[22:23], off
	global_load_u16 v37, v[24:25], off
	global_load_u16 v38, v[26:27], off
	global_load_u16 v39, v[28:29], off
	v_add_co_u32 v20, vcc_lo, v26, s18
	s_wait_alu 0xfffd
	v_add_co_ci_u32_e64 v21, null, s19, v27, vcc_lo
	v_add_co_u32 v22, vcc_lo, v28, s18
	s_wait_alu 0xfffd
	v_add_co_ci_u32_e64 v23, null, s19, v29, vcc_lo
	;; [unrolled: 3-line block ×4, first 2 shown]
	global_load_u16 v28, v[20:21], off
	global_load_u16 v29, v[22:23], off
	;; [unrolled: 1-line block ×4, first 2 shown]
	v_add_co_u32 v20, vcc_lo, v26, s18
	s_wait_alu 0xfffd
	v_add_co_ci_u32_e64 v21, null, s19, v27, vcc_lo
	v_add_co_u32 v22, vcc_lo, v24, s18
	s_wait_alu 0xfffd
	v_add_co_ci_u32_e64 v23, null, s19, v25, vcc_lo
	global_load_u16 v20, v[20:21], off
	global_load_u16 v21, v[22:23], off
	s_wait_loadcnt 0x11
	ds_bpermute_b32 v22, v1, v18
	ds_bpermute_b32 v25, v9, v18
	s_wait_loadcnt 0x10
	ds_bpermute_b32 v23, v1, v19
	ds_bpermute_b32 v27, v8, v18
	;; [unrolled: 1-line block ×14, first 2 shown]
	v_add_co_u32 v4, vcc_lo, v4, s22
	s_add_nc_u64 s[2:3], s[2:3], s[20:21]
	s_wait_alu 0xfffd
	v_add_co_ci_u32_e64 v5, null, s23, v5, vcc_lo
	v_add_co_u32 v2, vcc_lo, v2, s20
	s_wait_alu 0xfffe
	v_cmp_lt_i64_e64 s1, s[2:3], s[16:17]
	s_wait_alu 0xfffd
	v_add_co_ci_u32_e64 v3, null, 0, v3, vcc_lo
	v_add_co_u32 v15, vcc_lo, v15, s24
	s_wait_alu 0xfffd
	v_add_co_ci_u32_e64 v16, null, s25, v16, vcc_lo
	s_and_b32 vcc_lo, exec_lo, s1
	s_wait_loadcnt 0xf
	v_cvt_f32_f16_e32 v30, v30
	s_wait_loadcnt 0xe
	v_cvt_f32_f16_e32 v31, v31
	;; [unrolled: 2-line block ×3, first 2 shown]
	s_wait_dscnt 0xf
	s_delay_alu instid0(VALU_DEP_2)
	v_sub_f32_e32 v22, v31, v22
	v_cvt_f32_f16_e32 v31, v32
	s_wait_dscnt 0xe
	v_sub_f32_e32 v25, v33, v25
	s_wait_loadcnt 0xa
	v_cvt_f32_f16_e32 v32, v35
	v_mul_f32_e32 v22, v22, v30
	v_add_f32_e32 v17, v17, v30
	v_cvt_f32_f16_e32 v30, v34
	s_wait_dscnt 0xd
	s_delay_alu instid0(VALU_DEP_3)
	v_fmac_f32_e32 v0, v22, v23
	v_mul_f32_e32 v22, v25, v31
	s_wait_dscnt 0xc
	v_sub_f32_e32 v23, v32, v27
	s_wait_loadcnt 0x8
	v_cvt_f32_f16_e32 v25, v37
	v_add_f32_e32 v17, v17, v31
	v_cvt_f32_f16_e32 v27, v36
	s_wait_dscnt 0xb
	v_fmac_f32_e32 v0, v22, v24
	s_wait_dscnt 0xa
	v_dual_mul_f32 v22, v23, v30 :: v_dual_sub_f32 v23, v25, v43
	s_wait_loadcnt 0x6
	v_cvt_f32_f16_e32 v24, v39
	v_add_f32_e32 v17, v17, v30
	v_cvt_f32_f16_e32 v25, v38
	s_wait_dscnt 0x9
	v_fmac_f32_e32 v0, v22, v26
	s_wait_dscnt 0x8
	v_dual_mul_f32 v22, v23, v27 :: v_dual_sub_f32 v23, v24, v45
	s_wait_loadcnt 0x4
	v_cvt_f32_f16_e32 v24, v29
	v_add_f32_e32 v17, v17, v27
	v_cvt_f32_f16_e32 v26, v28
	s_wait_dscnt 0x7
	s_delay_alu instid0(VALU_DEP_2)
	v_dual_fmac_f32 v0, v22, v42 :: v_dual_add_f32 v17, v17, v25
	s_wait_dscnt 0x6
	v_dual_mul_f32 v22, v23, v25 :: v_dual_sub_f32 v23, v24, v47
	s_wait_loadcnt 0x2
	v_cvt_f32_f16_e32 v24, v41
	v_cvt_f32_f16_e32 v25, v40
	s_wait_loadcnt 0x1
	v_cvt_f32_f16_e32 v20, v20
	s_wait_dscnt 0x5
	v_dual_add_f32 v17, v17, v26 :: v_dual_fmac_f32 v0, v22, v44
	s_wait_dscnt 0x4
	v_dual_mul_f32 v22, v23, v26 :: v_dual_sub_f32 v23, v24, v49
	s_wait_loadcnt 0x0
	v_cvt_f32_f16_e32 v21, v21
	s_wait_dscnt 0x2
	v_dual_add_f32 v17, v17, v25 :: v_dual_sub_f32 v18, v20, v18
	v_fmac_f32_e32 v0, v22, v46
	v_mul_f32_e32 v22, v23, v25
	s_delay_alu instid0(VALU_DEP_3) | instskip(NEXT) | instid1(VALU_DEP_4)
	v_add_f32_e32 v17, v17, v21
	v_mul_f32_e32 v18, v18, v21
	s_wait_dscnt 0x1
	s_delay_alu instid0(VALU_DEP_3) | instskip(SKIP_1) | instid1(VALU_DEP_1)
	v_fmac_f32_e32 v0, v22, v48
	s_wait_dscnt 0x0
	v_fmac_f32_e32 v0, v18, v19
	s_wait_alu 0xfffe
	s_cbranch_vccz .LBB89_10
.LBB89_7:                               ; =>This Inner Loop Header: Depth=1
	v_dual_mov_b32 v19, 0 :: v_dual_mov_b32 v18, 0
	s_and_saveexec_b32 s1, s0
	s_cbranch_execz .LBB89_6
; %bb.8:                                ;   in Loop: Header=BB89_7 Depth=1
	v_dual_mov_b32 v18, 0 :: v_dual_mov_b32 v19, 0
	s_mov_b32 s26, exec_lo
	v_cmpx_gt_i64_e64 s[16:17], v[2:3]
	s_cbranch_execz .LBB89_5
; %bb.9:                                ;   in Loop: Header=BB89_7 Depth=1
	v_add_co_u32 v18, vcc_lo, s8, v4
	s_wait_alu 0xfffd
	v_add_co_ci_u32_e64 v19, null, s9, v5, vcc_lo
	v_add_co_u32 v20, vcc_lo, s10, v4
	s_wait_alu 0xfffd
	v_add_co_ci_u32_e64 v21, null, s11, v5, vcc_lo
	global_load_b32 v18, v[18:19], off
	global_load_b32 v19, v[20:21], off
	s_branch .LBB89_5
.LBB89_10:
	v_mov_b32_e32 v1, v7
.LBB89_11:
	s_delay_alu instid0(VALU_DEP_1) | instskip(SKIP_2) | instid1(VALU_DEP_2)
	v_mad_u32_u24 v2, v1, 33, v6
	v_lshrrev_b32_e32 v3, 5, v6
	s_mov_b32 s0, exec_lo
	v_lshl_add_u32 v4, v2, 2, 0
	s_delay_alu instid0(VALU_DEP_2)
	v_add_nc_u32_e32 v2, v3, v1
	ds_store_b32 v4, v0
	ds_store_b32 v4, v17 offset:2112
	s_wait_dscnt 0x0
	s_barrier_signal -1
	s_barrier_wait -1
	global_inv scope:SCOPE_SE
	v_cmpx_gt_u32_e32 32, v2
	s_cbranch_execz .LBB89_27
; %bb.12:
	v_and_b32_e32 v0, 31, v6
                                        ; implicit-def: $vgpr1
	s_delay_alu instid0(VALU_DEP_1)
	v_cmp_gt_u32_e64 s0, 16, v0
	v_mul_u32_u24_e32 v3, 33, v0
                                        ; implicit-def: $vgpr0
	s_wait_alu 0xfffe
	s_and_saveexec_b32 s1, s0
	s_cbranch_execz .LBB89_14
; %bb.13:
	s_delay_alu instid0(VALU_DEP_1) | instskip(NEXT) | instid1(VALU_DEP_1)
	v_add_nc_u32_e32 v0, v2, v3
	v_lshl_add_u32 v0, v0, 2, 0
	ds_load_b32 v1, v0
	ds_load_b32 v0, v0 offset:2112
.LBB89_14:
	s_wait_alu 0xfffe
	s_or_b32 exec_lo, exec_lo, s1
	v_mbcnt_lo_u32_b32 v8, -1, 0
	s_mov_b32 s2, ttmp9
	s_mov_b32 s3, 0
	v_cmp_eq_u32_e64 s1, 0, v6
	s_wait_alu 0xfffe
	s_lshl_b64 s[2:3], s[2:3], 5
	v_xor_b32_e32 v4, 8, v8
	v_xor_b32_e32 v5, 4, v8
	;; [unrolled: 1-line block ×3, first 2 shown]
	s_wait_kmcnt 0x0
	s_cmp_lg_u64 s[12:13], 0
	s_cselect_b32 s5, -1, 0
	v_cmp_gt_i32_e32 vcc_lo, 32, v4
	s_cmp_lg_u64 s[14:15], 0
	s_cselect_b32 s4, -1, 0
	s_wait_alu 0xfffd
	v_cndmask_b32_e32 v4, v8, v4, vcc_lo
	v_cmp_gt_i32_e32 vcc_lo, 32, v5
	s_wait_alu 0xfffd
	v_cndmask_b32_e32 v5, v8, v5, vcc_lo
	s_delay_alu instid0(VALU_DEP_1)
	v_lshlrev_b32_e32 v5, 2, v5
	v_lshlrev_b32_e32 v4, 2, v4
	s_wait_dscnt 0x1
	ds_bpermute_b32 v7, v4, v1
	s_wait_dscnt 0x0
	v_add_f32_e32 v1, v1, v7
	ds_bpermute_b32 v9, v4, v0
	v_xor_b32_e32 v7, 2, v8
	s_delay_alu instid0(VALU_DEP_1) | instskip(SKIP_4) | instid1(VALU_DEP_2)
	v_cmp_gt_i32_e32 vcc_lo, 32, v7
	s_wait_alu 0xfffd
	v_cndmask_b32_e32 v7, v8, v7, vcc_lo
	v_cmp_gt_i32_e32 vcc_lo, 32, v11
	s_wait_dscnt 0x0
	v_dual_add_f32 v0, v0, v9 :: v_dual_lshlrev_b32 v7, 2, v7
	ds_bpermute_b32 v9, v5, v1
	ds_bpermute_b32 v10, v5, v0
	s_wait_dscnt 0x0
	v_dual_add_f32 v1, v1, v9 :: v_dual_add_f32 v0, v0, v10
	ds_bpermute_b32 v9, v7, v1
	s_wait_alu 0xfffd
	v_cndmask_b32_e32 v8, v8, v11, vcc_lo
	ds_bpermute_b32 v10, v7, v0
	s_wait_dscnt 0x1
	v_dual_add_f32 v1, v1, v9 :: v_dual_lshlrev_b32 v8, 2, v8
	s_wait_dscnt 0x0
	v_add_f32_e32 v0, v0, v10
	ds_bpermute_b32 v9, v8, v1
	ds_bpermute_b32 v10, v8, v0
	s_wait_dscnt 0x0
	v_dual_add_f32 v6, v1, v9 :: v_dual_add_f32 v9, v0, v10
	s_and_saveexec_b32 s6, s1
	s_cbranch_execz .LBB89_19
; %bb.15:
	s_wait_alu 0xfffe
	v_mov_b32_e32 v1, s3
	v_or_b32_e32 v0, s2, v2
	s_and_not1_b32 vcc_lo, exec_lo, s5
	s_delay_alu instid0(VALU_DEP_1)
	v_lshlrev_b64_e32 v[0:1], 1, v[0:1]
	s_wait_alu 0xfffe
	s_cbranch_vccnz .LBB89_17
; %bb.16:
	s_delay_alu instid0(VALU_DEP_1) | instskip(SKIP_1) | instid1(VALU_DEP_2)
	v_add_co_u32 v10, vcc_lo, s12, v0
	s_wait_alu 0xfffd
	v_add_co_ci_u32_e64 v11, null, s13, v1, vcc_lo
	v_cvt_f16_f32_e32 v12, v6
	global_store_b16 v[10:11], v12, off
.LBB89_17:
	s_and_not1_b32 vcc_lo, exec_lo, s4
	s_wait_alu 0xfffe
	s_cbranch_vccnz .LBB89_19
; %bb.18:
	v_add_co_u32 v0, vcc_lo, s14, v0
	s_wait_alu 0xfffd
	v_add_co_ci_u32_e64 v1, null, s15, v1, vcc_lo
	v_cvt_f16_f32_e32 v10, v9
	global_store_b16 v[0:1], v10, off
.LBB89_19:
	s_wait_alu 0xfffe
	s_or_b32 exec_lo, exec_lo, s6
	v_cmp_gt_u32_e32 vcc_lo, 16, v2
	s_and_b32 exec_lo, exec_lo, vcc_lo
	s_cbranch_execz .LBB89_27
; %bb.20:
	s_and_saveexec_b32 s6, s0
	s_cbranch_execz .LBB89_22
; %bb.21:
	v_add_nc_u32_e32 v0, v2, v3
	s_delay_alu instid0(VALU_DEP_1)
	v_lshl_add_u32 v0, v0, 2, 0
	ds_load_b32 v6, v0 offset:64
	ds_load_b32 v9, v0 offset:2176
.LBB89_22:
	s_wait_alu 0xfffe
	s_or_b32 exec_lo, exec_lo, s6
	s_wait_dscnt 0x1
	ds_bpermute_b32 v0, v4, v6
	s_wait_dscnt 0x1
	ds_bpermute_b32 v1, v4, v9
	s_wait_dscnt 0x0
	v_dual_add_f32 v0, v6, v0 :: v_dual_add_f32 v1, v9, v1
	ds_bpermute_b32 v3, v5, v0
	ds_bpermute_b32 v4, v5, v1
	s_wait_dscnt 0x0
	v_dual_add_f32 v0, v0, v3 :: v_dual_add_f32 v1, v1, v4
	ds_bpermute_b32 v3, v7, v0
	;; [unrolled: 4-line block ×3, first 2 shown]
	ds_bpermute_b32 v1, v8, v0
	s_and_b32 exec_lo, exec_lo, s1
	s_cbranch_execz .LBB89_27
; %bb.23:
	s_and_not1_b32 vcc_lo, exec_lo, s5
	s_wait_alu 0xfffe
	s_cbranch_vccnz .LBB89_25
; %bb.24:
	v_add_co_u32 v5, s0, s2, v2
	s_wait_alu 0xf1ff
	v_add_co_ci_u32_e64 v6, null, s3, 0, s0
	s_wait_dscnt 0x1
	v_add_f32_e32 v7, v3, v4
	s_delay_alu instid0(VALU_DEP_2) | instskip(NEXT) | instid1(VALU_DEP_1)
	v_lshlrev_b64_e32 v[5:6], 1, v[5:6]
	v_add_co_u32 v3, vcc_lo, s12, v5
	s_wait_alu 0xfffd
	s_delay_alu instid0(VALU_DEP_2)
	v_add_co_ci_u32_e64 v4, null, s13, v6, vcc_lo
	v_cvt_f16_f32_e32 v5, v7
	global_store_b16 v[3:4], v5, off offset:32
.LBB89_25:
	s_and_not1_b32 vcc_lo, exec_lo, s4
	s_wait_alu 0xfffe
	s_cbranch_vccnz .LBB89_27
; %bb.26:
	v_add_co_u32 v2, s0, s2, v2
	s_wait_alu 0xf1ff
	v_add_co_ci_u32_e64 v3, null, s3, 0, s0
	s_wait_dscnt 0x0
	v_add_f32_e32 v4, v0, v1
	s_delay_alu instid0(VALU_DEP_2) | instskip(NEXT) | instid1(VALU_DEP_1)
	v_lshlrev_b64_e32 v[2:3], 1, v[2:3]
	v_add_co_u32 v0, vcc_lo, s14, v2
	s_wait_alu 0xfffd
	s_delay_alu instid0(VALU_DEP_2)
	v_add_co_ci_u32_e64 v1, null, s15, v3, vcc_lo
	v_cvt_f16_f32_e32 v2, v4
	global_store_b16 v[0:1], v2, off offset:32
.LBB89_27:
	s_endpgm
	.section	.rodata,"a",@progbits
	.p2align	6, 0x0
	.amdhsa_kernel _ZN2at6native12_GLOBAL__N_135GammaBetaBackwardCUDAKernelTemplateIN3c104HalfEfLj32ELj16ELj128ELb0ELb1ELb0EEEvllPKT_S7_PKT0_SA_PS5_SB_
		.amdhsa_group_segment_fixed_size 0
		.amdhsa_private_segment_fixed_size 0
		.amdhsa_kernarg_size 320
		.amdhsa_user_sgpr_count 2
		.amdhsa_user_sgpr_dispatch_ptr 0
		.amdhsa_user_sgpr_queue_ptr 0
		.amdhsa_user_sgpr_kernarg_segment_ptr 1
		.amdhsa_user_sgpr_dispatch_id 0
		.amdhsa_user_sgpr_private_segment_size 0
		.amdhsa_wavefront_size32 1
		.amdhsa_uses_dynamic_stack 0
		.amdhsa_enable_private_segment 0
		.amdhsa_system_sgpr_workgroup_id_x 1
		.amdhsa_system_sgpr_workgroup_id_y 1
		.amdhsa_system_sgpr_workgroup_id_z 0
		.amdhsa_system_sgpr_workgroup_info 0
		.amdhsa_system_vgpr_workitem_id 1
		.amdhsa_next_free_vgpr 50
		.amdhsa_next_free_sgpr 27
		.amdhsa_reserve_vcc 1
		.amdhsa_float_round_mode_32 0
		.amdhsa_float_round_mode_16_64 0
		.amdhsa_float_denorm_mode_32 3
		.amdhsa_float_denorm_mode_16_64 3
		.amdhsa_fp16_overflow 0
		.amdhsa_workgroup_processor_mode 1
		.amdhsa_memory_ordered 1
		.amdhsa_forward_progress 1
		.amdhsa_inst_pref_size 20
		.amdhsa_round_robin_scheduling 0
		.amdhsa_exception_fp_ieee_invalid_op 0
		.amdhsa_exception_fp_denorm_src 0
		.amdhsa_exception_fp_ieee_div_zero 0
		.amdhsa_exception_fp_ieee_overflow 0
		.amdhsa_exception_fp_ieee_underflow 0
		.amdhsa_exception_fp_ieee_inexact 0
		.amdhsa_exception_int_div_zero 0
	.end_amdhsa_kernel
	.section	.text._ZN2at6native12_GLOBAL__N_135GammaBetaBackwardCUDAKernelTemplateIN3c104HalfEfLj32ELj16ELj128ELb0ELb1ELb0EEEvllPKT_S7_PKT0_SA_PS5_SB_,"axG",@progbits,_ZN2at6native12_GLOBAL__N_135GammaBetaBackwardCUDAKernelTemplateIN3c104HalfEfLj32ELj16ELj128ELb0ELb1ELb0EEEvllPKT_S7_PKT0_SA_PS5_SB_,comdat
.Lfunc_end89:
	.size	_ZN2at6native12_GLOBAL__N_135GammaBetaBackwardCUDAKernelTemplateIN3c104HalfEfLj32ELj16ELj128ELb0ELb1ELb0EEEvllPKT_S7_PKT0_SA_PS5_SB_, .Lfunc_end89-_ZN2at6native12_GLOBAL__N_135GammaBetaBackwardCUDAKernelTemplateIN3c104HalfEfLj32ELj16ELj128ELb0ELb1ELb0EEEvllPKT_S7_PKT0_SA_PS5_SB_
                                        ; -- End function
	.set _ZN2at6native12_GLOBAL__N_135GammaBetaBackwardCUDAKernelTemplateIN3c104HalfEfLj32ELj16ELj128ELb0ELb1ELb0EEEvllPKT_S7_PKT0_SA_PS5_SB_.num_vgpr, 50
	.set _ZN2at6native12_GLOBAL__N_135GammaBetaBackwardCUDAKernelTemplateIN3c104HalfEfLj32ELj16ELj128ELb0ELb1ELb0EEEvllPKT_S7_PKT0_SA_PS5_SB_.num_agpr, 0
	.set _ZN2at6native12_GLOBAL__N_135GammaBetaBackwardCUDAKernelTemplateIN3c104HalfEfLj32ELj16ELj128ELb0ELb1ELb0EEEvllPKT_S7_PKT0_SA_PS5_SB_.numbered_sgpr, 27
	.set _ZN2at6native12_GLOBAL__N_135GammaBetaBackwardCUDAKernelTemplateIN3c104HalfEfLj32ELj16ELj128ELb0ELb1ELb0EEEvllPKT_S7_PKT0_SA_PS5_SB_.num_named_barrier, 0
	.set _ZN2at6native12_GLOBAL__N_135GammaBetaBackwardCUDAKernelTemplateIN3c104HalfEfLj32ELj16ELj128ELb0ELb1ELb0EEEvllPKT_S7_PKT0_SA_PS5_SB_.private_seg_size, 0
	.set _ZN2at6native12_GLOBAL__N_135GammaBetaBackwardCUDAKernelTemplateIN3c104HalfEfLj32ELj16ELj128ELb0ELb1ELb0EEEvllPKT_S7_PKT0_SA_PS5_SB_.uses_vcc, 1
	.set _ZN2at6native12_GLOBAL__N_135GammaBetaBackwardCUDAKernelTemplateIN3c104HalfEfLj32ELj16ELj128ELb0ELb1ELb0EEEvllPKT_S7_PKT0_SA_PS5_SB_.uses_flat_scratch, 0
	.set _ZN2at6native12_GLOBAL__N_135GammaBetaBackwardCUDAKernelTemplateIN3c104HalfEfLj32ELj16ELj128ELb0ELb1ELb0EEEvllPKT_S7_PKT0_SA_PS5_SB_.has_dyn_sized_stack, 0
	.set _ZN2at6native12_GLOBAL__N_135GammaBetaBackwardCUDAKernelTemplateIN3c104HalfEfLj32ELj16ELj128ELb0ELb1ELb0EEEvllPKT_S7_PKT0_SA_PS5_SB_.has_recursion, 0
	.set _ZN2at6native12_GLOBAL__N_135GammaBetaBackwardCUDAKernelTemplateIN3c104HalfEfLj32ELj16ELj128ELb0ELb1ELb0EEEvllPKT_S7_PKT0_SA_PS5_SB_.has_indirect_call, 0
	.section	.AMDGPU.csdata,"",@progbits
; Kernel info:
; codeLenInByte = 2440
; TotalNumSgprs: 29
; NumVgprs: 50
; ScratchSize: 0
; MemoryBound: 0
; FloatMode: 240
; IeeeMode: 1
; LDSByteSize: 0 bytes/workgroup (compile time only)
; SGPRBlocks: 0
; VGPRBlocks: 6
; NumSGPRsForWavesPerEU: 29
; NumVGPRsForWavesPerEU: 50
; Occupancy: 16
; WaveLimiterHint : 0
; COMPUTE_PGM_RSRC2:SCRATCH_EN: 0
; COMPUTE_PGM_RSRC2:USER_SGPR: 2
; COMPUTE_PGM_RSRC2:TRAP_HANDLER: 0
; COMPUTE_PGM_RSRC2:TGID_X_EN: 1
; COMPUTE_PGM_RSRC2:TGID_Y_EN: 1
; COMPUTE_PGM_RSRC2:TGID_Z_EN: 0
; COMPUTE_PGM_RSRC2:TIDIG_COMP_CNT: 1
	.section	.text._ZN2at6native12_GLOBAL__N_135GammaBetaBackwardCUDAKernelTemplateIN3c104HalfEfLj32ELj16ELj128ELb0ELb0ELb0EEEvllPKT_S7_PKT0_SA_PS5_SB_,"axG",@progbits,_ZN2at6native12_GLOBAL__N_135GammaBetaBackwardCUDAKernelTemplateIN3c104HalfEfLj32ELj16ELj128ELb0ELb0ELb0EEEvllPKT_S7_PKT0_SA_PS5_SB_,comdat
	.globl	_ZN2at6native12_GLOBAL__N_135GammaBetaBackwardCUDAKernelTemplateIN3c104HalfEfLj32ELj16ELj128ELb0ELb0ELb0EEEvllPKT_S7_PKT0_SA_PS5_SB_ ; -- Begin function _ZN2at6native12_GLOBAL__N_135GammaBetaBackwardCUDAKernelTemplateIN3c104HalfEfLj32ELj16ELj128ELb0ELb0ELb0EEEvllPKT_S7_PKT0_SA_PS5_SB_
	.p2align	8
	.type	_ZN2at6native12_GLOBAL__N_135GammaBetaBackwardCUDAKernelTemplateIN3c104HalfEfLj32ELj16ELj128ELb0ELb0ELb0EEEvllPKT_S7_PKT0_SA_PS5_SB_,@function
_ZN2at6native12_GLOBAL__N_135GammaBetaBackwardCUDAKernelTemplateIN3c104HalfEfLj32ELj16ELj128ELb0ELb0ELb0EEEvllPKT_S7_PKT0_SA_PS5_SB_: ; @_ZN2at6native12_GLOBAL__N_135GammaBetaBackwardCUDAKernelTemplateIN3c104HalfEfLj32ELj16ELj128ELb0ELb0ELb0EEEvllPKT_S7_PKT0_SA_PS5_SB_
; %bb.0:
	s_clause 0x1
	s_load_b256 s[4:11], s[0:1], 0x0
	s_load_b128 s[12:15], s[0:1], 0x20
	s_lshl_b32 s30, ttmp9, 5
	s_mov_b32 s17, 0
	s_or_b32 s16, s30, 31
	s_wait_kmcnt 0x0
	v_cmp_le_i64_e64 s2, s[6:7], s[16:17]
	s_lshl_b32 s16, ttmp7, 7
	s_wait_alu 0xfffe
	v_cmp_gt_i64_e64 s31, s[4:5], s[16:17]
	s_and_b32 vcc_lo, exec_lo, s2
	v_cndmask_b32_e64 v1, 0, 1, s31
	s_delay_alu instid0(VALU_DEP_1)
	v_cmp_ne_u32_e64 s2, 1, v1
	s_cbranch_vccz .LBB90_49
; %bb.1:
	v_dual_mov_b32 v10, 0 :: v_dual_mov_b32 v55, 0
	s_and_b32 vcc_lo, exec_lo, s2
	s_cbranch_vccnz .LBB90_50
; %bb.2:
	v_bfe_u32 v20, v0, 10, 10
	v_dual_mov_b32 v1, 0 :: v_dual_and_b32 v22, 0x3ff, v0
	s_load_b32 s3, s[0:1], 0x44
	s_mov_b32 s19, 0
	s_delay_alu instid0(VALU_DEP_2) | instskip(NEXT) | instid1(VALU_DEP_2)
	v_dual_mov_b32 v56, 0 :: v_dual_lshlrev_b32 v21, 3, v20
	v_dual_mov_b32 v3, v1 :: v_dual_add_nc_u32 v2, s30, v22
	s_mov_b32 s23, s19
	s_delay_alu instid0(VALU_DEP_2) | instskip(NEXT) | instid1(VALU_DEP_1)
	v_add_co_u32 v10, s2, v21, s16
	v_add_co_ci_u32_e64 v11, null, 0, 0, s2
	s_delay_alu instid0(VALU_DEP_3) | instskip(NEXT) | instid1(VALU_DEP_3)
	v_cmp_gt_i64_e64 s2, s[6:7], v[2:3]
	v_mul_lo_u32 v6, s7, v10
	v_mad_co_u64_u32 v[4:5], null, s6, v10, 0
	s_delay_alu instid0(VALU_DEP_4) | instskip(SKIP_1) | instid1(VALU_DEP_1)
	v_mul_lo_u32 v7, s6, v11
	v_add_co_u32 v8, vcc_lo, v10, 7
	v_add_co_ci_u32_e64 v9, null, 0, v11, vcc_lo
	v_lshlrev_b64_e32 v[18:19], 1, v[2:3]
	s_delay_alu instid0(VALU_DEP_3)
	v_mul_lo_u32 v12, s7, v8
	s_wait_kmcnt 0x0
	s_lshl_b32 s22, s3, 7
	v_add3_u32 v5, v5, v7, v6
	v_mad_co_u64_u32 v[6:7], null, s6, v8, 0
	v_add_co_u32 v8, vcc_lo, v10, 6
	v_mul_lo_u32 v13, s6, v9
	s_wait_alu 0xfffd
	v_add_co_ci_u32_e64 v9, null, 0, v11, vcc_lo
	v_lshlrev_b64_e32 v[2:3], 1, v[4:5]
	v_mul_lo_u32 v14, s7, v8
	v_mov_b32_e32 v55, 0
	s_delay_alu instid0(VALU_DEP_4)
	v_mul_lo_u32 v15, s6, v9
	v_mad_co_u64_u32 v[8:9], null, s6, v8, 0
	v_add_co_u32 v23, vcc_lo, s8, v2
	s_wait_alu 0xfffd
	v_add_co_ci_u32_e64 v24, null, s9, v3, vcc_lo
	v_add_co_u32 v25, vcc_lo, s10, v2
	v_add3_u32 v7, v7, v13, v12
	s_wait_alu 0xfffd
	v_add_co_ci_u32_e64 v26, null, s11, v3, vcc_lo
	v_add_co_u32 v12, vcc_lo, v10, 5
	v_add3_u32 v9, v9, v15, v14
	s_wait_alu 0xfffd
	v_add_co_ci_u32_e64 v13, null, 0, v11, vcc_lo
	v_lshlrev_b64_e32 v[2:3], 1, v[6:7]
	v_mul_lo_u32 v14, s7, v12
	v_lshlrev_b64_e32 v[6:7], 1, v[8:9]
	s_delay_alu instid0(VALU_DEP_4)
	v_mul_lo_u32 v13, s6, v13
	v_mad_co_u64_u32 v[8:9], null, s6, v12, 0
	v_add_co_u32 v27, vcc_lo, s8, v2
	s_wait_alu 0xfffd
	v_add_co_ci_u32_e64 v28, null, s9, v3, vcc_lo
	v_add_co_u32 v29, vcc_lo, s10, v2
	s_wait_alu 0xfffd
	v_add_co_ci_u32_e64 v30, null, s11, v3, vcc_lo
	v_add_co_u32 v31, vcc_lo, s8, v6
	v_add3_u32 v9, v9, v13, v14
	s_wait_alu 0xfffd
	v_add_co_ci_u32_e64 v32, null, s9, v7, vcc_lo
	v_add_co_u32 v12, vcc_lo, v10, 4
	v_add_co_u32 v33, s3, s10, v6
	s_wait_alu 0xfffd
	v_add_co_ci_u32_e64 v6, null, 0, v11, vcc_lo
	v_lshlrev_b64_e32 v[2:3], 1, v[8:9]
	v_add_co_u32 v8, vcc_lo, v10, 3
	s_wait_alu 0xfffd
	v_add_co_ci_u32_e64 v9, null, 0, v11, vcc_lo
	s_wait_alu 0xf1ff
	v_add_co_ci_u32_e64 v34, null, s11, v7, s3
	v_mul_lo_u32 v13, s7, v12
	v_mul_lo_u32 v14, s6, v6
	v_mad_co_u64_u32 v[6:7], null, s6, v12, 0
	v_mul_lo_u32 v12, s7, v8
	v_mul_lo_u32 v15, s6, v9
	v_mad_co_u64_u32 v[8:9], null, s6, v8, 0
	v_add_co_u32 v35, vcc_lo, s8, v2
	s_wait_alu 0xfffd
	v_add_co_ci_u32_e64 v36, null, s9, v3, vcc_lo
	v_add3_u32 v7, v7, v14, v13
	v_add_co_u32 v37, vcc_lo, s10, v2
	s_wait_alu 0xfffd
	v_add_co_ci_u32_e64 v38, null, s11, v3, vcc_lo
	v_add_co_u32 v10, vcc_lo, v10, 2
	v_add3_u32 v9, v9, v15, v12
	s_wait_alu 0xfffd
	v_add_co_ci_u32_e64 v11, null, 0, v11, vcc_lo
	v_lshlrev_b64_e32 v[2:3], 1, v[6:7]
	v_mul_lo_u32 v12, s7, v10
	v_lshlrev_b64_e32 v[6:7], 1, v[8:9]
	s_delay_alu instid0(VALU_DEP_4)
	v_mul_lo_u32 v11, s6, v11
	v_mad_co_u64_u32 v[8:9], null, s6, v10, 0
	v_add_co_u32 v39, vcc_lo, s8, v2
	s_wait_alu 0xfffd
	v_add_co_ci_u32_e64 v40, null, s9, v3, vcc_lo
	v_add_co_u32 v41, vcc_lo, s10, v2
	s_wait_alu 0xfffd
	v_add_co_ci_u32_e64 v42, null, s11, v3, vcc_lo
	;; [unrolled: 3-line block ×3, first 2 shown]
	v_add3_u32 v9, v9, v11, v12
	v_add_co_u32 v45, vcc_lo, s10, v6
	s_wait_alu 0xfffd
	v_add_co_ci_u32_e64 v46, null, s11, v7, vcc_lo
	v_add_co_u32 v4, vcc_lo, v4, s6
	s_wait_alu 0xfffd
	v_add_co_ci_u32_e64 v5, null, s7, v5, vcc_lo
	v_lshlrev_b64_e32 v[2:3], 1, v[8:9]
	s_mul_u64 s[24:25], s[6:7], s[22:23]
	s_add_nc_u64 s[20:21], s[0:1], 64
	s_delay_alu instid0(VALU_DEP_2)
	v_lshlrev_b64_e32 v[4:5], 1, v[4:5]
	s_lshl_b64 s[24:25], s[24:25], 1
	s_add_nc_u64 s[26:27], s[16:17], 0x7f
	v_add_co_u32 v47, vcc_lo, s8, v2
	s_wait_alu 0xfffd
	v_add_co_ci_u32_e64 v48, null, s9, v3, vcc_lo
	v_add_co_u32 v49, vcc_lo, s10, v2
	s_wait_alu 0xfffd
	v_add_co_ci_u32_e64 v50, null, s11, v3, vcc_lo
	v_add_co_u32 v51, vcc_lo, s8, v4
	s_wait_alu 0xfffd
	v_add_co_ci_u32_e64 v52, null, s9, v5, vcc_lo
	v_add_co_u32 v53, vcc_lo, s10, v4
	s_wait_alu 0xfffd
	v_add_co_ci_u32_e64 v54, null, s11, v5, vcc_lo
	s_mov_b64 s[28:29], s[16:17]
.LBB90_3:                               ; =>This Inner Loop Header: Depth=1
	v_cmp_ge_i64_e64 s3, s[26:27], s[4:5]
	v_add_co_u32 v57, s18, v21, s26
	s_wait_alu 0xf1ff
	v_add_co_ci_u32_e64 v58, null, 0, s27, s18
                                        ; implicit-def: $vgpr10_vgpr11_vgpr12_vgpr13_vgpr14_vgpr15_vgpr16_vgpr17
                                        ; implicit-def: $vgpr2_vgpr3_vgpr4_vgpr5_vgpr6_vgpr7_vgpr8_vgpr9
                                        ; implicit-def: $vgpr60
                                        ; implicit-def: $vgpr2
	s_and_b32 vcc_lo, exec_lo, s3
	s_mov_b32 s3, -1
                                        ; implicit-def: $vgpr10
                                        ; implicit-def: $vgpr3
	s_wait_alu 0xfffe
	s_cbranch_vccz .LBB90_25
; %bb.4:                                ;   in Loop: Header=BB90_3 Depth=1
	s_load_b32 s3, s[20:21], 0xc
	v_dual_mov_b32 v60, 0 :: v_dual_mov_b32 v59, 0
	s_wait_kmcnt 0x0
	s_and_b32 s3, s3, 0xffff
	s_wait_alu 0xfffe
	v_mad_u32_u24 v2, v20, s3, v22
	s_mov_b32 s3, exec_lo
	s_delay_alu instid0(VALU_DEP_1) | instskip(NEXT) | instid1(VALU_DEP_1)
	v_and_b32_e32 v2, 31, v2
	v_cmpx_gt_u32_e32 8, v2
	s_cbranch_execz .LBB90_8
; %bb.5:                                ;   in Loop: Header=BB90_3 Depth=1
	v_add_co_u32 v2, vcc_lo, v57, v2
	s_wait_alu 0xfffd
	v_add_co_ci_u32_e64 v3, null, 0, v58, vcc_lo
	v_dual_mov_b32 v59, 0 :: v_dual_mov_b32 v60, 0
	s_delay_alu instid0(VALU_DEP_3) | instskip(SKIP_1) | instid1(VALU_DEP_3)
	v_add_co_u32 v2, vcc_lo, 0xffffff81, v2
	s_wait_alu 0xfffd
	v_add_co_ci_u32_e64 v3, null, -1, v3, vcc_lo
	s_mov_b32 s18, exec_lo
	v_cmpx_gt_i64_e64 s[4:5], v[2:3]
	s_cbranch_execz .LBB90_7
; %bb.6:                                ;   in Loop: Header=BB90_3 Depth=1
	v_lshlrev_b64_e32 v[2:3], 2, v[2:3]
	s_delay_alu instid0(VALU_DEP_1) | instskip(SKIP_1) | instid1(VALU_DEP_2)
	v_add_co_u32 v4, vcc_lo, s12, v2
	s_wait_alu 0xfffd
	v_add_co_ci_u32_e64 v5, null, s13, v3, vcc_lo
	v_add_co_u32 v2, vcc_lo, s14, v2
	s_wait_alu 0xfffd
	v_add_co_ci_u32_e64 v3, null, s15, v3, vcc_lo
	global_load_b32 v59, v[4:5], off
	global_load_b32 v60, v[2:3], off
.LBB90_7:                               ;   in Loop: Header=BB90_3 Depth=1
	s_wait_alu 0xfffe
	s_or_b32 exec_lo, exec_lo, s18
.LBB90_8:                               ;   in Loop: Header=BB90_3 Depth=1
	s_wait_alu 0xfffe
	s_or_b32 exec_lo, exec_lo, s3
	v_add_co_u32 v9, vcc_lo, 0xffffff81, v57
	s_wait_alu 0xfffd
	v_add_co_ci_u32_e64 v10, null, -1, v58, vcc_lo
	v_mov_b32_e32 v8, v1
	v_dual_mov_b32 v2, v1 :: v_dual_mov_b32 v3, v1
	v_dual_mov_b32 v4, v1 :: v_dual_mov_b32 v5, v1
	;; [unrolled: 1-line block ×3, first 2 shown]
	v_cmp_gt_i64_e32 vcc_lo, s[4:5], v[9:10]
	s_delay_alu instid0(VALU_DEP_3) | instskip(NEXT) | instid1(VALU_DEP_3)
	v_dual_mov_b32 v17, v8 :: v_dual_mov_b32 v14, v5
	v_dual_mov_b32 v15, v6 :: v_dual_mov_b32 v16, v7
	;; [unrolled: 1-line block ×4, first 2 shown]
	v_mov_b32_e32 v9, v8
	v_mov_b32_e32 v8, v7
	;; [unrolled: 1-line block ×8, first 2 shown]
	s_and_b32 s18, s2, vcc_lo
	s_wait_alu 0xfffe
	s_and_saveexec_b32 s3, s18
	s_cbranch_execz .LBB90_10
; %bb.9:                                ;   in Loop: Header=BB90_3 Depth=1
	v_add_co_u32 v2, vcc_lo, v23, v18
	s_wait_alu 0xfffd
	v_add_co_ci_u32_e64 v3, null, v24, v19, vcc_lo
	v_add_co_u32 v4, vcc_lo, v25, v18
	s_wait_alu 0xfffd
	v_add_co_ci_u32_e64 v5, null, v26, v19, vcc_lo
	global_load_u16 v2, v[2:3], off
	global_load_u16 v10, v[4:5], off
	v_dual_mov_b32 v3, v1 :: v_dual_mov_b32 v4, v1
	v_dual_mov_b32 v5, v1 :: v_dual_mov_b32 v6, v1
	;; [unrolled: 1-line block ×6, first 2 shown]
	v_mov_b32_e32 v15, v1
	v_mov_b32_e32 v17, v1
	s_wait_loadcnt 0x1
	v_cvt_f32_f16_e32 v2, v2
	s_wait_loadcnt 0x0
	v_cvt_f32_f16_e32 v10, v10
.LBB90_10:                              ;   in Loop: Header=BB90_3 Depth=1
	s_wait_alu 0xfffe
	s_or_b32 exec_lo, exec_lo, s3
	v_add_co_u32 v61, vcc_lo, 0xffffff82, v57
	s_wait_alu 0xfffd
	v_add_co_ci_u32_e64 v62, null, -1, v58, vcc_lo
	s_delay_alu instid0(VALU_DEP_1)
	v_cmp_gt_i64_e32 vcc_lo, s[4:5], v[61:62]
	s_and_b32 s18, s2, vcc_lo
	s_wait_alu 0xfffe
	s_and_saveexec_b32 s3, s18
	s_cbranch_execz .LBB90_12
; %bb.11:                               ;   in Loop: Header=BB90_3 Depth=1
	v_add_co_u32 v61, vcc_lo, v51, v18
	s_wait_alu 0xfffd
	v_add_co_ci_u32_e64 v62, null, v52, v19, vcc_lo
	v_add_co_u32 v63, vcc_lo, v53, v18
	s_wait_alu 0xfffd
	v_add_co_ci_u32_e64 v64, null, v54, v19, vcc_lo
	global_load_u16 v3, v[61:62], off
	global_load_u16 v11, v[63:64], off
	s_wait_loadcnt 0x1
	v_cvt_f32_f16_e32 v3, v3
	s_wait_loadcnt 0x0
	v_cvt_f32_f16_e32 v11, v11
.LBB90_12:                              ;   in Loop: Header=BB90_3 Depth=1
	s_wait_alu 0xfffe
	s_or_b32 exec_lo, exec_lo, s3
	v_add_co_u32 v61, vcc_lo, 0xffffff83, v57
	s_wait_alu 0xfffd
	v_add_co_ci_u32_e64 v62, null, -1, v58, vcc_lo
	s_delay_alu instid0(VALU_DEP_1)
	v_cmp_gt_i64_e32 vcc_lo, s[4:5], v[61:62]
	s_and_b32 s18, s2, vcc_lo
	s_wait_alu 0xfffe
	s_and_saveexec_b32 s3, s18
	s_cbranch_execz .LBB90_14
; %bb.13:                               ;   in Loop: Header=BB90_3 Depth=1
	v_add_co_u32 v61, vcc_lo, v47, v18
	s_wait_alu 0xfffd
	v_add_co_ci_u32_e64 v62, null, v48, v19, vcc_lo
	v_add_co_u32 v63, vcc_lo, v49, v18
	s_wait_alu 0xfffd
	v_add_co_ci_u32_e64 v64, null, v50, v19, vcc_lo
	global_load_u16 v4, v[61:62], off
	global_load_u16 v12, v[63:64], off
	s_wait_loadcnt 0x1
	v_cvt_f32_f16_e32 v4, v4
	s_wait_loadcnt 0x0
	v_cvt_f32_f16_e32 v12, v12
.LBB90_14:                              ;   in Loop: Header=BB90_3 Depth=1
	;; [unrolled: 25-line block ×7, first 2 shown]
	s_wait_alu 0xfffe
	s_or_b32 exec_lo, exec_lo, s3
	s_wait_loadcnt 0x1
	ds_bpermute_b32 v61, v1, v59
	ds_bpermute_b32 v62, v1, v59 offset:4
	ds_bpermute_b32 v63, v1, v59 offset:8
	s_wait_loadcnt 0x0
	ds_bpermute_b32 v64, v1, v60
	ds_bpermute_b32 v65, v1, v59 offset:12
	ds_bpermute_b32 v66, v1, v60 offset:4
	;; [unrolled: 1-line block ×7, first 2 shown]
	s_mov_b32 s3, 0
	s_wait_dscnt 0xa
	v_dual_sub_f32 v10, v10, v61 :: v_dual_add_f32 v61, v55, v2
	s_wait_dscnt 0x8
	v_dual_sub_f32 v11, v11, v62 :: v_dual_sub_f32 v12, v12, v63
	ds_bpermute_b32 v62, v1, v60 offset:16
	v_mul_f32_e32 v2, v2, v10
	ds_bpermute_b32 v63, v1, v60 offset:20
	v_dual_mul_f32 v11, v3, v11 :: v_dual_mul_f32 v12, v4, v12
	v_add_f32_e32 v3, v3, v61
	s_wait_dscnt 0x9
	v_fma_f32 v10, v2, v64, v56
	s_wait_dscnt 0x8
	v_sub_f32_e32 v2, v13, v65
	ds_bpermute_b32 v64, v1, v60 offset:24
	ds_bpermute_b32 v60, v1, v60 offset:28
	s_wait_dscnt 0x9
	v_dual_add_f32 v3, v4, v3 :: v_dual_fmac_f32 v10, v11, v66
	s_wait_dscnt 0x8
	v_sub_f32_e32 v11, v14, v67
	v_mul_f32_e32 v13, v5, v2
	ds_bpermute_b32 v2, v1, v59 offset:28
	s_wait_dscnt 0x6
	v_sub_f32_e32 v4, v15, v70
	v_dual_fmac_f32 v10, v12, v68 :: v_dual_mul_f32 v11, v6, v11
	v_add_f32_e32 v3, v5, v3
	s_wait_dscnt 0x5
	s_delay_alu instid0(VALU_DEP_3) | instskip(NEXT) | instid1(VALU_DEP_2)
	v_dual_sub_f32 v5, v16, v71 :: v_dual_mul_f32 v4, v7, v4
	v_dual_fmac_f32 v10, v13, v69 :: v_dual_add_f32 v3, v6, v3
	s_wait_dscnt 0x4
	s_delay_alu instid0(VALU_DEP_1) | instskip(SKIP_1) | instid1(VALU_DEP_1)
	v_dual_mul_f32 v5, v8, v5 :: v_dual_fmac_f32 v10, v11, v62
	s_wait_dscnt 0x3
	v_fmac_f32_e32 v10, v4, v63
	s_wait_dscnt 0x2
	s_delay_alu instid0(VALU_DEP_1) | instskip(NEXT) | instid1(VALU_DEP_1)
	v_dual_add_f32 v3, v7, v3 :: v_dual_fmac_f32 v10, v5, v64
	v_add_f32_e32 v3, v8, v3
.LBB90_25:                              ;   in Loop: Header=BB90_3 Depth=1
	s_wait_alu 0xfffe
	s_and_b32 vcc_lo, exec_lo, s3
	s_wait_alu 0xfffe
	s_cbranch_vccz .LBB90_40
; %bb.26:                               ;   in Loop: Header=BB90_3 Depth=1
	s_load_b32 s3, s[20:21], 0x0
	s_wait_dscnt 0x1
	v_dual_mov_b32 v60, 0 :: v_dual_mov_b32 v59, 0
	s_wait_kmcnt 0x0
	s_cmp_lt_u32 ttmp9, s3
	s_cselect_b32 s18, 12, 18
	s_wait_alu 0xfffe
	s_add_nc_u64 s[34:35], s[20:21], s[18:19]
	s_load_u16 s3, s[34:35], 0x0
	s_wait_dscnt 0x0
	s_wait_kmcnt 0x0
	v_mad_u32_u24 v2, v20, s3, v22
	s_mov_b32 s3, exec_lo
	s_delay_alu instid0(VALU_DEP_1) | instskip(NEXT) | instid1(VALU_DEP_1)
	v_and_b32_e32 v2, 31, v2
	v_cmpx_gt_u32_e32 8, v2
	s_cbranch_execz .LBB90_30
; %bb.27:                               ;   in Loop: Header=BB90_3 Depth=1
	v_add_co_u32 v2, vcc_lo, v57, v2
	s_wait_alu 0xfffd
	v_add_co_ci_u32_e64 v3, null, 0, v58, vcc_lo
	v_dual_mov_b32 v59, 0 :: v_dual_mov_b32 v60, 0
	s_delay_alu instid0(VALU_DEP_3) | instskip(SKIP_1) | instid1(VALU_DEP_3)
	v_add_co_u32 v2, vcc_lo, 0xffffff81, v2
	s_wait_alu 0xfffd
	v_add_co_ci_u32_e64 v3, null, -1, v3, vcc_lo
	s_mov_b32 s18, exec_lo
	v_cmpx_gt_i64_e64 s[4:5], v[2:3]
	s_cbranch_execz .LBB90_29
; %bb.28:                               ;   in Loop: Header=BB90_3 Depth=1
	v_lshlrev_b64_e32 v[2:3], 2, v[2:3]
	s_delay_alu instid0(VALU_DEP_1) | instskip(SKIP_1) | instid1(VALU_DEP_2)
	v_add_co_u32 v4, vcc_lo, s12, v2
	s_wait_alu 0xfffd
	v_add_co_ci_u32_e64 v5, null, s13, v3, vcc_lo
	v_add_co_u32 v2, vcc_lo, s14, v2
	s_wait_alu 0xfffd
	v_add_co_ci_u32_e64 v3, null, s15, v3, vcc_lo
	global_load_b32 v59, v[4:5], off
	global_load_b32 v60, v[2:3], off
.LBB90_29:                              ;   in Loop: Header=BB90_3 Depth=1
	s_wait_alu 0xfffe
	s_or_b32 exec_lo, exec_lo, s18
.LBB90_30:                              ;   in Loop: Header=BB90_3 Depth=1
	s_wait_alu 0xfffe
	s_or_b32 exec_lo, exec_lo, s3
	v_mov_b32_e32 v8, v1
	v_dual_mov_b32 v2, v1 :: v_dual_mov_b32 v3, v1
	v_dual_mov_b32 v4, v1 :: v_dual_mov_b32 v5, v1
	;; [unrolled: 1-line block ×3, first 2 shown]
	s_delay_alu instid0(VALU_DEP_4) | instskip(NEXT) | instid1(VALU_DEP_3)
	v_mov_b32_e32 v17, v8
	v_dual_mov_b32 v13, v4 :: v_dual_mov_b32 v12, v3
	s_delay_alu instid0(VALU_DEP_3) | instskip(NEXT) | instid1(VALU_DEP_4)
	v_dual_mov_b32 v15, v6 :: v_dual_mov_b32 v14, v5
	v_dual_mov_b32 v16, v7 :: v_dual_mov_b32 v11, v2
	;; [unrolled: 1-line block ×3, first 2 shown]
	v_mov_b32_e32 v8, v7
	v_mov_b32_e32 v7, v6
	;; [unrolled: 1-line block ×7, first 2 shown]
	s_and_saveexec_b32 s3, s2
	s_cbranch_execnz .LBB90_42
; %bb.31:                               ;   in Loop: Header=BB90_3 Depth=1
	s_wait_alu 0xfffe
	s_or_b32 exec_lo, exec_lo, s3
	s_and_saveexec_b32 s3, s2
	s_cbranch_execnz .LBB90_43
.LBB90_32:                              ;   in Loop: Header=BB90_3 Depth=1
	s_wait_alu 0xfffe
	s_or_b32 exec_lo, exec_lo, s3
	s_and_saveexec_b32 s3, s2
	s_cbranch_execnz .LBB90_44
.LBB90_33:                              ;   in Loop: Header=BB90_3 Depth=1
	s_wait_alu 0xfffe
	s_or_b32 exec_lo, exec_lo, s3
	s_and_saveexec_b32 s3, s2
	s_cbranch_execnz .LBB90_45
.LBB90_34:                              ;   in Loop: Header=BB90_3 Depth=1
	s_wait_alu 0xfffe
	s_or_b32 exec_lo, exec_lo, s3
	s_and_saveexec_b32 s3, s2
	s_cbranch_execnz .LBB90_46
.LBB90_35:                              ;   in Loop: Header=BB90_3 Depth=1
	s_wait_alu 0xfffe
	s_or_b32 exec_lo, exec_lo, s3
	s_and_saveexec_b32 s3, s2
	s_cbranch_execnz .LBB90_47
.LBB90_36:                              ;   in Loop: Header=BB90_3 Depth=1
	s_wait_alu 0xfffe
	s_or_b32 exec_lo, exec_lo, s3
	s_and_saveexec_b32 s3, s2
	s_cbranch_execnz .LBB90_48
.LBB90_37:                              ;   in Loop: Header=BB90_3 Depth=1
	s_wait_alu 0xfffe
	s_or_b32 exec_lo, exec_lo, s3
	s_and_saveexec_b32 s3, s2
	s_cbranch_execz .LBB90_39
.LBB90_38:                              ;   in Loop: Header=BB90_3 Depth=1
	v_add_co_u32 v57, vcc_lo, v27, v18
	s_wait_alu 0xfffd
	v_add_co_ci_u32_e64 v58, null, v28, v19, vcc_lo
	v_add_co_u32 v61, vcc_lo, v29, v18
	s_wait_alu 0xfffd
	v_add_co_ci_u32_e64 v62, null, v30, v19, vcc_lo
	global_load_u16 v9, v[57:58], off
	global_load_u16 v17, v[61:62], off
	s_wait_loadcnt 0x1
	v_cvt_f32_f16_e32 v9, v9
	s_wait_loadcnt 0x0
	v_cvt_f32_f16_e32 v17, v17
.LBB90_39:                              ;   in Loop: Header=BB90_3 Depth=1
	s_wait_alu 0xfffe
	s_or_b32 exec_lo, exec_lo, s3
	s_wait_loadcnt 0x1
	ds_bpermute_b32 v57, v1, v59
	ds_bpermute_b32 v58, v1, v59 offset:4
	ds_bpermute_b32 v61, v1, v59 offset:8
	s_wait_loadcnt 0x0
	ds_bpermute_b32 v62, v1, v60
	ds_bpermute_b32 v63, v1, v59 offset:12
	ds_bpermute_b32 v64, v1, v60 offset:4
	;; [unrolled: 1-line block ×5, first 2 shown]
	s_wait_dscnt 0x7
	v_dual_sub_f32 v10, v10, v57 :: v_dual_sub_f32 v11, v11, v58
	ds_bpermute_b32 v57, v1, v60 offset:12
	s_wait_dscnt 0x7
	v_sub_f32_e32 v12, v12, v61
	ds_bpermute_b32 v58, v1, v60 offset:20
	v_dual_mul_f32 v10, v2, v10 :: v_dual_mul_f32 v11, v3, v11
	s_wait_dscnt 0x6
	v_dual_add_f32 v2, v55, v2 :: v_dual_sub_f32 v13, v13, v63
	ds_bpermute_b32 v55, v1, v60 offset:16
	v_fmac_f32_e32 v56, v10, v62
	ds_bpermute_b32 v10, v1, v59 offset:24
	s_wait_dscnt 0x6
	v_dual_add_f32 v2, v3, v2 :: v_dual_sub_f32 v3, v14, v65
	v_dual_fmac_f32 v56, v11, v64 :: v_dual_mul_f32 v11, v5, v13
	s_wait_dscnt 0x5
	v_dual_sub_f32 v13, v15, v67 :: v_dual_mul_f32 v12, v4, v12
	s_wait_dscnt 0x4
	s_delay_alu instid0(VALU_DEP_1)
	v_dual_mul_f32 v3, v6, v3 :: v_dual_fmac_f32 v56, v12, v66
	ds_bpermute_b32 v12, v1, v60 offset:24
	ds_bpermute_b32 v60, v1, v60 offset:28
	s_wait_dscnt 0x5
	v_fmac_f32_e32 v56, v11, v57
	s_wait_dscnt 0x2
	s_delay_alu instid0(VALU_DEP_1) | instskip(NEXT) | instid1(VALU_DEP_1)
	v_dual_fmac_f32 v56, v3, v55 :: v_dual_sub_f32 v3, v16, v10
	v_mul_f32_e32 v3, v8, v3
	v_add_f32_e32 v4, v4, v2
	ds_bpermute_b32 v2, v1, v59 offset:28
	v_dual_add_f32 v4, v5, v4 :: v_dual_mul_f32 v5, v7, v13
	s_delay_alu instid0(VALU_DEP_1) | instskip(NEXT) | instid1(VALU_DEP_2)
	v_add_f32_e32 v4, v6, v4
	v_fmac_f32_e32 v56, v5, v58
	s_delay_alu instid0(VALU_DEP_2) | instskip(SKIP_1) | instid1(VALU_DEP_2)
	v_add_f32_e32 v4, v7, v4
	s_wait_dscnt 0x2
	v_fmac_f32_e32 v56, v3, v12
	s_delay_alu instid0(VALU_DEP_2) | instskip(NEXT) | instid1(VALU_DEP_2)
	v_add_f32_e32 v3, v8, v4
	v_mov_b32_e32 v10, v56
.LBB90_40:                              ;   in Loop: Header=BB90_3 Depth=1
	v_add_co_u32 v23, vcc_lo, v23, s24
	s_wait_alu 0xfffd
	v_add_co_ci_u32_e64 v24, null, s25, v24, vcc_lo
	v_add_co_u32 v25, vcc_lo, v25, s24
	s_wait_alu 0xfffd
	v_add_co_ci_u32_e64 v26, null, s25, v26, vcc_lo
	;; [unrolled: 3-line block ×10, first 2 shown]
	v_add_co_u32 v43, vcc_lo, v43, s24
	s_wait_dscnt 0x0
	v_dual_sub_f32 v2, v17, v2 :: v_dual_add_f32 v55, v3, v9
	s_wait_alu 0xfffd
	v_add_co_ci_u32_e64 v44, null, s25, v44, vcc_lo
	v_add_co_u32 v45, vcc_lo, v45, s24
	s_wait_alu 0xfffd
	v_add_co_ci_u32_e64 v46, null, s25, v46, vcc_lo
	v_add_co_u32 v47, vcc_lo, v47, s24
	;; [unrolled: 3-line block ×3, first 2 shown]
	s_add_nc_u64 s[28:29], s[28:29], s[22:23]
	v_mul_f32_e32 v2, v9, v2
	s_wait_alu 0xfffd
	v_add_co_ci_u32_e64 v50, null, s25, v50, vcc_lo
	v_add_co_u32 v51, vcc_lo, v51, s24
	s_wait_alu 0xfffe
	v_cmp_lt_i64_e64 s3, s[28:29], s[4:5]
	s_wait_alu 0xfffd
	v_add_co_ci_u32_e64 v52, null, s25, v52, vcc_lo
	v_add_co_u32 v53, vcc_lo, v53, s24
	v_fmac_f32_e32 v10, v2, v60
	s_wait_alu 0xfffd
	v_add_co_ci_u32_e64 v54, null, s25, v54, vcc_lo
	s_and_b32 vcc_lo, exec_lo, s3
	s_add_nc_u64 s[26:27], s[26:27], s[22:23]
	s_wait_alu 0xfffe
	s_cbranch_vccz .LBB90_50
; %bb.41:                               ;   in Loop: Header=BB90_3 Depth=1
	v_mov_b32_e32 v56, v10
	s_branch .LBB90_3
.LBB90_42:                              ;   in Loop: Header=BB90_3 Depth=1
	v_add_co_u32 v2, vcc_lo, v23, v18
	s_wait_alu 0xfffd
	v_add_co_ci_u32_e64 v3, null, v24, v19, vcc_lo
	v_add_co_u32 v4, vcc_lo, v25, v18
	s_wait_alu 0xfffd
	v_add_co_ci_u32_e64 v5, null, v26, v19, vcc_lo
	global_load_u16 v2, v[2:3], off
	global_load_u16 v10, v[4:5], off
	v_dual_mov_b32 v3, v1 :: v_dual_mov_b32 v4, v1
	v_dual_mov_b32 v5, v1 :: v_dual_mov_b32 v6, v1
	;; [unrolled: 1-line block ×6, first 2 shown]
	v_mov_b32_e32 v15, v1
	v_mov_b32_e32 v17, v1
	s_wait_loadcnt 0x1
	v_cvt_f32_f16_e32 v2, v2
	s_wait_loadcnt 0x0
	v_cvt_f32_f16_e32 v10, v10
	s_wait_alu 0xfffe
	s_or_b32 exec_lo, exec_lo, s3
	s_and_saveexec_b32 s3, s2
	s_cbranch_execz .LBB90_32
.LBB90_43:                              ;   in Loop: Header=BB90_3 Depth=1
	v_add_co_u32 v57, vcc_lo, v51, v18
	s_wait_alu 0xfffd
	v_add_co_ci_u32_e64 v58, null, v52, v19, vcc_lo
	v_add_co_u32 v61, vcc_lo, v53, v18
	s_wait_alu 0xfffd
	v_add_co_ci_u32_e64 v62, null, v54, v19, vcc_lo
	global_load_u16 v3, v[57:58], off
	global_load_u16 v11, v[61:62], off
	s_wait_loadcnt 0x1
	v_cvt_f32_f16_e32 v3, v3
	s_wait_loadcnt 0x0
	v_cvt_f32_f16_e32 v11, v11
	s_wait_alu 0xfffe
	s_or_b32 exec_lo, exec_lo, s3
	s_and_saveexec_b32 s3, s2
	s_cbranch_execz .LBB90_33
.LBB90_44:                              ;   in Loop: Header=BB90_3 Depth=1
	v_add_co_u32 v57, vcc_lo, v47, v18
	s_wait_alu 0xfffd
	v_add_co_ci_u32_e64 v58, null, v48, v19, vcc_lo
	v_add_co_u32 v61, vcc_lo, v49, v18
	s_wait_alu 0xfffd
	v_add_co_ci_u32_e64 v62, null, v50, v19, vcc_lo
	global_load_u16 v4, v[57:58], off
	global_load_u16 v12, v[61:62], off
	s_wait_loadcnt 0x1
	v_cvt_f32_f16_e32 v4, v4
	s_wait_loadcnt 0x0
	v_cvt_f32_f16_e32 v12, v12
	s_wait_alu 0xfffe
	s_or_b32 exec_lo, exec_lo, s3
	s_and_saveexec_b32 s3, s2
	s_cbranch_execz .LBB90_34
.LBB90_45:                              ;   in Loop: Header=BB90_3 Depth=1
	v_add_co_u32 v57, vcc_lo, v43, v18
	s_wait_alu 0xfffd
	v_add_co_ci_u32_e64 v58, null, v44, v19, vcc_lo
	v_add_co_u32 v61, vcc_lo, v45, v18
	s_wait_alu 0xfffd
	v_add_co_ci_u32_e64 v62, null, v46, v19, vcc_lo
	global_load_u16 v5, v[57:58], off
	global_load_u16 v13, v[61:62], off
	s_wait_loadcnt 0x1
	v_cvt_f32_f16_e32 v5, v5
	s_wait_loadcnt 0x0
	v_cvt_f32_f16_e32 v13, v13
	s_wait_alu 0xfffe
	s_or_b32 exec_lo, exec_lo, s3
	s_and_saveexec_b32 s3, s2
	s_cbranch_execz .LBB90_35
.LBB90_46:                              ;   in Loop: Header=BB90_3 Depth=1
	v_add_co_u32 v57, vcc_lo, v39, v18
	s_wait_alu 0xfffd
	v_add_co_ci_u32_e64 v58, null, v40, v19, vcc_lo
	v_add_co_u32 v61, vcc_lo, v41, v18
	s_wait_alu 0xfffd
	v_add_co_ci_u32_e64 v62, null, v42, v19, vcc_lo
	global_load_u16 v6, v[57:58], off
	global_load_u16 v14, v[61:62], off
	s_wait_loadcnt 0x1
	v_cvt_f32_f16_e32 v6, v6
	s_wait_loadcnt 0x0
	v_cvt_f32_f16_e32 v14, v14
	s_wait_alu 0xfffe
	s_or_b32 exec_lo, exec_lo, s3
	s_and_saveexec_b32 s3, s2
	s_cbranch_execz .LBB90_36
.LBB90_47:                              ;   in Loop: Header=BB90_3 Depth=1
	v_add_co_u32 v57, vcc_lo, v35, v18
	s_wait_alu 0xfffd
	v_add_co_ci_u32_e64 v58, null, v36, v19, vcc_lo
	v_add_co_u32 v61, vcc_lo, v37, v18
	s_wait_alu 0xfffd
	v_add_co_ci_u32_e64 v62, null, v38, v19, vcc_lo
	global_load_u16 v7, v[57:58], off
	global_load_u16 v15, v[61:62], off
	s_wait_loadcnt 0x1
	v_cvt_f32_f16_e32 v7, v7
	s_wait_loadcnt 0x0
	v_cvt_f32_f16_e32 v15, v15
	s_wait_alu 0xfffe
	s_or_b32 exec_lo, exec_lo, s3
	s_and_saveexec_b32 s3, s2
	s_cbranch_execz .LBB90_37
.LBB90_48:                              ;   in Loop: Header=BB90_3 Depth=1
	v_add_co_u32 v57, vcc_lo, v31, v18
	s_wait_alu 0xfffd
	v_add_co_ci_u32_e64 v58, null, v32, v19, vcc_lo
	v_add_co_u32 v61, vcc_lo, v33, v18
	s_wait_alu 0xfffd
	v_add_co_ci_u32_e64 v62, null, v34, v19, vcc_lo
	global_load_u16 v8, v[57:58], off
	global_load_u16 v16, v[61:62], off
	s_wait_loadcnt 0x1
	v_cvt_f32_f16_e32 v8, v8
	s_wait_loadcnt 0x0
	v_cvt_f32_f16_e32 v16, v16
	s_wait_alu 0xfffe
	s_or_b32 exec_lo, exec_lo, s3
	s_and_saveexec_b32 s3, s2
	s_cbranch_execnz .LBB90_38
	s_branch .LBB90_39
.LBB90_49:
                                        ; implicit-def: $vgpr10
                                        ; implicit-def: $vgpr55
	s_branch .LBB90_51
.LBB90_50:
	s_cbranch_execnz .LBB90_83
.LBB90_51:
	v_dual_mov_b32 v10, 0 :: v_dual_mov_b32 v55, 0
	s_and_not1_b32 vcc_lo, exec_lo, s31
	s_wait_alu 0xfffe
	s_cbranch_vccnz .LBB90_83
; %bb.52:
	v_bfe_u32 v48, v0, 10, 10
	v_dual_mov_b32 v1, 0 :: v_dual_and_b32 v50, 0x3ff, v0
	s_lshl_b64 s[20:21], s[16:17], 1
	s_mov_b32 s3, 0
	s_delay_alu instid0(VALU_DEP_2) | instskip(SKIP_2) | instid1(VALU_DEP_3)
	v_dual_mov_b32 v84, 0 :: v_dual_lshlrev_b32 v49, 3, v48
	v_dual_mov_b32 v85, 0 :: v_dual_lshlrev_b32 v8, 4, v48
	v_dual_mov_b32 v5, v1 :: v_dual_add_nc_u32 v4, s30, v50
	v_add_co_u32 v10, s2, v49, s16
	s_wait_alu 0xf1ff
	v_add_co_ci_u32_e64 v11, null, 0, 0, s2
	s_delay_alu instid0(VALU_DEP_3) | instskip(NEXT) | instid1(VALU_DEP_3)
	v_lshlrev_b64_e32 v[18:19], 1, v[4:5]
	v_mul_lo_u32 v6, s7, v10
	v_mad_co_u64_u32 v[2:3], null, s6, v10, 0
	s_delay_alu instid0(VALU_DEP_4) | instskip(SKIP_2) | instid1(VALU_DEP_1)
	v_mul_lo_u32 v7, s6, v11
	s_load_b32 s2, s[0:1], 0x44
	s_mov_b32 s19, s3
	v_add3_u32 v3, v3, v7, v6
	v_add_co_u32 v6, s18, v8, s20
	s_wait_alu 0xf1ff
	v_add_co_ci_u32_e64 v7, null, 0, s21, s18
	s_delay_alu instid0(VALU_DEP_3) | instskip(NEXT) | instid1(VALU_DEP_3)
	v_lshlrev_b64_e32 v[4:5], 1, v[2:3]
	v_add_co_u32 v8, vcc_lo, v6, 2
	s_wait_alu 0xfffd
	s_delay_alu instid0(VALU_DEP_3) | instskip(NEXT) | instid1(VALU_DEP_3)
	v_add_co_ci_u32_e64 v9, null, 0, v7, vcc_lo
	v_add_co_u32 v51, vcc_lo, s8, v4
	s_wait_alu 0xfffd
	v_add_co_ci_u32_e64 v52, null, s9, v5, vcc_lo
	v_add_co_u32 v53, vcc_lo, s10, v4
	s_wait_alu 0xfffd
	;; [unrolled: 3-line block ×5, first 2 shown]
	v_add_co_ci_u32_e64 v28, null, 0, v7, vcc_lo
	v_add_co_u32 v42, vcc_lo, v6, 10
	v_mad_co_u64_u32 v[22:23], null, s6, v4, s[8:9]
	v_mul_lo_u32 v5, s6, v5
	v_mul_lo_u32 v15, s7, v4
	v_mad_co_u64_u32 v[36:37], null, s6, v4, s[10:11]
	s_wait_alu 0xfffd
	v_add_co_ci_u32_e64 v30, null, 0, v7, vcc_lo
	v_add_co_u32 v44, vcc_lo, v6, 12
	s_wait_alu 0xfffd
	v_add_co_ci_u32_e64 v32, null, 0, v7, vcc_lo
	v_add_co_u32 v6, vcc_lo, v6, 14
	v_mad_co_u64_u32 v[20:21], null, s6, v8, s[8:9]
	v_mul_lo_u32 v9, s6, v9
	v_mul_lo_u32 v12, s7, v8
	v_mad_co_u64_u32 v[34:35], null, s6, v8, s[10:11]
	s_wait_alu 0xfffd
	v_add_co_ci_u32_e64 v7, null, 0, v7, vcc_lo
	v_add_co_u32 v4, vcc_lo, v10, 7
	v_add3_u32 v23, v15, v23, v5
	v_add3_u32 v37, v15, v37, v5
	s_wait_alu 0xfffd
	v_add_co_ci_u32_e64 v5, null, 0, v11, vcc_lo
	v_mul_lo_u32 v61, s6, v7
	v_add_co_u32 v7, vcc_lo, v10, 6
	v_add3_u32 v21, v12, v21, v9
	v_add3_u32 v35, v12, v35, v9
	s_wait_alu 0xfffd
	v_add_co_ci_u32_e64 v12, null, 0, v11, vcc_lo
	v_mul_lo_u32 v8, s7, v4
	v_mul_lo_u32 v9, s6, v5
	v_mad_co_u64_u32 v[4:5], null, s6, v4, 0
	v_mad_co_u64_u32 v[24:25], null, s6, v13, s[8:9]
	v_mul_lo_u32 v17, s7, v13
	v_mul_lo_u32 v59, s6, v32
	v_mad_co_u64_u32 v[32:33], null, s6, v6, s[8:9]
	v_mul_lo_u32 v62, s7, v6
	v_mad_co_u64_u32 v[38:39], null, s6, v13, s[10:11]
	v_mad_co_u64_u32 v[46:47], null, s6, v6, s[10:11]
	v_mul_lo_u32 v13, s7, v7
	v_mul_lo_u32 v12, s6, v12
	v_mad_co_u64_u32 v[6:7], null, s6, v7, 0
	v_add3_u32 v5, v5, v9, v8
	v_add_co_u32 v8, vcc_lo, v10, 5
	v_mad_co_u64_u32 v[26:27], null, s6, v16, s[8:9]
	v_mul_lo_u32 v55, s6, v28
	v_mul_lo_u32 v56, s7, v16
	v_mad_co_u64_u32 v[40:41], null, s6, v16, s[10:11]
	s_wait_alu 0xfffd
	v_add_co_ci_u32_e64 v9, null, 0, v11, vcc_lo
	v_add3_u32 v7, v7, v12, v13
	v_mad_co_u64_u32 v[28:29], null, s6, v42, s[8:9]
	v_mul_lo_u32 v57, s6, v30
	v_mul_lo_u32 v58, s7, v42
	v_mad_co_u64_u32 v[42:43], null, s6, v42, s[10:11]
	v_lshlrev_b64_e32 v[4:5], 1, v[4:5]
	v_mad_co_u64_u32 v[30:31], null, s6, v44, s[8:9]
	v_mul_lo_u32 v60, s7, v44
	v_mad_co_u64_u32 v[44:45], null, s6, v44, s[10:11]
	v_mul_lo_u32 v12, s7, v8
	v_mul_lo_u32 v13, s6, v9
	v_mad_co_u64_u32 v[8:9], null, s6, v8, 0
	v_lshlrev_b64_e32 v[6:7], 1, v[6:7]
	v_add3_u32 v27, v56, v27, v55
	v_add3_u32 v41, v56, v41, v55
	v_add_co_u32 v56, vcc_lo, s8, v4
	v_add3_u32 v29, v58, v29, v57
	v_add3_u32 v43, v58, v43, v57
	s_wait_alu 0xfffd
	v_add_co_ci_u32_e64 v57, null, s9, v5, vcc_lo
	v_add_co_u32 v58, vcc_lo, s10, v4
	v_add3_u32 v31, v60, v31, v59
	v_add3_u32 v45, v60, v45, v59
	s_wait_alu 0xfffd
	v_add_co_ci_u32_e64 v59, null, s11, v5, vcc_lo
	v_add_co_u32 v60, vcc_lo, s8, v6
	v_mul_lo_u32 v14, s6, v14
	v_add3_u32 v9, v9, v13, v12
	v_add3_u32 v33, v62, v33, v61
	;; [unrolled: 1-line block ×3, first 2 shown]
	s_wait_alu 0xfffd
	v_add_co_ci_u32_e64 v61, null, s9, v7, vcc_lo
	v_add_co_u32 v12, vcc_lo, v10, 4
	s_wait_kmcnt 0x0
	s_lshl_b32 s18, s2, 7
	v_add_co_u32 v62, s2, s10, v6
	s_wait_alu 0xfffd
	v_add_co_ci_u32_e64 v6, null, 0, v11, vcc_lo
	v_lshlrev_b64_e32 v[4:5], 1, v[8:9]
	v_add_co_u32 v8, vcc_lo, v10, 3
	s_wait_alu 0xfffd
	v_add_co_ci_u32_e64 v9, null, 0, v11, vcc_lo
	v_add3_u32 v25, v17, v25, v14
	v_add3_u32 v39, v17, v39, v14
	s_wait_alu 0xf1ff
	v_add_co_ci_u32_e64 v63, null, s11, v7, s2
	v_mul_lo_u32 v13, s7, v12
	v_mul_lo_u32 v14, s6, v6
	v_mad_co_u64_u32 v[6:7], null, s6, v12, 0
	v_mul_lo_u32 v12, s7, v8
	v_mul_lo_u32 v15, s6, v9
	v_mad_co_u64_u32 v[8:9], null, s6, v8, 0
	v_add_co_u32 v64, vcc_lo, s8, v4
	s_wait_alu 0xfffd
	v_add_co_ci_u32_e64 v65, null, s9, v5, vcc_lo
	v_add3_u32 v7, v7, v14, v13
	v_add_co_u32 v66, vcc_lo, s10, v4
	s_wait_alu 0xfffd
	v_add_co_ci_u32_e64 v67, null, s11, v5, vcc_lo
	v_add_co_u32 v10, vcc_lo, v10, 2
	v_add3_u32 v9, v9, v15, v12
	s_wait_alu 0xfffd
	v_add_co_ci_u32_e64 v11, null, 0, v11, vcc_lo
	v_lshlrev_b64_e32 v[4:5], 1, v[6:7]
	v_mul_lo_u32 v12, s7, v10
	v_lshlrev_b64_e32 v[6:7], 1, v[8:9]
	s_delay_alu instid0(VALU_DEP_4)
	v_mul_lo_u32 v11, s6, v11
	v_mad_co_u64_u32 v[8:9], null, s6, v10, 0
	v_add_co_u32 v68, vcc_lo, s8, v4
	s_wait_alu 0xfffd
	v_add_co_ci_u32_e64 v69, null, s9, v5, vcc_lo
	v_add_co_u32 v70, vcc_lo, s10, v4
	s_wait_alu 0xfffd
	v_add_co_ci_u32_e64 v71, null, s11, v5, vcc_lo
	v_add_co_u32 v72, vcc_lo, s8, v6
	s_wait_alu 0xfffd
	v_add_co_ci_u32_e64 v73, null, s9, v7, vcc_lo
	v_add3_u32 v9, v9, v11, v12
	v_add_co_u32 v74, vcc_lo, s10, v6
	s_wait_alu 0xfffd
	v_add_co_ci_u32_e64 v75, null, s11, v7, vcc_lo
	v_add_co_u32 v2, vcc_lo, v2, s6
	s_wait_alu 0xfffd
	v_add_co_ci_u32_e64 v3, null, s7, v3, vcc_lo
	v_lshlrev_b64_e32 v[4:5], 1, v[8:9]
	s_wait_alu 0xfffe
	s_mul_u64 s[20:21], s[6:7], s[18:19]
	s_delay_alu instid0(VALU_DEP_2) | instskip(NEXT) | instid1(VALU_DEP_2)
	v_lshlrev_b64_e32 v[2:3], 1, v[2:3]
	v_add_co_u32 v76, vcc_lo, s8, v4
	s_wait_alu 0xfffd
	v_add_co_ci_u32_e64 v77, null, s9, v5, vcc_lo
	v_add_co_u32 v78, vcc_lo, s10, v4
	s_wait_alu 0xfffd
	v_add_co_ci_u32_e64 v79, null, s11, v5, vcc_lo
	;; [unrolled: 3-line block ×4, first 2 shown]
	s_add_nc_u64 s[8:9], s[0:1], 64
	s_wait_alu 0xfffe
	s_lshl_b64 s[10:11], s[20:21], 1
	s_add_nc_u64 s[20:21], s[16:17], 0x7f
.LBB90_53:                              ; =>This Inner Loop Header: Depth=1
	s_wait_alu 0xfffe
	v_cmp_ge_i64_e64 s2, s[20:21], s[4:5]
	v_add_co_u32 v86, s22, v49, s20
	s_wait_alu 0xf1ff
	v_add_co_ci_u32_e64 v87, null, 0, s21, s22
                                        ; implicit-def: $vgpr55
                                        ; implicit-def: $vgpr10
	s_and_b32 vcc_lo, exec_lo, s2
	s_mov_b32 s2, -1
	s_wait_alu 0xfffe
	s_cbranch_vccz .LBB90_75
; %bb.54:                               ;   in Loop: Header=BB90_53 Depth=1
	s_load_b32 s2, s[8:9], 0xc
	v_dual_mov_b32 v88, 0 :: v_dual_mov_b32 v55, 0
	s_wait_kmcnt 0x0
	s_and_b32 s2, s2, 0xffff
	s_wait_alu 0xfffe
	v_mad_u32_u24 v2, v48, s2, v50
	s_mov_b32 s2, exec_lo
	s_delay_alu instid0(VALU_DEP_1) | instskip(NEXT) | instid1(VALU_DEP_1)
	v_and_b32_e32 v2, 31, v2
	v_cmpx_gt_u32_e32 8, v2
	s_cbranch_execz .LBB90_58
; %bb.55:                               ;   in Loop: Header=BB90_53 Depth=1
	v_add_co_u32 v2, vcc_lo, v86, v2
	s_wait_alu 0xfffd
	v_add_co_ci_u32_e64 v3, null, 0, v87, vcc_lo
	v_dual_mov_b32 v55, 0 :: v_dual_mov_b32 v88, 0
	s_delay_alu instid0(VALU_DEP_3) | instskip(SKIP_1) | instid1(VALU_DEP_3)
	v_add_co_u32 v2, vcc_lo, 0xffffff81, v2
	s_wait_alu 0xfffd
	v_add_co_ci_u32_e64 v3, null, -1, v3, vcc_lo
	s_mov_b32 s22, exec_lo
	v_cmpx_gt_i64_e64 s[4:5], v[2:3]
	s_cbranch_execz .LBB90_57
; %bb.56:                               ;   in Loop: Header=BB90_53 Depth=1
	v_lshlrev_b64_e32 v[2:3], 2, v[2:3]
	s_delay_alu instid0(VALU_DEP_1) | instskip(SKIP_1) | instid1(VALU_DEP_2)
	v_add_co_u32 v4, vcc_lo, s12, v2
	s_wait_alu 0xfffd
	v_add_co_ci_u32_e64 v5, null, s13, v3, vcc_lo
	v_add_co_u32 v2, vcc_lo, s14, v2
	s_wait_alu 0xfffd
	v_add_co_ci_u32_e64 v3, null, s15, v3, vcc_lo
	global_load_b32 v55, v[4:5], off
	global_load_b32 v88, v[2:3], off
.LBB90_57:                              ;   in Loop: Header=BB90_53 Depth=1
	s_wait_alu 0xfffe
	s_or_b32 exec_lo, exec_lo, s22
.LBB90_58:                              ;   in Loop: Header=BB90_53 Depth=1
	s_wait_alu 0xfffe
	s_or_b32 exec_lo, exec_lo, s2
	v_add_co_u32 v9, vcc_lo, 0xffffff81, v86
	s_wait_alu 0xfffd
	v_add_co_ci_u32_e64 v10, null, -1, v87, vcc_lo
	v_mov_b32_e32 v8, v1
	v_dual_mov_b32 v2, v1 :: v_dual_mov_b32 v3, v1
	v_dual_mov_b32 v4, v1 :: v_dual_mov_b32 v5, v1
	;; [unrolled: 1-line block ×3, first 2 shown]
	v_cmp_gt_i64_e32 vcc_lo, s[4:5], v[9:10]
	s_delay_alu instid0(VALU_DEP_3) | instskip(NEXT) | instid1(VALU_DEP_3)
	v_dual_mov_b32 v17, v8 :: v_dual_mov_b32 v14, v5
	v_dual_mov_b32 v15, v6 :: v_dual_mov_b32 v16, v7
	;; [unrolled: 1-line block ×4, first 2 shown]
	v_mov_b32_e32 v9, v8
	v_mov_b32_e32 v8, v7
	;; [unrolled: 1-line block ×8, first 2 shown]
	s_and_saveexec_b32 s2, vcc_lo
	s_cbranch_execz .LBB90_60
; %bb.59:                               ;   in Loop: Header=BB90_53 Depth=1
	v_add_co_u32 v2, vcc_lo, v51, v18
	s_wait_alu 0xfffd
	v_add_co_ci_u32_e64 v3, null, v52, v19, vcc_lo
	v_add_co_u32 v4, vcc_lo, v53, v18
	s_wait_alu 0xfffd
	v_add_co_ci_u32_e64 v5, null, v54, v19, vcc_lo
	global_load_u16 v2, v[2:3], off
	global_load_u16 v10, v[4:5], off
	v_dual_mov_b32 v3, v1 :: v_dual_mov_b32 v4, v1
	v_dual_mov_b32 v5, v1 :: v_dual_mov_b32 v6, v1
	;; [unrolled: 1-line block ×6, first 2 shown]
	v_mov_b32_e32 v15, v1
	v_mov_b32_e32 v17, v1
	s_wait_loadcnt 0x1
	v_cvt_f32_f16_e32 v2, v2
	s_wait_loadcnt 0x0
	v_cvt_f32_f16_e32 v10, v10
.LBB90_60:                              ;   in Loop: Header=BB90_53 Depth=1
	s_wait_alu 0xfffe
	s_or_b32 exec_lo, exec_lo, s2
	v_add_co_u32 v89, vcc_lo, 0xffffff82, v86
	s_wait_alu 0xfffd
	v_add_co_ci_u32_e64 v90, null, -1, v87, vcc_lo
	s_mov_b32 s2, exec_lo
	v_cmpx_gt_i64_e64 s[4:5], v[89:90]
	s_cbranch_execz .LBB90_62
; %bb.61:                               ;   in Loop: Header=BB90_53 Depth=1
	v_add_co_u32 v89, vcc_lo, v80, v18
	s_wait_alu 0xfffd
	v_add_co_ci_u32_e64 v90, null, v81, v19, vcc_lo
	v_add_co_u32 v91, vcc_lo, v82, v18
	s_wait_alu 0xfffd
	v_add_co_ci_u32_e64 v92, null, v83, v19, vcc_lo
	global_load_u16 v3, v[89:90], off
	global_load_u16 v11, v[91:92], off
	s_wait_loadcnt 0x1
	v_cvt_f32_f16_e32 v3, v3
	s_wait_loadcnt 0x0
	v_cvt_f32_f16_e32 v11, v11
.LBB90_62:                              ;   in Loop: Header=BB90_53 Depth=1
	s_wait_alu 0xfffe
	s_or_b32 exec_lo, exec_lo, s2
	v_add_co_u32 v89, vcc_lo, 0xffffff83, v86
	s_wait_alu 0xfffd
	v_add_co_ci_u32_e64 v90, null, -1, v87, vcc_lo
	s_mov_b32 s2, exec_lo
	v_cmpx_gt_i64_e64 s[4:5], v[89:90]
	s_cbranch_execz .LBB90_64
; %bb.63:                               ;   in Loop: Header=BB90_53 Depth=1
	v_add_co_u32 v89, vcc_lo, v76, v18
	s_wait_alu 0xfffd
	v_add_co_ci_u32_e64 v90, null, v77, v19, vcc_lo
	v_add_co_u32 v91, vcc_lo, v78, v18
	s_wait_alu 0xfffd
	v_add_co_ci_u32_e64 v92, null, v79, v19, vcc_lo
	global_load_u16 v4, v[89:90], off
	global_load_u16 v12, v[91:92], off
	s_wait_loadcnt 0x1
	v_cvt_f32_f16_e32 v4, v4
	s_wait_loadcnt 0x0
	v_cvt_f32_f16_e32 v12, v12
.LBB90_64:                              ;   in Loop: Header=BB90_53 Depth=1
	s_wait_alu 0xfffe
	s_or_b32 exec_lo, exec_lo, s2
	v_add_co_u32 v89, vcc_lo, 0xffffff84, v86
	s_wait_alu 0xfffd
	v_add_co_ci_u32_e64 v90, null, -1, v87, vcc_lo
	s_mov_b32 s2, exec_lo
	v_cmpx_gt_i64_e64 s[4:5], v[89:90]
	s_cbranch_execz .LBB90_66
; %bb.65:                               ;   in Loop: Header=BB90_53 Depth=1
	v_add_co_u32 v89, vcc_lo, v72, v18
	s_wait_alu 0xfffd
	v_add_co_ci_u32_e64 v90, null, v73, v19, vcc_lo
	v_add_co_u32 v91, vcc_lo, v74, v18
	s_wait_alu 0xfffd
	v_add_co_ci_u32_e64 v92, null, v75, v19, vcc_lo
	global_load_u16 v5, v[89:90], off
	global_load_u16 v13, v[91:92], off
	s_wait_loadcnt 0x1
	v_cvt_f32_f16_e32 v5, v5
	s_wait_loadcnt 0x0
	v_cvt_f32_f16_e32 v13, v13
.LBB90_66:                              ;   in Loop: Header=BB90_53 Depth=1
	s_wait_alu 0xfffe
	s_or_b32 exec_lo, exec_lo, s2
	v_add_co_u32 v89, vcc_lo, 0xffffff85, v86
	s_wait_alu 0xfffd
	v_add_co_ci_u32_e64 v90, null, -1, v87, vcc_lo
	s_mov_b32 s2, exec_lo
	v_cmpx_gt_i64_e64 s[4:5], v[89:90]
	s_cbranch_execz .LBB90_68
; %bb.67:                               ;   in Loop: Header=BB90_53 Depth=1
	v_add_co_u32 v89, vcc_lo, v68, v18
	s_wait_alu 0xfffd
	v_add_co_ci_u32_e64 v90, null, v69, v19, vcc_lo
	v_add_co_u32 v91, vcc_lo, v70, v18
	s_wait_alu 0xfffd
	v_add_co_ci_u32_e64 v92, null, v71, v19, vcc_lo
	global_load_u16 v6, v[89:90], off
	global_load_u16 v14, v[91:92], off
	s_wait_loadcnt 0x1
	v_cvt_f32_f16_e32 v6, v6
	s_wait_loadcnt 0x0
	v_cvt_f32_f16_e32 v14, v14
.LBB90_68:                              ;   in Loop: Header=BB90_53 Depth=1
	s_wait_alu 0xfffe
	s_or_b32 exec_lo, exec_lo, s2
	v_add_co_u32 v89, vcc_lo, 0xffffff86, v86
	s_wait_alu 0xfffd
	v_add_co_ci_u32_e64 v90, null, -1, v87, vcc_lo
	s_mov_b32 s2, exec_lo
	v_cmpx_gt_i64_e64 s[4:5], v[89:90]
	s_cbranch_execz .LBB90_70
; %bb.69:                               ;   in Loop: Header=BB90_53 Depth=1
	v_add_co_u32 v89, vcc_lo, v64, v18
	s_wait_alu 0xfffd
	v_add_co_ci_u32_e64 v90, null, v65, v19, vcc_lo
	v_add_co_u32 v91, vcc_lo, v66, v18
	s_wait_alu 0xfffd
	v_add_co_ci_u32_e64 v92, null, v67, v19, vcc_lo
	global_load_u16 v7, v[89:90], off
	global_load_u16 v15, v[91:92], off
	s_wait_loadcnt 0x1
	v_cvt_f32_f16_e32 v7, v7
	s_wait_loadcnt 0x0
	v_cvt_f32_f16_e32 v15, v15
.LBB90_70:                              ;   in Loop: Header=BB90_53 Depth=1
	s_wait_alu 0xfffe
	s_or_b32 exec_lo, exec_lo, s2
	v_add_co_u32 v89, vcc_lo, 0xffffff87, v86
	s_wait_alu 0xfffd
	v_add_co_ci_u32_e64 v90, null, -1, v87, vcc_lo
	s_mov_b32 s2, exec_lo
	v_cmpx_gt_i64_e64 s[4:5], v[89:90]
	s_cbranch_execz .LBB90_72
; %bb.71:                               ;   in Loop: Header=BB90_53 Depth=1
	v_add_co_u32 v89, vcc_lo, v60, v18
	s_wait_alu 0xfffd
	v_add_co_ci_u32_e64 v90, null, v61, v19, vcc_lo
	v_add_co_u32 v91, vcc_lo, v62, v18
	s_wait_alu 0xfffd
	v_add_co_ci_u32_e64 v92, null, v63, v19, vcc_lo
	global_load_u16 v8, v[89:90], off
	global_load_u16 v16, v[91:92], off
	s_wait_loadcnt 0x1
	v_cvt_f32_f16_e32 v8, v8
	s_wait_loadcnt 0x0
	v_cvt_f32_f16_e32 v16, v16
.LBB90_72:                              ;   in Loop: Header=BB90_53 Depth=1
	s_wait_alu 0xfffe
	s_or_b32 exec_lo, exec_lo, s2
	v_add_co_u32 v89, vcc_lo, 0xffffff88, v86
	s_wait_alu 0xfffd
	v_add_co_ci_u32_e64 v90, null, -1, v87, vcc_lo
	s_mov_b32 s2, exec_lo
	v_cmpx_gt_i64_e64 s[4:5], v[89:90]
	s_cbranch_execz .LBB90_74
; %bb.73:                               ;   in Loop: Header=BB90_53 Depth=1
	v_add_co_u32 v89, vcc_lo, v56, v18
	s_wait_alu 0xfffd
	v_add_co_ci_u32_e64 v90, null, v57, v19, vcc_lo
	v_add_co_u32 v91, vcc_lo, v58, v18
	s_wait_alu 0xfffd
	v_add_co_ci_u32_e64 v92, null, v59, v19, vcc_lo
	global_load_u16 v9, v[89:90], off
	global_load_u16 v17, v[91:92], off
	s_wait_loadcnt 0x1
	v_cvt_f32_f16_e32 v9, v9
	s_wait_loadcnt 0x0
	v_cvt_f32_f16_e32 v17, v17
.LBB90_74:                              ;   in Loop: Header=BB90_53 Depth=1
	s_wait_alu 0xfffe
	s_or_b32 exec_lo, exec_lo, s2
	s_wait_loadcnt 0x1
	ds_bpermute_b32 v90, v1, v55
	s_wait_loadcnt 0x0
	ds_bpermute_b32 v89, v1, v88
	s_mov_b32 s2, 0
	s_wait_dscnt 0x1
	v_sub_f32_e32 v10, v10, v90
	ds_bpermute_b32 v90, v1, v55 offset:4
	s_wait_dscnt 0x0
	v_sub_f32_e32 v11, v11, v90
	s_delay_alu instid0(VALU_DEP_1) | instskip(NEXT) | instid1(VALU_DEP_1)
	v_dual_mul_f32 v11, v3, v11 :: v_dual_mul_f32 v10, v2, v10
	v_fma_f32 v10, v10, v89, v84
	ds_bpermute_b32 v89, v1, v88 offset:4
	s_wait_dscnt 0x0
	v_fmac_f32_e32 v10, v11, v89
	ds_bpermute_b32 v11, v1, v55 offset:8
	s_wait_dscnt 0x0
	v_dual_sub_f32 v11, v12, v11 :: v_dual_add_f32 v2, v85, v2
	s_delay_alu instid0(VALU_DEP_1) | instskip(SKIP_4) | instid1(VALU_DEP_1)
	v_dual_mul_f32 v11, v4, v11 :: v_dual_add_f32 v2, v3, v2
	ds_bpermute_b32 v3, v1, v88 offset:8
	v_add_f32_e32 v2, v4, v2
	ds_bpermute_b32 v4, v1, v55 offset:12
	v_add_f32_e32 v2, v5, v2
	v_add_f32_e32 v2, v6, v2
	s_delay_alu instid0(VALU_DEP_1)
	v_add_f32_e32 v2, v7, v2
	s_wait_dscnt 0x1
	v_fmac_f32_e32 v10, v11, v3
	ds_bpermute_b32 v3, v1, v88 offset:12
	v_add_f32_e32 v2, v8, v2
	s_wait_dscnt 0x1
	v_sub_f32_e32 v4, v13, v4
	s_delay_alu instid0(VALU_DEP_1) | instskip(SKIP_1) | instid1(VALU_DEP_1)
	v_mul_f32_e32 v4, v5, v4
	s_wait_dscnt 0x0
	v_fmac_f32_e32 v10, v4, v3
	ds_bpermute_b32 v4, v1, v55 offset:16
	ds_bpermute_b32 v3, v1, v88 offset:16
	s_wait_dscnt 0x1
	v_sub_f32_e32 v4, v14, v4
	s_delay_alu instid0(VALU_DEP_1) | instskip(SKIP_1) | instid1(VALU_DEP_1)
	v_mul_f32_e32 v4, v6, v4
	s_wait_dscnt 0x0
	v_fmac_f32_e32 v10, v4, v3
	ds_bpermute_b32 v4, v1, v55 offset:20
	ds_bpermute_b32 v3, v1, v88 offset:20
	;; [unrolled: 8-line block ×4, first 2 shown]
	v_add_f32_e32 v55, v9, v2
	s_wait_dscnt 0x1
	v_sub_f32_e32 v4, v17, v4
	s_delay_alu instid0(VALU_DEP_1) | instskip(SKIP_1) | instid1(VALU_DEP_1)
	v_mul_f32_e32 v4, v9, v4
	s_wait_dscnt 0x0
	v_fmac_f32_e32 v10, v4, v3
.LBB90_75:                              ;   in Loop: Header=BB90_53 Depth=1
	s_wait_alu 0xfffe
	s_and_b32 vcc_lo, exec_lo, s2
	s_wait_alu 0xfffe
	s_cbranch_vccz .LBB90_81
; %bb.76:                               ;   in Loop: Header=BB90_53 Depth=1
	s_load_b32 s2, s[8:9], 0x0
	v_dual_mov_b32 v4, 0 :: v_dual_mov_b32 v5, 0
	s_wait_kmcnt 0x0
	s_cmp_lt_u32 ttmp9, s2
	s_cselect_b32 s2, 12, 18
	s_wait_alu 0xfffe
	s_add_nc_u64 s[22:23], s[8:9], s[2:3]
	s_load_u16 s2, s[22:23], 0x0
	s_wait_kmcnt 0x0
	v_mad_u32_u24 v2, v48, s2, v50
	s_mov_b32 s2, exec_lo
	s_delay_alu instid0(VALU_DEP_1) | instskip(NEXT) | instid1(VALU_DEP_1)
	v_and_b32_e32 v2, 31, v2
	v_cmpx_gt_u32_e32 8, v2
	s_cbranch_execz .LBB90_80
; %bb.77:                               ;   in Loop: Header=BB90_53 Depth=1
	v_add_co_u32 v2, vcc_lo, v86, v2
	s_wait_alu 0xfffd
	v_add_co_ci_u32_e64 v3, null, 0, v87, vcc_lo
	v_dual_mov_b32 v4, 0 :: v_dual_mov_b32 v5, 0
	s_delay_alu instid0(VALU_DEP_3) | instskip(SKIP_1) | instid1(VALU_DEP_3)
	v_add_co_u32 v2, vcc_lo, 0xffffff81, v2
	s_wait_alu 0xfffd
	v_add_co_ci_u32_e64 v3, null, -1, v3, vcc_lo
	s_mov_b32 s22, exec_lo
	v_cmpx_gt_i64_e64 s[4:5], v[2:3]
	s_cbranch_execz .LBB90_79
; %bb.78:                               ;   in Loop: Header=BB90_53 Depth=1
	v_lshlrev_b64_e32 v[2:3], 2, v[2:3]
	s_delay_alu instid0(VALU_DEP_1) | instskip(SKIP_1) | instid1(VALU_DEP_2)
	v_add_co_u32 v4, vcc_lo, s12, v2
	s_wait_alu 0xfffd
	v_add_co_ci_u32_e64 v5, null, s13, v3, vcc_lo
	v_add_co_u32 v2, vcc_lo, s14, v2
	s_wait_alu 0xfffd
	v_add_co_ci_u32_e64 v3, null, s15, v3, vcc_lo
	global_load_b32 v4, v[4:5], off
	global_load_b32 v5, v[2:3], off
.LBB90_79:                              ;   in Loop: Header=BB90_53 Depth=1
	s_wait_alu 0xfffe
	s_or_b32 exec_lo, exec_lo, s22
.LBB90_80:                              ;   in Loop: Header=BB90_53 Depth=1
	s_wait_alu 0xfffe
	s_or_b32 exec_lo, exec_lo, s2
	v_add_co_u32 v2, vcc_lo, v51, v18
	s_wait_alu 0xfffd
	v_add_co_ci_u32_e64 v3, null, v52, v19, vcc_lo
	s_wait_loadcnt 0x1
	ds_bpermute_b32 v88, v1, v4
	global_load_u16 v2, v[2:3], off
	s_wait_loadcnt 0x0
	v_cvt_f32_f16_e32 v6, v2
	v_add_co_u32 v2, vcc_lo, v53, v18
	s_wait_alu 0xfffd
	v_add_co_ci_u32_e64 v3, null, v54, v19, vcc_lo
	global_load_u16 v2, v[2:3], off
	s_wait_loadcnt 0x0
	v_cvt_f32_f16_e32 v7, v2
	v_add_co_u32 v2, vcc_lo, v20, v18
	s_wait_alu 0xfffd
	v_add_co_ci_u32_e64 v3, null, v21, v19, vcc_lo
	;; [unrolled: 6-line block ×15, first 2 shown]
	s_wait_dscnt 0x0
	v_sub_f32_e32 v7, v7, v88
	global_load_u16 v2, v[2:3], off
	ds_bpermute_b32 v3, v1, v5
	s_wait_loadcnt 0x0
	v_cvt_f32_f16_e32 v2, v2
	v_mul_f32_e32 v7, v7, v6
	s_wait_dscnt 0x0
	s_delay_alu instid0(VALU_DEP_1) | instskip(SKIP_3) | instid1(VALU_DEP_1)
	v_dual_fmac_f32 v84, v7, v3 :: v_dual_add_f32 v3, v85, v6
	ds_bpermute_b32 v7, v1, v4 offset:4
	ds_bpermute_b32 v6, v1, v5 offset:4
	v_add_f32_e32 v3, v3, v8
	v_add_f32_e32 v3, v3, v10
	s_delay_alu instid0(VALU_DEP_1) | instskip(NEXT) | instid1(VALU_DEP_1)
	v_add_f32_e32 v3, v3, v12
	v_add_f32_e32 v3, v3, v14
	s_wait_dscnt 0x1
	v_sub_f32_e32 v7, v9, v7
	s_delay_alu instid0(VALU_DEP_2) | instskip(NEXT) | instid1(VALU_DEP_2)
	v_add_f32_e32 v3, v3, v16
	v_mul_f32_e32 v7, v7, v8
	s_delay_alu instid0(VALU_DEP_2) | instskip(SKIP_1) | instid1(VALU_DEP_2)
	v_add_f32_e32 v3, v3, v55
	s_wait_dscnt 0x0
	v_fmac_f32_e32 v84, v7, v6
	ds_bpermute_b32 v7, v1, v4 offset:8
	ds_bpermute_b32 v6, v1, v5 offset:8
	s_wait_dscnt 0x1
	v_sub_f32_e32 v7, v11, v7
	s_delay_alu instid0(VALU_DEP_1) | instskip(SKIP_1) | instid1(VALU_DEP_1)
	v_mul_f32_e32 v7, v7, v10
	s_wait_dscnt 0x0
	v_fmac_f32_e32 v84, v7, v6
	ds_bpermute_b32 v7, v1, v4 offset:12
	ds_bpermute_b32 v6, v1, v5 offset:12
	s_wait_dscnt 0x1
	v_sub_f32_e32 v7, v13, v7
	s_delay_alu instid0(VALU_DEP_1) | instskip(SKIP_1) | instid1(VALU_DEP_1)
	v_mul_f32_e32 v7, v7, v12
	;; [unrolled: 8-line block ×4, first 2 shown]
	s_wait_dscnt 0x0
	v_fmac_f32_e32 v84, v7, v6
	ds_bpermute_b32 v7, v1, v4 offset:24
	ds_bpermute_b32 v4, v1, v4 offset:28
	;; [unrolled: 1-line block ×4, first 2 shown]
	s_wait_dscnt 0x3
	v_sub_f32_e32 v7, v86, v7
	s_wait_dscnt 0x2
	s_delay_alu instid0(VALU_DEP_1) | instskip(NEXT) | instid1(VALU_DEP_1)
	v_dual_sub_f32 v2, v2, v4 :: v_dual_mul_f32 v7, v7, v55
	v_mul_f32_e32 v2, v2, v87
	v_add_f32_e32 v55, v3, v87
	s_wait_dscnt 0x1
	s_delay_alu instid0(VALU_DEP_3) | instskip(SKIP_1) | instid1(VALU_DEP_1)
	v_fmac_f32_e32 v84, v7, v6
	s_wait_dscnt 0x0
	v_fmac_f32_e32 v84, v2, v5
	s_delay_alu instid0(VALU_DEP_1)
	v_mov_b32_e32 v10, v84
.LBB90_81:                              ;   in Loop: Header=BB90_53 Depth=1
	v_add_co_u32 v51, vcc_lo, v51, s10
	s_wait_alu 0xfffd
	v_add_co_ci_u32_e64 v52, null, s11, v52, vcc_lo
	v_add_co_u32 v53, vcc_lo, v53, s10
	s_wait_alu 0xfffd
	v_add_co_ci_u32_e64 v54, null, s11, v54, vcc_lo
	;; [unrolled: 3-line block ×27, first 2 shown]
	v_add_co_u32 v78, vcc_lo, v78, s10
	s_add_nc_u64 s[16:17], s[16:17], s[18:19]
	s_wait_alu 0xfffd
	v_add_co_ci_u32_e64 v79, null, s11, v79, vcc_lo
	v_add_co_u32 v80, vcc_lo, v80, s10
	s_wait_alu 0xfffe
	v_cmp_ge_i64_e64 s2, s[16:17], s[4:5]
	s_wait_alu 0xfffd
	v_add_co_ci_u32_e64 v81, null, s11, v81, vcc_lo
	v_add_co_u32 v82, vcc_lo, v82, s10
	s_wait_alu 0xfffd
	v_add_co_ci_u32_e64 v83, null, s11, v83, vcc_lo
	s_and_b32 vcc_lo, exec_lo, s2
	s_add_nc_u64 s[20:21], s[20:21], s[18:19]
	s_wait_alu 0xfffe
	s_cbranch_vccnz .LBB90_83
; %bb.82:                               ;   in Loop: Header=BB90_53 Depth=1
	v_dual_mov_b32 v85, v55 :: v_dual_mov_b32 v84, v10
	s_branch .LBB90_53
.LBB90_83:
	v_and_b32_e32 v7, 0x3ff, v0
	v_bfe_u32 v1, v0, 10, 10
	v_bfe_u32 v0, v0, 5, 5
	s_mov_b32 s2, exec_lo
	s_delay_alu instid0(VALU_DEP_2) | instskip(NEXT) | instid1(VALU_DEP_2)
	v_mad_u32_u24 v3, v1, 33, v7
	v_add_nc_u32_e32 v2, v0, v1
	s_delay_alu instid0(VALU_DEP_2)
	v_lshl_add_u32 v0, v3, 2, 0
	ds_store_b32 v0, v10
	ds_store_b32 v0, v55 offset:2112
	s_wait_dscnt 0x0
	s_barrier_signal -1
	s_barrier_wait -1
	global_inv scope:SCOPE_SE
	v_cmpx_gt_u32_e32 32, v2
	s_cbranch_execz .LBB90_99
; %bb.84:
	s_load_b128 s[8:11], s[0:1], 0x30
	v_and_b32_e32 v0, 31, v7
                                        ; implicit-def: $vgpr1
	s_delay_alu instid0(VALU_DEP_1)
	v_cmp_gt_u32_e64 s0, 16, v0
	v_mul_u32_u24_e32 v3, 33, v0
                                        ; implicit-def: $vgpr0
	s_and_saveexec_b32 s1, s0
	s_cbranch_execz .LBB90_86
; %bb.85:
	s_delay_alu instid0(VALU_DEP_1) | instskip(NEXT) | instid1(VALU_DEP_1)
	v_add_nc_u32_e32 v0, v2, v3
	v_lshl_add_u32 v0, v0, 2, 0
	ds_load_b32 v1, v0
	ds_load_b32 v0, v0 offset:2112
.LBB90_86:
	s_or_b32 exec_lo, exec_lo, s1
	v_mbcnt_lo_u32_b32 v8, -1, 0
	s_mov_b32 s2, ttmp9
	s_mov_b32 s3, 0
	v_cmp_eq_u32_e64 s1, 0, v7
	s_wait_alu 0xfffe
	s_lshl_b64 s[2:3], s[2:3], 5
	v_xor_b32_e32 v4, 8, v8
	v_xor_b32_e32 v5, 4, v8
	;; [unrolled: 1-line block ×3, first 2 shown]
	s_wait_kmcnt 0x0
	s_cmp_lg_u64 s[8:9], 0
	s_cselect_b32 s5, -1, 0
	v_cmp_gt_i32_e32 vcc_lo, 32, v4
	s_cmp_lg_u64 s[10:11], 0
	s_cselect_b32 s4, -1, 0
	s_wait_alu 0xfffd
	v_cndmask_b32_e32 v4, v8, v4, vcc_lo
	v_cmp_gt_i32_e32 vcc_lo, 32, v5
	s_wait_alu 0xfffd
	v_cndmask_b32_e32 v5, v8, v5, vcc_lo
	s_delay_alu instid0(VALU_DEP_1)
	v_lshlrev_b32_e32 v5, 2, v5
	v_lshlrev_b32_e32 v4, 2, v4
	s_wait_dscnt 0x1
	ds_bpermute_b32 v6, v4, v1
	s_wait_dscnt 0x0
	v_add_f32_e32 v1, v1, v6
	ds_bpermute_b32 v9, v4, v0
	v_xor_b32_e32 v6, 2, v8
	s_delay_alu instid0(VALU_DEP_1)
	v_cmp_gt_i32_e32 vcc_lo, 32, v6
	s_wait_dscnt 0x0
	v_add_f32_e32 v0, v0, v9
	ds_bpermute_b32 v9, v5, v1
	s_wait_alu 0xfffd
	v_cndmask_b32_e32 v6, v8, v6, vcc_lo
	v_cmp_gt_i32_e32 vcc_lo, 32, v11
	s_wait_dscnt 0x0
	s_delay_alu instid0(VALU_DEP_2)
	v_dual_add_f32 v1, v1, v9 :: v_dual_lshlrev_b32 v6, 2, v6
	ds_bpermute_b32 v9, v6, v1
	s_wait_dscnt 0x0
	s_wait_alu 0xfffd
	v_dual_cndmask_b32 v8, v8, v11 :: v_dual_add_f32 v9, v1, v9
	s_wait_alu 0xfffe
	s_delay_alu instid0(VALU_DEP_1)
	v_dual_mov_b32 v1, s3 :: v_dual_lshlrev_b32 v8, 2, v8
	ds_bpermute_b32 v10, v5, v0
	ds_bpermute_b32 v11, v8, v9
	s_wait_dscnt 0x0
	v_dual_add_f32 v0, v0, v10 :: v_dual_add_f32 v7, v9, v11
	ds_bpermute_b32 v10, v6, v0
	s_wait_dscnt 0x0
	v_add_f32_e32 v10, v0, v10
	v_or_b32_e32 v0, s2, v2
	ds_bpermute_b32 v12, v8, v10
	v_cmp_gt_i64_e32 vcc_lo, s[6:7], v[0:1]
	s_and_b32 s13, s1, vcc_lo
	s_wait_dscnt 0x0
	v_add_f32_e32 v9, v10, v12
	s_wait_alu 0xfffe
	s_and_saveexec_b32 s12, s13
	s_cbranch_execz .LBB90_91
; %bb.87:
	v_lshlrev_b64_e32 v[0:1], 1, v[0:1]
	s_and_not1_b32 vcc_lo, exec_lo, s5
	s_wait_alu 0xfffe
	s_cbranch_vccnz .LBB90_89
; %bb.88:
	s_delay_alu instid0(VALU_DEP_1)
	v_add_co_u32 v10, vcc_lo, s8, v0
	s_wait_alu 0xfffd
	v_add_co_ci_u32_e64 v11, null, s9, v1, vcc_lo
	v_cvt_f16_f32_e32 v12, v7
	global_store_b16 v[10:11], v12, off
.LBB90_89:
	s_and_not1_b32 vcc_lo, exec_lo, s4
	s_wait_alu 0xfffe
	s_cbranch_vccnz .LBB90_91
; %bb.90:
	v_add_co_u32 v0, vcc_lo, s10, v0
	s_wait_alu 0xfffd
	v_add_co_ci_u32_e64 v1, null, s11, v1, vcc_lo
	v_cvt_f16_f32_e32 v10, v9
	global_store_b16 v[0:1], v10, off
.LBB90_91:
	s_wait_alu 0xfffe
	s_or_b32 exec_lo, exec_lo, s12
	v_cmp_gt_u32_e32 vcc_lo, 16, v2
	s_and_b32 exec_lo, exec_lo, vcc_lo
	s_cbranch_execz .LBB90_99
; %bb.92:
	s_and_saveexec_b32 s12, s0
	s_cbranch_execz .LBB90_94
; %bb.93:
	v_add_nc_u32_e32 v0, v2, v3
	s_delay_alu instid0(VALU_DEP_1)
	v_lshl_add_u32 v0, v0, 2, 0
	ds_load_b32 v7, v0 offset:64
	ds_load_b32 v9, v0 offset:2176
.LBB90_94:
	s_wait_alu 0xfffe
	s_or_b32 exec_lo, exec_lo, s12
	s_wait_dscnt 0x1
	ds_bpermute_b32 v0, v4, v7
	s_wait_dscnt 0x1
	ds_bpermute_b32 v1, v4, v9
	s_wait_dscnt 0x0
	v_dual_add_f32 v0, v7, v0 :: v_dual_add_f32 v1, v9, v1
	ds_bpermute_b32 v3, v5, v0
	ds_bpermute_b32 v4, v5, v1
	s_wait_dscnt 0x1
	v_dual_add_f32 v0, v0, v3 :: v_dual_add_nc_u32 v5, 16, v2
	s_wait_dscnt 0x0
	v_add_f32_e32 v1, v1, v4
	ds_bpermute_b32 v3, v6, v0
	ds_bpermute_b32 v4, v6, v1
	v_mov_b32_e32 v6, s3
	v_or_b32_e32 v5, s2, v5
	s_delay_alu instid0(VALU_DEP_1)
	v_cmp_gt_i64_e32 vcc_lo, s[6:7], v[5:6]
	s_and_b32 s0, s1, vcc_lo
	s_wait_dscnt 0x0
	v_dual_add_f32 v3, v0, v3 :: v_dual_add_f32 v0, v1, v4
	ds_bpermute_b32 v4, v8, v3
	ds_bpermute_b32 v1, v8, v0
	s_and_b32 exec_lo, exec_lo, s0
	s_cbranch_execz .LBB90_99
; %bb.95:
	s_and_not1_b32 vcc_lo, exec_lo, s5
	s_wait_alu 0xfffe
	s_cbranch_vccnz .LBB90_97
; %bb.96:
	v_add_co_u32 v5, s0, s2, v2
	s_delay_alu instid0(VALU_DEP_1) | instskip(SKIP_2) | instid1(VALU_DEP_2)
	v_add_co_ci_u32_e64 v6, null, s3, 0, s0
	s_wait_dscnt 0x1
	v_add_f32_e32 v7, v3, v4
	v_lshlrev_b64_e32 v[5:6], 1, v[5:6]
	s_delay_alu instid0(VALU_DEP_1) | instskip(SKIP_1) | instid1(VALU_DEP_2)
	v_add_co_u32 v3, vcc_lo, s8, v5
	s_wait_alu 0xfffd
	v_add_co_ci_u32_e64 v4, null, s9, v6, vcc_lo
	v_cvt_f16_f32_e32 v5, v7
	global_store_b16 v[3:4], v5, off offset:32
.LBB90_97:
	s_and_not1_b32 vcc_lo, exec_lo, s4
	s_wait_alu 0xfffe
	s_cbranch_vccnz .LBB90_99
; %bb.98:
	v_add_co_u32 v2, s0, s2, v2
	s_wait_alu 0xf1ff
	v_add_co_ci_u32_e64 v3, null, s3, 0, s0
	s_wait_dscnt 0x0
	v_add_f32_e32 v4, v0, v1
	s_delay_alu instid0(VALU_DEP_2) | instskip(NEXT) | instid1(VALU_DEP_1)
	v_lshlrev_b64_e32 v[2:3], 1, v[2:3]
	v_add_co_u32 v0, vcc_lo, s10, v2
	s_wait_alu 0xfffd
	s_delay_alu instid0(VALU_DEP_2)
	v_add_co_ci_u32_e64 v1, null, s11, v3, vcc_lo
	v_cvt_f16_f32_e32 v2, v4
	global_store_b16 v[0:1], v2, off offset:32
.LBB90_99:
	s_endpgm
	.section	.rodata,"a",@progbits
	.p2align	6, 0x0
	.amdhsa_kernel _ZN2at6native12_GLOBAL__N_135GammaBetaBackwardCUDAKernelTemplateIN3c104HalfEfLj32ELj16ELj128ELb0ELb0ELb0EEEvllPKT_S7_PKT0_SA_PS5_SB_
		.amdhsa_group_segment_fixed_size 0
		.amdhsa_private_segment_fixed_size 0
		.amdhsa_kernarg_size 320
		.amdhsa_user_sgpr_count 2
		.amdhsa_user_sgpr_dispatch_ptr 0
		.amdhsa_user_sgpr_queue_ptr 0
		.amdhsa_user_sgpr_kernarg_segment_ptr 1
		.amdhsa_user_sgpr_dispatch_id 0
		.amdhsa_user_sgpr_private_segment_size 0
		.amdhsa_wavefront_size32 1
		.amdhsa_uses_dynamic_stack 0
		.amdhsa_enable_private_segment 0
		.amdhsa_system_sgpr_workgroup_id_x 1
		.amdhsa_system_sgpr_workgroup_id_y 1
		.amdhsa_system_sgpr_workgroup_id_z 0
		.amdhsa_system_sgpr_workgroup_info 0
		.amdhsa_system_vgpr_workitem_id 1
		.amdhsa_next_free_vgpr 93
		.amdhsa_next_free_sgpr 36
		.amdhsa_reserve_vcc 1
		.amdhsa_float_round_mode_32 0
		.amdhsa_float_round_mode_16_64 0
		.amdhsa_float_denorm_mode_32 3
		.amdhsa_float_denorm_mode_16_64 3
		.amdhsa_fp16_overflow 0
		.amdhsa_workgroup_processor_mode 1
		.amdhsa_memory_ordered 1
		.amdhsa_forward_progress 1
		.amdhsa_inst_pref_size 85
		.amdhsa_round_robin_scheduling 0
		.amdhsa_exception_fp_ieee_invalid_op 0
		.amdhsa_exception_fp_denorm_src 0
		.amdhsa_exception_fp_ieee_div_zero 0
		.amdhsa_exception_fp_ieee_overflow 0
		.amdhsa_exception_fp_ieee_underflow 0
		.amdhsa_exception_fp_ieee_inexact 0
		.amdhsa_exception_int_div_zero 0
	.end_amdhsa_kernel
	.section	.text._ZN2at6native12_GLOBAL__N_135GammaBetaBackwardCUDAKernelTemplateIN3c104HalfEfLj32ELj16ELj128ELb0ELb0ELb0EEEvllPKT_S7_PKT0_SA_PS5_SB_,"axG",@progbits,_ZN2at6native12_GLOBAL__N_135GammaBetaBackwardCUDAKernelTemplateIN3c104HalfEfLj32ELj16ELj128ELb0ELb0ELb0EEEvllPKT_S7_PKT0_SA_PS5_SB_,comdat
.Lfunc_end90:
	.size	_ZN2at6native12_GLOBAL__N_135GammaBetaBackwardCUDAKernelTemplateIN3c104HalfEfLj32ELj16ELj128ELb0ELb0ELb0EEEvllPKT_S7_PKT0_SA_PS5_SB_, .Lfunc_end90-_ZN2at6native12_GLOBAL__N_135GammaBetaBackwardCUDAKernelTemplateIN3c104HalfEfLj32ELj16ELj128ELb0ELb0ELb0EEEvllPKT_S7_PKT0_SA_PS5_SB_
                                        ; -- End function
	.set _ZN2at6native12_GLOBAL__N_135GammaBetaBackwardCUDAKernelTemplateIN3c104HalfEfLj32ELj16ELj128ELb0ELb0ELb0EEEvllPKT_S7_PKT0_SA_PS5_SB_.num_vgpr, 93
	.set _ZN2at6native12_GLOBAL__N_135GammaBetaBackwardCUDAKernelTemplateIN3c104HalfEfLj32ELj16ELj128ELb0ELb0ELb0EEEvllPKT_S7_PKT0_SA_PS5_SB_.num_agpr, 0
	.set _ZN2at6native12_GLOBAL__N_135GammaBetaBackwardCUDAKernelTemplateIN3c104HalfEfLj32ELj16ELj128ELb0ELb0ELb0EEEvllPKT_S7_PKT0_SA_PS5_SB_.numbered_sgpr, 36
	.set _ZN2at6native12_GLOBAL__N_135GammaBetaBackwardCUDAKernelTemplateIN3c104HalfEfLj32ELj16ELj128ELb0ELb0ELb0EEEvllPKT_S7_PKT0_SA_PS5_SB_.num_named_barrier, 0
	.set _ZN2at6native12_GLOBAL__N_135GammaBetaBackwardCUDAKernelTemplateIN3c104HalfEfLj32ELj16ELj128ELb0ELb0ELb0EEEvllPKT_S7_PKT0_SA_PS5_SB_.private_seg_size, 0
	.set _ZN2at6native12_GLOBAL__N_135GammaBetaBackwardCUDAKernelTemplateIN3c104HalfEfLj32ELj16ELj128ELb0ELb0ELb0EEEvllPKT_S7_PKT0_SA_PS5_SB_.uses_vcc, 1
	.set _ZN2at6native12_GLOBAL__N_135GammaBetaBackwardCUDAKernelTemplateIN3c104HalfEfLj32ELj16ELj128ELb0ELb0ELb0EEEvllPKT_S7_PKT0_SA_PS5_SB_.uses_flat_scratch, 0
	.set _ZN2at6native12_GLOBAL__N_135GammaBetaBackwardCUDAKernelTemplateIN3c104HalfEfLj32ELj16ELj128ELb0ELb0ELb0EEEvllPKT_S7_PKT0_SA_PS5_SB_.has_dyn_sized_stack, 0
	.set _ZN2at6native12_GLOBAL__N_135GammaBetaBackwardCUDAKernelTemplateIN3c104HalfEfLj32ELj16ELj128ELb0ELb0ELb0EEEvllPKT_S7_PKT0_SA_PS5_SB_.has_recursion, 0
	.set _ZN2at6native12_GLOBAL__N_135GammaBetaBackwardCUDAKernelTemplateIN3c104HalfEfLj32ELj16ELj128ELb0ELb0ELb0EEEvllPKT_S7_PKT0_SA_PS5_SB_.has_indirect_call, 0
	.section	.AMDGPU.csdata,"",@progbits
; Kernel info:
; codeLenInByte = 10848
; TotalNumSgprs: 38
; NumVgprs: 93
; ScratchSize: 0
; MemoryBound: 0
; FloatMode: 240
; IeeeMode: 1
; LDSByteSize: 0 bytes/workgroup (compile time only)
; SGPRBlocks: 0
; VGPRBlocks: 11
; NumSGPRsForWavesPerEU: 38
; NumVGPRsForWavesPerEU: 93
; Occupancy: 16
; WaveLimiterHint : 0
; COMPUTE_PGM_RSRC2:SCRATCH_EN: 0
; COMPUTE_PGM_RSRC2:USER_SGPR: 2
; COMPUTE_PGM_RSRC2:TRAP_HANDLER: 0
; COMPUTE_PGM_RSRC2:TGID_X_EN: 1
; COMPUTE_PGM_RSRC2:TGID_Y_EN: 1
; COMPUTE_PGM_RSRC2:TGID_Z_EN: 0
; COMPUTE_PGM_RSRC2:TIDIG_COMP_CNT: 1
	.section	.text._ZN2at6native12_GLOBAL__N_135GammaBetaBackwardCUDAKernelTemplateIN3c104HalfEfLj32ELj32ELj256ELb0ELb1ELb0EEEvllPKT_S7_PKT0_SA_PS5_SB_,"axG",@progbits,_ZN2at6native12_GLOBAL__N_135GammaBetaBackwardCUDAKernelTemplateIN3c104HalfEfLj32ELj32ELj256ELb0ELb1ELb0EEEvllPKT_S7_PKT0_SA_PS5_SB_,comdat
	.globl	_ZN2at6native12_GLOBAL__N_135GammaBetaBackwardCUDAKernelTemplateIN3c104HalfEfLj32ELj32ELj256ELb0ELb1ELb0EEEvllPKT_S7_PKT0_SA_PS5_SB_ ; -- Begin function _ZN2at6native12_GLOBAL__N_135GammaBetaBackwardCUDAKernelTemplateIN3c104HalfEfLj32ELj32ELj256ELb0ELb1ELb0EEEvllPKT_S7_PKT0_SA_PS5_SB_
	.p2align	8
	.type	_ZN2at6native12_GLOBAL__N_135GammaBetaBackwardCUDAKernelTemplateIN3c104HalfEfLj32ELj32ELj256ELb0ELb1ELb0EEEvllPKT_S7_PKT0_SA_PS5_SB_,@function
_ZN2at6native12_GLOBAL__N_135GammaBetaBackwardCUDAKernelTemplateIN3c104HalfEfLj32ELj32ELj256ELb0ELb1ELb0EEEvllPKT_S7_PKT0_SA_PS5_SB_: ; @_ZN2at6native12_GLOBAL__N_135GammaBetaBackwardCUDAKernelTemplateIN3c104HalfEfLj32ELj32ELj256ELb0ELb1ELb0EEEvllPKT_S7_PKT0_SA_PS5_SB_
; %bb.0:
	s_load_b128 s[16:19], s[0:1], 0x0
	s_lshl_b32 s2, ttmp7, 8
	s_mov_b32 s3, 0
	v_bfe_u32 v7, v0, 10, 10
	s_wait_kmcnt 0x0
	v_cmp_gt_i64_e64 s4, s[16:17], s[2:3]
	s_and_b32 vcc_lo, exec_lo, s4
	s_cbranch_vccnz .LBB91_2
; %bb.1:
	v_bfe_u32 v1, v0, 10, 10
	s_mov_b32 s4, s3
	s_branch .LBB91_3
.LBB91_2:
	s_mov_b32 s4, -1
                                        ; implicit-def: $vgpr1
.LBB91_3:
	s_load_b128 s[12:15], s[0:1], 0x30
	v_dual_mov_b32 v17, 0 :: v_dual_and_b32 v6, 0x3ff, v0
	v_mov_b32_e32 v0, 0
	s_and_not1_b32 vcc_lo, exec_lo, s4
	s_cbranch_vccnz .LBB91_11
; %bb.4:
	s_load_b32 s20, s[0:1], 0x4c
	v_dual_mov_b32 v1, 0 :: v_dual_lshlrev_b32 v0, 3, v7
	s_clause 0x1
	s_load_b32 s22, s[0:1], 0x44
	s_load_b256 s[4:11], s[0:1], 0x10
	s_mov_b32 s21, 0
	v_dual_mov_b32 v8, 4 :: v_dual_mov_b32 v9, 8
	v_add_co_u32 v2, s0, v0, s2
	s_delay_alu instid0(VALU_DEP_1) | instskip(SKIP_1) | instid1(VALU_DEP_3)
	v_add_co_ci_u32_e64 v3, null, 0, 0, s0
	v_lshl_add_u32 v0, ttmp9, 5, v6
	v_mul_lo_u32 v14, s19, v2
	v_mad_co_u64_u32 v[4:5], null, s18, v2, 0
	s_delay_alu instid0(VALU_DEP_4) | instskip(NEXT) | instid1(VALU_DEP_4)
	v_mul_lo_u32 v17, s18, v3
	v_lshlrev_b64_e32 v[15:16], 1, v[0:1]
	v_dual_mov_b32 v10, 12 :: v_dual_mov_b32 v11, 16
	v_mov_b32_e32 v0, 0
	s_wait_kmcnt 0x0
	s_and_b32 s0, s20, 0xffff
	s_wait_alu 0xfffe
	v_mad_u32_u24 v13, v7, s0, v6
	v_mov_b32_e32 v12, 20
	v_add3_u32 v5, v5, v17, v14
	s_lshl_b32 s20, s22, 8
	s_delay_alu instid0(VALU_DEP_3) | instskip(SKIP_1) | instid1(VALU_DEP_3)
	v_dual_mov_b32 v14, 28 :: v_dual_and_b32 v19, 31, v13
	v_mov_b32_e32 v13, 24
	v_lshlrev_b64_e32 v[17:18], 1, v[4:5]
	s_mul_u64 s[24:25], s[18:19], s[20:21]
	s_lshl_b64 s[22:23], s[20:21], 2
	v_add_co_u32 v2, vcc_lo, v2, v19
	s_delay_alu instid0(VALU_DEP_1) | instskip(NEXT) | instid1(VALU_DEP_3)
	v_add_co_ci_u32_e64 v3, null, 0, v3, vcc_lo
	v_add_co_u32 v15, vcc_lo, v17, v15
	v_cmp_gt_u32_e64 s0, 8, v19
	s_delay_alu instid0(VALU_DEP_3)
	v_lshlrev_b64_e32 v[4:5], 2, v[2:3]
	s_wait_alu 0xfffd
	v_add_co_ci_u32_e64 v16, null, v18, v16, vcc_lo
	v_mov_b32_e32 v17, 0
	s_lshl_b64 s[24:25], s[24:25], 1
	s_lshl_b64 s[18:19], s[18:19], 1
	s_branch .LBB91_7
.LBB91_5:                               ;   in Loop: Header=BB91_7 Depth=1
	s_or_b32 exec_lo, exec_lo, s26
.LBB91_6:                               ;   in Loop: Header=BB91_7 Depth=1
	s_wait_alu 0xfffe
	s_or_b32 exec_lo, exec_lo, s1
	v_add_co_u32 v20, vcc_lo, s4, v15
	s_wait_alu 0xfffd
	v_add_co_ci_u32_e64 v21, null, s5, v16, vcc_lo
	v_add_co_u32 v22, vcc_lo, s6, v15
	s_wait_alu 0xfffd
	v_add_co_ci_u32_e64 v23, null, s7, v16, vcc_lo
	;; [unrolled: 3-line block ×5, first 2 shown]
	global_load_u16 v30, v[20:21], off
	global_load_u16 v31, v[22:23], off
	;; [unrolled: 1-line block ×5, first 2 shown]
	v_add_co_u32 v20, vcc_lo, v26, s18
	s_wait_alu 0xfffd
	v_add_co_ci_u32_e64 v21, null, s19, v27, vcc_lo
	v_add_co_u32 v22, vcc_lo, v28, s18
	s_wait_alu 0xfffd
	v_add_co_ci_u32_e64 v23, null, s19, v29, vcc_lo
	;; [unrolled: 3-line block ×5, first 2 shown]
	global_load_u16 v35, v[20:21], off
	global_load_u16 v36, v[22:23], off
	;; [unrolled: 1-line block ×5, first 2 shown]
	v_add_co_u32 v20, vcc_lo, v26, s18
	s_wait_alu 0xfffd
	v_add_co_ci_u32_e64 v21, null, s19, v27, vcc_lo
	v_add_co_u32 v22, vcc_lo, v28, s18
	s_wait_alu 0xfffd
	v_add_co_ci_u32_e64 v23, null, s19, v29, vcc_lo
	;; [unrolled: 3-line block ×4, first 2 shown]
	global_load_u16 v28, v[20:21], off
	global_load_u16 v29, v[22:23], off
	;; [unrolled: 1-line block ×4, first 2 shown]
	v_add_co_u32 v20, vcc_lo, v26, s18
	s_wait_alu 0xfffd
	v_add_co_ci_u32_e64 v21, null, s19, v27, vcc_lo
	v_add_co_u32 v22, vcc_lo, v24, s18
	s_wait_alu 0xfffd
	v_add_co_ci_u32_e64 v23, null, s19, v25, vcc_lo
	global_load_u16 v20, v[20:21], off
	global_load_u16 v21, v[22:23], off
	s_wait_loadcnt 0x11
	ds_bpermute_b32 v22, v1, v18
	ds_bpermute_b32 v25, v8, v18
	s_wait_loadcnt 0x10
	ds_bpermute_b32 v23, v1, v19
	ds_bpermute_b32 v27, v9, v18
	;; [unrolled: 1-line block ×14, first 2 shown]
	v_add_co_u32 v4, vcc_lo, v4, s22
	s_add_nc_u64 s[2:3], s[2:3], s[20:21]
	s_wait_alu 0xfffd
	v_add_co_ci_u32_e64 v5, null, s23, v5, vcc_lo
	v_add_co_u32 v2, vcc_lo, v2, s20
	s_wait_alu 0xfffe
	v_cmp_lt_i64_e64 s1, s[2:3], s[16:17]
	s_wait_alu 0xfffd
	v_add_co_ci_u32_e64 v3, null, 0, v3, vcc_lo
	v_add_co_u32 v15, vcc_lo, v15, s24
	s_wait_alu 0xfffd
	v_add_co_ci_u32_e64 v16, null, s25, v16, vcc_lo
	s_and_b32 vcc_lo, exec_lo, s1
	s_wait_loadcnt 0xf
	v_cvt_f32_f16_e32 v30, v30
	s_wait_loadcnt 0xe
	v_cvt_f32_f16_e32 v31, v31
	;; [unrolled: 2-line block ×3, first 2 shown]
	s_wait_dscnt 0xf
	s_delay_alu instid0(VALU_DEP_2)
	v_sub_f32_e32 v22, v31, v22
	v_cvt_f32_f16_e32 v31, v32
	s_wait_dscnt 0xe
	v_sub_f32_e32 v25, v33, v25
	s_wait_loadcnt 0xa
	v_cvt_f32_f16_e32 v32, v35
	v_mul_f32_e32 v22, v22, v30
	v_add_f32_e32 v17, v17, v30
	v_cvt_f32_f16_e32 v30, v34
	s_wait_dscnt 0xd
	s_delay_alu instid0(VALU_DEP_3)
	v_fmac_f32_e32 v0, v22, v23
	v_mul_f32_e32 v22, v25, v31
	s_wait_dscnt 0xc
	v_sub_f32_e32 v23, v32, v27
	s_wait_loadcnt 0x8
	v_cvt_f32_f16_e32 v25, v37
	v_add_f32_e32 v17, v17, v31
	v_cvt_f32_f16_e32 v27, v36
	s_wait_dscnt 0xb
	v_fmac_f32_e32 v0, v22, v24
	s_wait_dscnt 0xa
	v_dual_mul_f32 v22, v23, v30 :: v_dual_sub_f32 v23, v25, v43
	s_wait_loadcnt 0x6
	v_cvt_f32_f16_e32 v24, v39
	v_add_f32_e32 v17, v17, v30
	v_cvt_f32_f16_e32 v25, v38
	s_wait_dscnt 0x9
	v_fmac_f32_e32 v0, v22, v26
	s_wait_dscnt 0x8
	v_dual_mul_f32 v22, v23, v27 :: v_dual_sub_f32 v23, v24, v45
	s_wait_loadcnt 0x4
	v_cvt_f32_f16_e32 v24, v29
	v_add_f32_e32 v17, v17, v27
	v_cvt_f32_f16_e32 v26, v28
	s_wait_dscnt 0x7
	s_delay_alu instid0(VALU_DEP_2)
	v_dual_fmac_f32 v0, v22, v42 :: v_dual_add_f32 v17, v17, v25
	s_wait_dscnt 0x6
	v_dual_mul_f32 v22, v23, v25 :: v_dual_sub_f32 v23, v24, v47
	s_wait_loadcnt 0x2
	v_cvt_f32_f16_e32 v24, v41
	v_cvt_f32_f16_e32 v25, v40
	s_wait_loadcnt 0x1
	v_cvt_f32_f16_e32 v20, v20
	s_wait_dscnt 0x5
	v_dual_add_f32 v17, v17, v26 :: v_dual_fmac_f32 v0, v22, v44
	s_wait_dscnt 0x4
	v_dual_mul_f32 v22, v23, v26 :: v_dual_sub_f32 v23, v24, v49
	s_wait_loadcnt 0x0
	v_cvt_f32_f16_e32 v21, v21
	s_wait_dscnt 0x2
	v_dual_add_f32 v17, v17, v25 :: v_dual_sub_f32 v18, v20, v18
	v_fmac_f32_e32 v0, v22, v46
	v_mul_f32_e32 v22, v23, v25
	s_delay_alu instid0(VALU_DEP_3) | instskip(NEXT) | instid1(VALU_DEP_4)
	v_add_f32_e32 v17, v17, v21
	v_mul_f32_e32 v18, v18, v21
	s_wait_dscnt 0x1
	s_delay_alu instid0(VALU_DEP_3) | instskip(SKIP_1) | instid1(VALU_DEP_1)
	v_fmac_f32_e32 v0, v22, v48
	s_wait_dscnt 0x0
	v_fmac_f32_e32 v0, v18, v19
	s_wait_alu 0xfffe
	s_cbranch_vccz .LBB91_10
.LBB91_7:                               ; =>This Inner Loop Header: Depth=1
	v_dual_mov_b32 v19, 0 :: v_dual_mov_b32 v18, 0
	s_and_saveexec_b32 s1, s0
	s_cbranch_execz .LBB91_6
; %bb.8:                                ;   in Loop: Header=BB91_7 Depth=1
	v_dual_mov_b32 v18, 0 :: v_dual_mov_b32 v19, 0
	s_mov_b32 s26, exec_lo
	v_cmpx_gt_i64_e64 s[16:17], v[2:3]
	s_cbranch_execz .LBB91_5
; %bb.9:                                ;   in Loop: Header=BB91_7 Depth=1
	v_add_co_u32 v18, vcc_lo, s8, v4
	s_wait_alu 0xfffd
	v_add_co_ci_u32_e64 v19, null, s9, v5, vcc_lo
	v_add_co_u32 v20, vcc_lo, s10, v4
	s_wait_alu 0xfffd
	v_add_co_ci_u32_e64 v21, null, s11, v5, vcc_lo
	global_load_b32 v18, v[18:19], off
	global_load_b32 v19, v[20:21], off
	s_branch .LBB91_5
.LBB91_10:
	v_mov_b32_e32 v1, v7
.LBB91_11:
	s_delay_alu instid0(VALU_DEP_1) | instskip(SKIP_2) | instid1(VALU_DEP_2)
	v_mad_u32_u24 v2, v1, 33, v6
	v_lshrrev_b32_e32 v3, 5, v6
	s_mov_b32 s0, exec_lo
	v_lshl_add_u32 v2, v2, 2, 0
	s_delay_alu instid0(VALU_DEP_2)
	v_add_nc_u32_e32 v1, v3, v1
	ds_store_b32 v2, v0
	ds_store_b32 v2, v17 offset:4224
	s_wait_dscnt 0x0
	s_barrier_signal -1
	s_barrier_wait -1
	global_inv scope:SCOPE_SE
	v_cmpx_gt_u32_e32 32, v1
	s_cbranch_execz .LBB91_17
; %bb.12:
	v_mbcnt_lo_u32_b32 v2, -1, 0
	s_delay_alu instid0(VALU_DEP_1) | instskip(SKIP_1) | instid1(VALU_DEP_2)
	v_xor_b32_e32 v4, 16, v2
	v_xor_b32_e32 v7, 8, v2
	v_cmp_gt_i32_e32 vcc_lo, 32, v4
	s_wait_alu 0xfffd
	v_cndmask_b32_e32 v4, v2, v4, vcc_lo
	s_delay_alu instid0(VALU_DEP_3) | instskip(SKIP_2) | instid1(VALU_DEP_1)
	v_cmp_gt_i32_e32 vcc_lo, 32, v7
	s_wait_alu 0xfffd
	v_dual_cndmask_b32 v7, v2, v7 :: v_dual_and_b32 v0, 31, v6
	v_mad_u32_u24 v0, v0, 33, v1
	s_delay_alu instid0(VALU_DEP_2) | instskip(NEXT) | instid1(VALU_DEP_2)
	v_lshlrev_b32_e32 v7, 2, v7
	v_lshl_add_u32 v0, v0, 2, 0
	ds_load_b32 v3, v0
	ds_load_b32 v0, v0 offset:4224
	v_lshlrev_b32_e32 v4, 2, v4
	s_wait_dscnt 0x1
	ds_bpermute_b32 v5, v4, v3
	s_wait_dscnt 0x0
	v_add_f32_e32 v3, v3, v5
	ds_bpermute_b32 v4, v4, v0
	s_wait_dscnt 0x0
	v_add_f32_e32 v0, v0, v4
	ds_bpermute_b32 v4, v7, v3
	ds_bpermute_b32 v5, v7, v0
	v_xor_b32_e32 v7, 4, v2
	s_delay_alu instid0(VALU_DEP_1) | instskip(SKIP_3) | instid1(VALU_DEP_1)
	v_cmp_gt_i32_e32 vcc_lo, 32, v7
	s_wait_alu 0xfffd
	v_cndmask_b32_e32 v7, v2, v7, vcc_lo
	s_wait_dscnt 0x0
	v_dual_add_f32 v0, v0, v5 :: v_dual_lshlrev_b32 v7, 2, v7
	ds_bpermute_b32 v5, v7, v0
	s_wait_dscnt 0x0
	v_dual_add_f32 v3, v3, v4 :: v_dual_add_f32 v0, v0, v5
	ds_bpermute_b32 v4, v7, v3
	v_xor_b32_e32 v7, 2, v2
	s_delay_alu instid0(VALU_DEP_1) | instskip(SKIP_4) | instid1(VALU_DEP_1)
	v_cmp_gt_i32_e32 vcc_lo, 32, v7
	s_wait_dscnt 0x0
	v_add_f32_e32 v3, v3, v4
	s_wait_alu 0xfffd
	v_cndmask_b32_e32 v7, v2, v7, vcc_lo
	v_lshlrev_b32_e32 v7, 2, v7
	ds_bpermute_b32 v4, v7, v3
	ds_bpermute_b32 v5, v7, v0
	v_xor_b32_e32 v7, 1, v2
	s_delay_alu instid0(VALU_DEP_1) | instskip(SKIP_4) | instid1(VALU_DEP_2)
	v_cmp_gt_i32_e32 vcc_lo, 32, v7
	s_wait_alu 0xfffd
	v_cndmask_b32_e32 v2, v2, v7, vcc_lo
	v_cmp_eq_u32_e32 vcc_lo, 0, v6
	s_wait_dscnt 0x1
	v_dual_add_f32 v4, v3, v4 :: v_dual_lshlrev_b32 v7, 2, v2
	s_wait_dscnt 0x0
	v_add_f32_e32 v2, v0, v5
	ds_bpermute_b32 v5, v7, v4
	ds_bpermute_b32 v3, v7, v2
	s_and_b32 exec_lo, exec_lo, vcc_lo
	s_cbranch_execz .LBB91_17
; %bb.13:
	s_wait_alu 0xfffe
	s_mov_b32 s0, ttmp9
	s_mov_b32 s1, 0
	s_wait_alu 0xfffe
	s_lshl_b64 s[0:1], s[0:1], 5
	s_wait_kmcnt 0x0
	s_cmp_eq_u64 s[12:13], 0
	s_wait_alu 0xfffe
	v_or_b32_e32 v0, s0, v1
	v_mov_b32_e32 v1, s1
	s_delay_alu instid0(VALU_DEP_1)
	v_lshlrev_b64_e32 v[0:1], 1, v[0:1]
	s_cbranch_scc1 .LBB91_15
; %bb.14:
	s_wait_dscnt 0x1
	v_add_f32_e32 v6, v4, v5
	s_delay_alu instid0(VALU_DEP_2) | instskip(SKIP_2) | instid1(VALU_DEP_3)
	v_add_co_u32 v4, vcc_lo, s12, v0
	s_wait_alu 0xfffd
	v_add_co_ci_u32_e64 v5, null, s13, v1, vcc_lo
	v_cvt_f16_f32_e32 v6, v6
	global_store_b16 v[4:5], v6, off
.LBB91_15:
	s_cmp_eq_u64 s[14:15], 0
	s_cbranch_scc1 .LBB91_17
; %bb.16:
	s_wait_dscnt 0x0
	v_add_f32_e32 v2, v2, v3
	v_add_co_u32 v0, vcc_lo, s14, v0
	s_wait_alu 0xfffd
	v_add_co_ci_u32_e64 v1, null, s15, v1, vcc_lo
	s_delay_alu instid0(VALU_DEP_3)
	v_cvt_f16_f32_e32 v2, v2
	global_store_b16 v[0:1], v2, off
.LBB91_17:
	s_endpgm
	.section	.rodata,"a",@progbits
	.p2align	6, 0x0
	.amdhsa_kernel _ZN2at6native12_GLOBAL__N_135GammaBetaBackwardCUDAKernelTemplateIN3c104HalfEfLj32ELj32ELj256ELb0ELb1ELb0EEEvllPKT_S7_PKT0_SA_PS5_SB_
		.amdhsa_group_segment_fixed_size 0
		.amdhsa_private_segment_fixed_size 0
		.amdhsa_kernarg_size 320
		.amdhsa_user_sgpr_count 2
		.amdhsa_user_sgpr_dispatch_ptr 0
		.amdhsa_user_sgpr_queue_ptr 0
		.amdhsa_user_sgpr_kernarg_segment_ptr 1
		.amdhsa_user_sgpr_dispatch_id 0
		.amdhsa_user_sgpr_private_segment_size 0
		.amdhsa_wavefront_size32 1
		.amdhsa_uses_dynamic_stack 0
		.amdhsa_enable_private_segment 0
		.amdhsa_system_sgpr_workgroup_id_x 1
		.amdhsa_system_sgpr_workgroup_id_y 1
		.amdhsa_system_sgpr_workgroup_id_z 0
		.amdhsa_system_sgpr_workgroup_info 0
		.amdhsa_system_vgpr_workitem_id 1
		.amdhsa_next_free_vgpr 50
		.amdhsa_next_free_sgpr 27
		.amdhsa_reserve_vcc 1
		.amdhsa_float_round_mode_32 0
		.amdhsa_float_round_mode_16_64 0
		.amdhsa_float_denorm_mode_32 3
		.amdhsa_float_denorm_mode_16_64 3
		.amdhsa_fp16_overflow 0
		.amdhsa_workgroup_processor_mode 1
		.amdhsa_memory_ordered 1
		.amdhsa_forward_progress 1
		.amdhsa_inst_pref_size 17
		.amdhsa_round_robin_scheduling 0
		.amdhsa_exception_fp_ieee_invalid_op 0
		.amdhsa_exception_fp_denorm_src 0
		.amdhsa_exception_fp_ieee_div_zero 0
		.amdhsa_exception_fp_ieee_overflow 0
		.amdhsa_exception_fp_ieee_underflow 0
		.amdhsa_exception_fp_ieee_inexact 0
		.amdhsa_exception_int_div_zero 0
	.end_amdhsa_kernel
	.section	.text._ZN2at6native12_GLOBAL__N_135GammaBetaBackwardCUDAKernelTemplateIN3c104HalfEfLj32ELj32ELj256ELb0ELb1ELb0EEEvllPKT_S7_PKT0_SA_PS5_SB_,"axG",@progbits,_ZN2at6native12_GLOBAL__N_135GammaBetaBackwardCUDAKernelTemplateIN3c104HalfEfLj32ELj32ELj256ELb0ELb1ELb0EEEvllPKT_S7_PKT0_SA_PS5_SB_,comdat
.Lfunc_end91:
	.size	_ZN2at6native12_GLOBAL__N_135GammaBetaBackwardCUDAKernelTemplateIN3c104HalfEfLj32ELj32ELj256ELb0ELb1ELb0EEEvllPKT_S7_PKT0_SA_PS5_SB_, .Lfunc_end91-_ZN2at6native12_GLOBAL__N_135GammaBetaBackwardCUDAKernelTemplateIN3c104HalfEfLj32ELj32ELj256ELb0ELb1ELb0EEEvllPKT_S7_PKT0_SA_PS5_SB_
                                        ; -- End function
	.set _ZN2at6native12_GLOBAL__N_135GammaBetaBackwardCUDAKernelTemplateIN3c104HalfEfLj32ELj32ELj256ELb0ELb1ELb0EEEvllPKT_S7_PKT0_SA_PS5_SB_.num_vgpr, 50
	.set _ZN2at6native12_GLOBAL__N_135GammaBetaBackwardCUDAKernelTemplateIN3c104HalfEfLj32ELj32ELj256ELb0ELb1ELb0EEEvllPKT_S7_PKT0_SA_PS5_SB_.num_agpr, 0
	.set _ZN2at6native12_GLOBAL__N_135GammaBetaBackwardCUDAKernelTemplateIN3c104HalfEfLj32ELj32ELj256ELb0ELb1ELb0EEEvllPKT_S7_PKT0_SA_PS5_SB_.numbered_sgpr, 27
	.set _ZN2at6native12_GLOBAL__N_135GammaBetaBackwardCUDAKernelTemplateIN3c104HalfEfLj32ELj32ELj256ELb0ELb1ELb0EEEvllPKT_S7_PKT0_SA_PS5_SB_.num_named_barrier, 0
	.set _ZN2at6native12_GLOBAL__N_135GammaBetaBackwardCUDAKernelTemplateIN3c104HalfEfLj32ELj32ELj256ELb0ELb1ELb0EEEvllPKT_S7_PKT0_SA_PS5_SB_.private_seg_size, 0
	.set _ZN2at6native12_GLOBAL__N_135GammaBetaBackwardCUDAKernelTemplateIN3c104HalfEfLj32ELj32ELj256ELb0ELb1ELb0EEEvllPKT_S7_PKT0_SA_PS5_SB_.uses_vcc, 1
	.set _ZN2at6native12_GLOBAL__N_135GammaBetaBackwardCUDAKernelTemplateIN3c104HalfEfLj32ELj32ELj256ELb0ELb1ELb0EEEvllPKT_S7_PKT0_SA_PS5_SB_.uses_flat_scratch, 0
	.set _ZN2at6native12_GLOBAL__N_135GammaBetaBackwardCUDAKernelTemplateIN3c104HalfEfLj32ELj32ELj256ELb0ELb1ELb0EEEvllPKT_S7_PKT0_SA_PS5_SB_.has_dyn_sized_stack, 0
	.set _ZN2at6native12_GLOBAL__N_135GammaBetaBackwardCUDAKernelTemplateIN3c104HalfEfLj32ELj32ELj256ELb0ELb1ELb0EEEvllPKT_S7_PKT0_SA_PS5_SB_.has_recursion, 0
	.set _ZN2at6native12_GLOBAL__N_135GammaBetaBackwardCUDAKernelTemplateIN3c104HalfEfLj32ELj32ELj256ELb0ELb1ELb0EEEvllPKT_S7_PKT0_SA_PS5_SB_.has_indirect_call, 0
	.section	.AMDGPU.csdata,"",@progbits
; Kernel info:
; codeLenInByte = 2096
; TotalNumSgprs: 29
; NumVgprs: 50
; ScratchSize: 0
; MemoryBound: 0
; FloatMode: 240
; IeeeMode: 1
; LDSByteSize: 0 bytes/workgroup (compile time only)
; SGPRBlocks: 0
; VGPRBlocks: 6
; NumSGPRsForWavesPerEU: 29
; NumVGPRsForWavesPerEU: 50
; Occupancy: 16
; WaveLimiterHint : 0
; COMPUTE_PGM_RSRC2:SCRATCH_EN: 0
; COMPUTE_PGM_RSRC2:USER_SGPR: 2
; COMPUTE_PGM_RSRC2:TRAP_HANDLER: 0
; COMPUTE_PGM_RSRC2:TGID_X_EN: 1
; COMPUTE_PGM_RSRC2:TGID_Y_EN: 1
; COMPUTE_PGM_RSRC2:TGID_Z_EN: 0
; COMPUTE_PGM_RSRC2:TIDIG_COMP_CNT: 1
	.section	.text._ZN2at6native12_GLOBAL__N_135GammaBetaBackwardCUDAKernelTemplateIN3c104HalfEfLj32ELj32ELj256ELb0ELb0ELb0EEEvllPKT_S7_PKT0_SA_PS5_SB_,"axG",@progbits,_ZN2at6native12_GLOBAL__N_135GammaBetaBackwardCUDAKernelTemplateIN3c104HalfEfLj32ELj32ELj256ELb0ELb0ELb0EEEvllPKT_S7_PKT0_SA_PS5_SB_,comdat
	.globl	_ZN2at6native12_GLOBAL__N_135GammaBetaBackwardCUDAKernelTemplateIN3c104HalfEfLj32ELj32ELj256ELb0ELb0ELb0EEEvllPKT_S7_PKT0_SA_PS5_SB_ ; -- Begin function _ZN2at6native12_GLOBAL__N_135GammaBetaBackwardCUDAKernelTemplateIN3c104HalfEfLj32ELj32ELj256ELb0ELb0ELb0EEEvllPKT_S7_PKT0_SA_PS5_SB_
	.p2align	8
	.type	_ZN2at6native12_GLOBAL__N_135GammaBetaBackwardCUDAKernelTemplateIN3c104HalfEfLj32ELj32ELj256ELb0ELb0ELb0EEEvllPKT_S7_PKT0_SA_PS5_SB_,@function
_ZN2at6native12_GLOBAL__N_135GammaBetaBackwardCUDAKernelTemplateIN3c104HalfEfLj32ELj32ELj256ELb0ELb0ELb0EEEvllPKT_S7_PKT0_SA_PS5_SB_: ; @_ZN2at6native12_GLOBAL__N_135GammaBetaBackwardCUDAKernelTemplateIN3c104HalfEfLj32ELj32ELj256ELb0ELb0ELb0EEEvllPKT_S7_PKT0_SA_PS5_SB_
; %bb.0:
	s_clause 0x1
	s_load_b256 s[4:11], s[0:1], 0x0
	s_load_b128 s[12:15], s[0:1], 0x20
	s_lshl_b32 s30, ttmp9, 5
	s_mov_b32 s17, 0
	s_or_b32 s16, s30, 31
	s_wait_kmcnt 0x0
	v_cmp_le_i64_e64 s2, s[6:7], s[16:17]
	s_lshl_b32 s16, ttmp7, 8
	s_wait_alu 0xfffe
	v_cmp_gt_i64_e64 s31, s[4:5], s[16:17]
	s_and_b32 vcc_lo, exec_lo, s2
	v_cndmask_b32_e64 v1, 0, 1, s31
	s_delay_alu instid0(VALU_DEP_1)
	v_cmp_ne_u32_e64 s2, 1, v1
	s_cbranch_vccz .LBB92_49
; %bb.1:
	v_dual_mov_b32 v10, 0 :: v_dual_mov_b32 v55, 0
	s_and_b32 vcc_lo, exec_lo, s2
	s_cbranch_vccnz .LBB92_50
; %bb.2:
	v_bfe_u32 v20, v0, 10, 10
	v_dual_mov_b32 v1, 0 :: v_dual_and_b32 v22, 0x3ff, v0
	s_load_b32 s3, s[0:1], 0x44
	s_mov_b32 s19, 0
	s_delay_alu instid0(VALU_DEP_2) | instskip(NEXT) | instid1(VALU_DEP_2)
	v_dual_mov_b32 v56, 0 :: v_dual_lshlrev_b32 v21, 3, v20
	v_dual_mov_b32 v3, v1 :: v_dual_add_nc_u32 v2, s30, v22
	s_mov_b32 s23, s19
	s_delay_alu instid0(VALU_DEP_2) | instskip(NEXT) | instid1(VALU_DEP_1)
	v_add_co_u32 v10, s2, v21, s16
	v_add_co_ci_u32_e64 v11, null, 0, 0, s2
	s_delay_alu instid0(VALU_DEP_3) | instskip(NEXT) | instid1(VALU_DEP_3)
	v_cmp_gt_i64_e64 s2, s[6:7], v[2:3]
	v_mul_lo_u32 v6, s7, v10
	v_mad_co_u64_u32 v[4:5], null, s6, v10, 0
	s_delay_alu instid0(VALU_DEP_4) | instskip(SKIP_1) | instid1(VALU_DEP_1)
	v_mul_lo_u32 v7, s6, v11
	v_add_co_u32 v8, vcc_lo, v10, 7
	v_add_co_ci_u32_e64 v9, null, 0, v11, vcc_lo
	v_lshlrev_b64_e32 v[18:19], 1, v[2:3]
	s_delay_alu instid0(VALU_DEP_3)
	v_mul_lo_u32 v12, s7, v8
	s_wait_kmcnt 0x0
	s_lshl_b32 s22, s3, 8
	v_add3_u32 v5, v5, v7, v6
	v_mad_co_u64_u32 v[6:7], null, s6, v8, 0
	v_add_co_u32 v8, vcc_lo, v10, 6
	v_mul_lo_u32 v13, s6, v9
	s_wait_alu 0xfffd
	v_add_co_ci_u32_e64 v9, null, 0, v11, vcc_lo
	v_lshlrev_b64_e32 v[2:3], 1, v[4:5]
	v_mul_lo_u32 v14, s7, v8
	v_mov_b32_e32 v55, 0
	s_delay_alu instid0(VALU_DEP_4)
	v_mul_lo_u32 v15, s6, v9
	v_mad_co_u64_u32 v[8:9], null, s6, v8, 0
	v_add_co_u32 v23, vcc_lo, s8, v2
	s_wait_alu 0xfffd
	v_add_co_ci_u32_e64 v24, null, s9, v3, vcc_lo
	v_add_co_u32 v25, vcc_lo, s10, v2
	v_add3_u32 v7, v7, v13, v12
	s_wait_alu 0xfffd
	v_add_co_ci_u32_e64 v26, null, s11, v3, vcc_lo
	v_add_co_u32 v12, vcc_lo, v10, 5
	v_add3_u32 v9, v9, v15, v14
	s_wait_alu 0xfffd
	v_add_co_ci_u32_e64 v13, null, 0, v11, vcc_lo
	v_lshlrev_b64_e32 v[2:3], 1, v[6:7]
	v_mul_lo_u32 v14, s7, v12
	v_lshlrev_b64_e32 v[6:7], 1, v[8:9]
	s_delay_alu instid0(VALU_DEP_4)
	v_mul_lo_u32 v13, s6, v13
	v_mad_co_u64_u32 v[8:9], null, s6, v12, 0
	v_add_co_u32 v27, vcc_lo, s8, v2
	s_wait_alu 0xfffd
	v_add_co_ci_u32_e64 v28, null, s9, v3, vcc_lo
	v_add_co_u32 v29, vcc_lo, s10, v2
	s_wait_alu 0xfffd
	v_add_co_ci_u32_e64 v30, null, s11, v3, vcc_lo
	v_add_co_u32 v31, vcc_lo, s8, v6
	v_add3_u32 v9, v9, v13, v14
	s_wait_alu 0xfffd
	v_add_co_ci_u32_e64 v32, null, s9, v7, vcc_lo
	v_add_co_u32 v12, vcc_lo, v10, 4
	v_add_co_u32 v33, s3, s10, v6
	s_wait_alu 0xfffd
	v_add_co_ci_u32_e64 v6, null, 0, v11, vcc_lo
	v_lshlrev_b64_e32 v[2:3], 1, v[8:9]
	v_add_co_u32 v8, vcc_lo, v10, 3
	s_wait_alu 0xfffd
	v_add_co_ci_u32_e64 v9, null, 0, v11, vcc_lo
	s_wait_alu 0xf1ff
	v_add_co_ci_u32_e64 v34, null, s11, v7, s3
	v_mul_lo_u32 v13, s7, v12
	v_mul_lo_u32 v14, s6, v6
	v_mad_co_u64_u32 v[6:7], null, s6, v12, 0
	v_mul_lo_u32 v12, s7, v8
	v_mul_lo_u32 v15, s6, v9
	v_mad_co_u64_u32 v[8:9], null, s6, v8, 0
	v_add_co_u32 v35, vcc_lo, s8, v2
	s_wait_alu 0xfffd
	v_add_co_ci_u32_e64 v36, null, s9, v3, vcc_lo
	v_add3_u32 v7, v7, v14, v13
	v_add_co_u32 v37, vcc_lo, s10, v2
	s_wait_alu 0xfffd
	v_add_co_ci_u32_e64 v38, null, s11, v3, vcc_lo
	v_add_co_u32 v10, vcc_lo, v10, 2
	v_add3_u32 v9, v9, v15, v12
	s_wait_alu 0xfffd
	v_add_co_ci_u32_e64 v11, null, 0, v11, vcc_lo
	v_lshlrev_b64_e32 v[2:3], 1, v[6:7]
	v_mul_lo_u32 v12, s7, v10
	v_lshlrev_b64_e32 v[6:7], 1, v[8:9]
	s_delay_alu instid0(VALU_DEP_4)
	v_mul_lo_u32 v11, s6, v11
	v_mad_co_u64_u32 v[8:9], null, s6, v10, 0
	v_add_co_u32 v39, vcc_lo, s8, v2
	s_wait_alu 0xfffd
	v_add_co_ci_u32_e64 v40, null, s9, v3, vcc_lo
	v_add_co_u32 v41, vcc_lo, s10, v2
	s_wait_alu 0xfffd
	v_add_co_ci_u32_e64 v42, null, s11, v3, vcc_lo
	;; [unrolled: 3-line block ×3, first 2 shown]
	v_add3_u32 v9, v9, v11, v12
	v_add_co_u32 v45, vcc_lo, s10, v6
	s_wait_alu 0xfffd
	v_add_co_ci_u32_e64 v46, null, s11, v7, vcc_lo
	v_add_co_u32 v4, vcc_lo, v4, s6
	s_wait_alu 0xfffd
	v_add_co_ci_u32_e64 v5, null, s7, v5, vcc_lo
	v_lshlrev_b64_e32 v[2:3], 1, v[8:9]
	s_mul_u64 s[24:25], s[6:7], s[22:23]
	s_add_nc_u64 s[20:21], s[0:1], 64
	s_delay_alu instid0(VALU_DEP_2)
	v_lshlrev_b64_e32 v[4:5], 1, v[4:5]
	s_lshl_b64 s[24:25], s[24:25], 1
	s_add_nc_u64 s[26:27], s[16:17], 0xff
	v_add_co_u32 v47, vcc_lo, s8, v2
	s_wait_alu 0xfffd
	v_add_co_ci_u32_e64 v48, null, s9, v3, vcc_lo
	v_add_co_u32 v49, vcc_lo, s10, v2
	s_wait_alu 0xfffd
	v_add_co_ci_u32_e64 v50, null, s11, v3, vcc_lo
	;; [unrolled: 3-line block ×4, first 2 shown]
	s_mov_b64 s[28:29], s[16:17]
.LBB92_3:                               ; =>This Inner Loop Header: Depth=1
	v_cmp_ge_i64_e64 s3, s[26:27], s[4:5]
	v_add_co_u32 v57, s18, v21, s26
	s_wait_alu 0xf1ff
	v_add_co_ci_u32_e64 v58, null, 0, s27, s18
                                        ; implicit-def: $vgpr10_vgpr11_vgpr12_vgpr13_vgpr14_vgpr15_vgpr16_vgpr17
                                        ; implicit-def: $vgpr2_vgpr3_vgpr4_vgpr5_vgpr6_vgpr7_vgpr8_vgpr9
                                        ; implicit-def: $vgpr60
                                        ; implicit-def: $vgpr2
	s_and_b32 vcc_lo, exec_lo, s3
	s_mov_b32 s3, -1
                                        ; implicit-def: $vgpr10
                                        ; implicit-def: $vgpr3
	s_wait_alu 0xfffe
	s_cbranch_vccz .LBB92_25
; %bb.4:                                ;   in Loop: Header=BB92_3 Depth=1
	s_load_b32 s3, s[20:21], 0xc
	v_dual_mov_b32 v60, 0 :: v_dual_mov_b32 v59, 0
	s_wait_kmcnt 0x0
	s_and_b32 s3, s3, 0xffff
	s_wait_alu 0xfffe
	v_mad_u32_u24 v2, v20, s3, v22
	s_mov_b32 s3, exec_lo
	s_delay_alu instid0(VALU_DEP_1) | instskip(NEXT) | instid1(VALU_DEP_1)
	v_and_b32_e32 v2, 31, v2
	v_cmpx_gt_u32_e32 8, v2
	s_cbranch_execz .LBB92_8
; %bb.5:                                ;   in Loop: Header=BB92_3 Depth=1
	v_add_co_u32 v2, vcc_lo, v57, v2
	s_wait_alu 0xfffd
	v_add_co_ci_u32_e64 v3, null, 0, v58, vcc_lo
	v_dual_mov_b32 v59, 0 :: v_dual_mov_b32 v60, 0
	s_delay_alu instid0(VALU_DEP_3) | instskip(SKIP_1) | instid1(VALU_DEP_3)
	v_add_co_u32 v2, vcc_lo, 0xffffff01, v2
	s_wait_alu 0xfffd
	v_add_co_ci_u32_e64 v3, null, -1, v3, vcc_lo
	s_mov_b32 s18, exec_lo
	v_cmpx_gt_i64_e64 s[4:5], v[2:3]
	s_cbranch_execz .LBB92_7
; %bb.6:                                ;   in Loop: Header=BB92_3 Depth=1
	v_lshlrev_b64_e32 v[2:3], 2, v[2:3]
	s_delay_alu instid0(VALU_DEP_1) | instskip(SKIP_1) | instid1(VALU_DEP_2)
	v_add_co_u32 v4, vcc_lo, s12, v2
	s_wait_alu 0xfffd
	v_add_co_ci_u32_e64 v5, null, s13, v3, vcc_lo
	v_add_co_u32 v2, vcc_lo, s14, v2
	s_wait_alu 0xfffd
	v_add_co_ci_u32_e64 v3, null, s15, v3, vcc_lo
	global_load_b32 v59, v[4:5], off
	global_load_b32 v60, v[2:3], off
.LBB92_7:                               ;   in Loop: Header=BB92_3 Depth=1
	s_wait_alu 0xfffe
	s_or_b32 exec_lo, exec_lo, s18
.LBB92_8:                               ;   in Loop: Header=BB92_3 Depth=1
	s_wait_alu 0xfffe
	s_or_b32 exec_lo, exec_lo, s3
	v_add_co_u32 v9, vcc_lo, 0xffffff01, v57
	s_wait_alu 0xfffd
	v_add_co_ci_u32_e64 v10, null, -1, v58, vcc_lo
	v_mov_b32_e32 v8, v1
	v_dual_mov_b32 v2, v1 :: v_dual_mov_b32 v3, v1
	v_dual_mov_b32 v4, v1 :: v_dual_mov_b32 v5, v1
	;; [unrolled: 1-line block ×3, first 2 shown]
	v_cmp_gt_i64_e32 vcc_lo, s[4:5], v[9:10]
	s_delay_alu instid0(VALU_DEP_3) | instskip(NEXT) | instid1(VALU_DEP_3)
	v_dual_mov_b32 v17, v8 :: v_dual_mov_b32 v14, v5
	v_dual_mov_b32 v15, v6 :: v_dual_mov_b32 v16, v7
	;; [unrolled: 1-line block ×4, first 2 shown]
	v_mov_b32_e32 v9, v8
	v_mov_b32_e32 v8, v7
	;; [unrolled: 1-line block ×8, first 2 shown]
	s_and_b32 s18, s2, vcc_lo
	s_wait_alu 0xfffe
	s_and_saveexec_b32 s3, s18
	s_cbranch_execz .LBB92_10
; %bb.9:                                ;   in Loop: Header=BB92_3 Depth=1
	v_add_co_u32 v2, vcc_lo, v23, v18
	s_wait_alu 0xfffd
	v_add_co_ci_u32_e64 v3, null, v24, v19, vcc_lo
	v_add_co_u32 v4, vcc_lo, v25, v18
	s_wait_alu 0xfffd
	v_add_co_ci_u32_e64 v5, null, v26, v19, vcc_lo
	global_load_u16 v2, v[2:3], off
	global_load_u16 v10, v[4:5], off
	v_dual_mov_b32 v3, v1 :: v_dual_mov_b32 v4, v1
	v_dual_mov_b32 v5, v1 :: v_dual_mov_b32 v6, v1
	;; [unrolled: 1-line block ×6, first 2 shown]
	v_mov_b32_e32 v15, v1
	v_mov_b32_e32 v17, v1
	s_wait_loadcnt 0x1
	v_cvt_f32_f16_e32 v2, v2
	s_wait_loadcnt 0x0
	v_cvt_f32_f16_e32 v10, v10
.LBB92_10:                              ;   in Loop: Header=BB92_3 Depth=1
	s_wait_alu 0xfffe
	s_or_b32 exec_lo, exec_lo, s3
	v_add_co_u32 v61, vcc_lo, 0xffffff02, v57
	s_wait_alu 0xfffd
	v_add_co_ci_u32_e64 v62, null, -1, v58, vcc_lo
	s_delay_alu instid0(VALU_DEP_1)
	v_cmp_gt_i64_e32 vcc_lo, s[4:5], v[61:62]
	s_and_b32 s18, s2, vcc_lo
	s_wait_alu 0xfffe
	s_and_saveexec_b32 s3, s18
	s_cbranch_execz .LBB92_12
; %bb.11:                               ;   in Loop: Header=BB92_3 Depth=1
	v_add_co_u32 v61, vcc_lo, v51, v18
	s_wait_alu 0xfffd
	v_add_co_ci_u32_e64 v62, null, v52, v19, vcc_lo
	v_add_co_u32 v63, vcc_lo, v53, v18
	s_wait_alu 0xfffd
	v_add_co_ci_u32_e64 v64, null, v54, v19, vcc_lo
	global_load_u16 v3, v[61:62], off
	global_load_u16 v11, v[63:64], off
	s_wait_loadcnt 0x1
	v_cvt_f32_f16_e32 v3, v3
	s_wait_loadcnt 0x0
	v_cvt_f32_f16_e32 v11, v11
.LBB92_12:                              ;   in Loop: Header=BB92_3 Depth=1
	s_wait_alu 0xfffe
	s_or_b32 exec_lo, exec_lo, s3
	v_add_co_u32 v61, vcc_lo, 0xffffff03, v57
	s_wait_alu 0xfffd
	v_add_co_ci_u32_e64 v62, null, -1, v58, vcc_lo
	s_delay_alu instid0(VALU_DEP_1)
	v_cmp_gt_i64_e32 vcc_lo, s[4:5], v[61:62]
	s_and_b32 s18, s2, vcc_lo
	s_wait_alu 0xfffe
	s_and_saveexec_b32 s3, s18
	s_cbranch_execz .LBB92_14
; %bb.13:                               ;   in Loop: Header=BB92_3 Depth=1
	v_add_co_u32 v61, vcc_lo, v47, v18
	s_wait_alu 0xfffd
	v_add_co_ci_u32_e64 v62, null, v48, v19, vcc_lo
	v_add_co_u32 v63, vcc_lo, v49, v18
	s_wait_alu 0xfffd
	v_add_co_ci_u32_e64 v64, null, v50, v19, vcc_lo
	global_load_u16 v4, v[61:62], off
	global_load_u16 v12, v[63:64], off
	s_wait_loadcnt 0x1
	v_cvt_f32_f16_e32 v4, v4
	s_wait_loadcnt 0x0
	v_cvt_f32_f16_e32 v12, v12
.LBB92_14:                              ;   in Loop: Header=BB92_3 Depth=1
	;; [unrolled: 25-line block ×7, first 2 shown]
	s_wait_alu 0xfffe
	s_or_b32 exec_lo, exec_lo, s3
	s_wait_loadcnt 0x1
	ds_bpermute_b32 v61, v1, v59
	ds_bpermute_b32 v62, v1, v59 offset:4
	ds_bpermute_b32 v63, v1, v59 offset:8
	s_wait_loadcnt 0x0
	ds_bpermute_b32 v64, v1, v60
	ds_bpermute_b32 v65, v1, v59 offset:12
	ds_bpermute_b32 v66, v1, v60 offset:4
	;; [unrolled: 1-line block ×7, first 2 shown]
	s_mov_b32 s3, 0
	s_wait_dscnt 0xa
	v_dual_sub_f32 v10, v10, v61 :: v_dual_add_f32 v61, v55, v2
	s_wait_dscnt 0x8
	v_dual_sub_f32 v11, v11, v62 :: v_dual_sub_f32 v12, v12, v63
	ds_bpermute_b32 v62, v1, v60 offset:16
	v_mul_f32_e32 v2, v2, v10
	ds_bpermute_b32 v63, v1, v60 offset:20
	v_dual_mul_f32 v11, v3, v11 :: v_dual_mul_f32 v12, v4, v12
	v_add_f32_e32 v3, v3, v61
	s_wait_dscnt 0x9
	v_fma_f32 v10, v2, v64, v56
	s_wait_dscnt 0x8
	v_sub_f32_e32 v2, v13, v65
	ds_bpermute_b32 v64, v1, v60 offset:24
	ds_bpermute_b32 v60, v1, v60 offset:28
	s_wait_dscnt 0x9
	v_dual_add_f32 v3, v4, v3 :: v_dual_fmac_f32 v10, v11, v66
	s_wait_dscnt 0x8
	v_sub_f32_e32 v11, v14, v67
	v_mul_f32_e32 v13, v5, v2
	ds_bpermute_b32 v2, v1, v59 offset:28
	s_wait_dscnt 0x6
	v_sub_f32_e32 v4, v15, v70
	v_dual_fmac_f32 v10, v12, v68 :: v_dual_mul_f32 v11, v6, v11
	v_add_f32_e32 v3, v5, v3
	s_wait_dscnt 0x5
	s_delay_alu instid0(VALU_DEP_3) | instskip(NEXT) | instid1(VALU_DEP_2)
	v_dual_sub_f32 v5, v16, v71 :: v_dual_mul_f32 v4, v7, v4
	v_dual_fmac_f32 v10, v13, v69 :: v_dual_add_f32 v3, v6, v3
	s_wait_dscnt 0x4
	s_delay_alu instid0(VALU_DEP_1) | instskip(SKIP_1) | instid1(VALU_DEP_1)
	v_dual_mul_f32 v5, v8, v5 :: v_dual_fmac_f32 v10, v11, v62
	s_wait_dscnt 0x3
	v_fmac_f32_e32 v10, v4, v63
	s_wait_dscnt 0x2
	s_delay_alu instid0(VALU_DEP_1) | instskip(NEXT) | instid1(VALU_DEP_1)
	v_dual_add_f32 v3, v7, v3 :: v_dual_fmac_f32 v10, v5, v64
	v_add_f32_e32 v3, v8, v3
.LBB92_25:                              ;   in Loop: Header=BB92_3 Depth=1
	s_wait_alu 0xfffe
	s_and_b32 vcc_lo, exec_lo, s3
	s_wait_alu 0xfffe
	s_cbranch_vccz .LBB92_40
; %bb.26:                               ;   in Loop: Header=BB92_3 Depth=1
	s_load_b32 s3, s[20:21], 0x0
	s_wait_dscnt 0x1
	v_dual_mov_b32 v60, 0 :: v_dual_mov_b32 v59, 0
	s_wait_kmcnt 0x0
	s_cmp_lt_u32 ttmp9, s3
	s_cselect_b32 s18, 12, 18
	s_wait_alu 0xfffe
	s_add_nc_u64 s[34:35], s[20:21], s[18:19]
	s_load_u16 s3, s[34:35], 0x0
	s_wait_dscnt 0x0
	s_wait_kmcnt 0x0
	v_mad_u32_u24 v2, v20, s3, v22
	s_mov_b32 s3, exec_lo
	s_delay_alu instid0(VALU_DEP_1) | instskip(NEXT) | instid1(VALU_DEP_1)
	v_and_b32_e32 v2, 31, v2
	v_cmpx_gt_u32_e32 8, v2
	s_cbranch_execz .LBB92_30
; %bb.27:                               ;   in Loop: Header=BB92_3 Depth=1
	v_add_co_u32 v2, vcc_lo, v57, v2
	s_wait_alu 0xfffd
	v_add_co_ci_u32_e64 v3, null, 0, v58, vcc_lo
	v_dual_mov_b32 v59, 0 :: v_dual_mov_b32 v60, 0
	s_delay_alu instid0(VALU_DEP_3) | instskip(SKIP_1) | instid1(VALU_DEP_3)
	v_add_co_u32 v2, vcc_lo, 0xffffff01, v2
	s_wait_alu 0xfffd
	v_add_co_ci_u32_e64 v3, null, -1, v3, vcc_lo
	s_mov_b32 s18, exec_lo
	v_cmpx_gt_i64_e64 s[4:5], v[2:3]
	s_cbranch_execz .LBB92_29
; %bb.28:                               ;   in Loop: Header=BB92_3 Depth=1
	v_lshlrev_b64_e32 v[2:3], 2, v[2:3]
	s_delay_alu instid0(VALU_DEP_1) | instskip(SKIP_1) | instid1(VALU_DEP_2)
	v_add_co_u32 v4, vcc_lo, s12, v2
	s_wait_alu 0xfffd
	v_add_co_ci_u32_e64 v5, null, s13, v3, vcc_lo
	v_add_co_u32 v2, vcc_lo, s14, v2
	s_wait_alu 0xfffd
	v_add_co_ci_u32_e64 v3, null, s15, v3, vcc_lo
	global_load_b32 v59, v[4:5], off
	global_load_b32 v60, v[2:3], off
.LBB92_29:                              ;   in Loop: Header=BB92_3 Depth=1
	s_wait_alu 0xfffe
	s_or_b32 exec_lo, exec_lo, s18
.LBB92_30:                              ;   in Loop: Header=BB92_3 Depth=1
	s_wait_alu 0xfffe
	s_or_b32 exec_lo, exec_lo, s3
	v_mov_b32_e32 v8, v1
	v_dual_mov_b32 v2, v1 :: v_dual_mov_b32 v3, v1
	v_dual_mov_b32 v4, v1 :: v_dual_mov_b32 v5, v1
	;; [unrolled: 1-line block ×3, first 2 shown]
	s_delay_alu instid0(VALU_DEP_4) | instskip(NEXT) | instid1(VALU_DEP_3)
	v_mov_b32_e32 v17, v8
	v_dual_mov_b32 v13, v4 :: v_dual_mov_b32 v12, v3
	s_delay_alu instid0(VALU_DEP_3) | instskip(NEXT) | instid1(VALU_DEP_4)
	v_dual_mov_b32 v15, v6 :: v_dual_mov_b32 v14, v5
	v_dual_mov_b32 v16, v7 :: v_dual_mov_b32 v11, v2
	;; [unrolled: 1-line block ×3, first 2 shown]
	v_mov_b32_e32 v8, v7
	v_mov_b32_e32 v7, v6
	;; [unrolled: 1-line block ×7, first 2 shown]
	s_and_saveexec_b32 s3, s2
	s_cbranch_execnz .LBB92_42
; %bb.31:                               ;   in Loop: Header=BB92_3 Depth=1
	s_wait_alu 0xfffe
	s_or_b32 exec_lo, exec_lo, s3
	s_and_saveexec_b32 s3, s2
	s_cbranch_execnz .LBB92_43
.LBB92_32:                              ;   in Loop: Header=BB92_3 Depth=1
	s_wait_alu 0xfffe
	s_or_b32 exec_lo, exec_lo, s3
	s_and_saveexec_b32 s3, s2
	s_cbranch_execnz .LBB92_44
.LBB92_33:                              ;   in Loop: Header=BB92_3 Depth=1
	s_wait_alu 0xfffe
	s_or_b32 exec_lo, exec_lo, s3
	s_and_saveexec_b32 s3, s2
	s_cbranch_execnz .LBB92_45
.LBB92_34:                              ;   in Loop: Header=BB92_3 Depth=1
	s_wait_alu 0xfffe
	s_or_b32 exec_lo, exec_lo, s3
	s_and_saveexec_b32 s3, s2
	s_cbranch_execnz .LBB92_46
.LBB92_35:                              ;   in Loop: Header=BB92_3 Depth=1
	s_wait_alu 0xfffe
	s_or_b32 exec_lo, exec_lo, s3
	s_and_saveexec_b32 s3, s2
	s_cbranch_execnz .LBB92_47
.LBB92_36:                              ;   in Loop: Header=BB92_3 Depth=1
	s_wait_alu 0xfffe
	s_or_b32 exec_lo, exec_lo, s3
	s_and_saveexec_b32 s3, s2
	s_cbranch_execnz .LBB92_48
.LBB92_37:                              ;   in Loop: Header=BB92_3 Depth=1
	s_wait_alu 0xfffe
	s_or_b32 exec_lo, exec_lo, s3
	s_and_saveexec_b32 s3, s2
	s_cbranch_execz .LBB92_39
.LBB92_38:                              ;   in Loop: Header=BB92_3 Depth=1
	v_add_co_u32 v57, vcc_lo, v27, v18
	s_wait_alu 0xfffd
	v_add_co_ci_u32_e64 v58, null, v28, v19, vcc_lo
	v_add_co_u32 v61, vcc_lo, v29, v18
	s_wait_alu 0xfffd
	v_add_co_ci_u32_e64 v62, null, v30, v19, vcc_lo
	global_load_u16 v9, v[57:58], off
	global_load_u16 v17, v[61:62], off
	s_wait_loadcnt 0x1
	v_cvt_f32_f16_e32 v9, v9
	s_wait_loadcnt 0x0
	v_cvt_f32_f16_e32 v17, v17
.LBB92_39:                              ;   in Loop: Header=BB92_3 Depth=1
	s_wait_alu 0xfffe
	s_or_b32 exec_lo, exec_lo, s3
	s_wait_loadcnt 0x1
	ds_bpermute_b32 v57, v1, v59
	ds_bpermute_b32 v58, v1, v59 offset:4
	ds_bpermute_b32 v61, v1, v59 offset:8
	s_wait_loadcnt 0x0
	ds_bpermute_b32 v62, v1, v60
	ds_bpermute_b32 v63, v1, v59 offset:12
	ds_bpermute_b32 v64, v1, v60 offset:4
	;; [unrolled: 1-line block ×5, first 2 shown]
	s_wait_dscnt 0x7
	v_dual_sub_f32 v10, v10, v57 :: v_dual_sub_f32 v11, v11, v58
	ds_bpermute_b32 v57, v1, v60 offset:12
	s_wait_dscnt 0x7
	v_sub_f32_e32 v12, v12, v61
	ds_bpermute_b32 v58, v1, v60 offset:20
	v_dual_mul_f32 v10, v2, v10 :: v_dual_mul_f32 v11, v3, v11
	s_wait_dscnt 0x6
	v_dual_add_f32 v2, v55, v2 :: v_dual_sub_f32 v13, v13, v63
	ds_bpermute_b32 v55, v1, v60 offset:16
	v_fmac_f32_e32 v56, v10, v62
	ds_bpermute_b32 v10, v1, v59 offset:24
	s_wait_dscnt 0x6
	v_dual_add_f32 v2, v3, v2 :: v_dual_sub_f32 v3, v14, v65
	v_dual_fmac_f32 v56, v11, v64 :: v_dual_mul_f32 v11, v5, v13
	s_wait_dscnt 0x5
	v_dual_sub_f32 v13, v15, v67 :: v_dual_mul_f32 v12, v4, v12
	s_wait_dscnt 0x4
	s_delay_alu instid0(VALU_DEP_1)
	v_dual_mul_f32 v3, v6, v3 :: v_dual_fmac_f32 v56, v12, v66
	ds_bpermute_b32 v12, v1, v60 offset:24
	ds_bpermute_b32 v60, v1, v60 offset:28
	s_wait_dscnt 0x5
	v_fmac_f32_e32 v56, v11, v57
	s_wait_dscnt 0x2
	s_delay_alu instid0(VALU_DEP_1) | instskip(NEXT) | instid1(VALU_DEP_1)
	v_dual_fmac_f32 v56, v3, v55 :: v_dual_sub_f32 v3, v16, v10
	v_mul_f32_e32 v3, v8, v3
	v_add_f32_e32 v4, v4, v2
	ds_bpermute_b32 v2, v1, v59 offset:28
	v_dual_add_f32 v4, v5, v4 :: v_dual_mul_f32 v5, v7, v13
	s_delay_alu instid0(VALU_DEP_1) | instskip(NEXT) | instid1(VALU_DEP_2)
	v_add_f32_e32 v4, v6, v4
	v_fmac_f32_e32 v56, v5, v58
	s_delay_alu instid0(VALU_DEP_2) | instskip(SKIP_1) | instid1(VALU_DEP_2)
	v_add_f32_e32 v4, v7, v4
	s_wait_dscnt 0x2
	v_fmac_f32_e32 v56, v3, v12
	s_delay_alu instid0(VALU_DEP_2) | instskip(NEXT) | instid1(VALU_DEP_2)
	v_add_f32_e32 v3, v8, v4
	v_mov_b32_e32 v10, v56
.LBB92_40:                              ;   in Loop: Header=BB92_3 Depth=1
	v_add_co_u32 v23, vcc_lo, v23, s24
	s_wait_alu 0xfffd
	v_add_co_ci_u32_e64 v24, null, s25, v24, vcc_lo
	v_add_co_u32 v25, vcc_lo, v25, s24
	s_wait_alu 0xfffd
	v_add_co_ci_u32_e64 v26, null, s25, v26, vcc_lo
	;; [unrolled: 3-line block ×10, first 2 shown]
	v_add_co_u32 v43, vcc_lo, v43, s24
	s_wait_dscnt 0x0
	v_dual_sub_f32 v2, v17, v2 :: v_dual_add_f32 v55, v3, v9
	s_wait_alu 0xfffd
	v_add_co_ci_u32_e64 v44, null, s25, v44, vcc_lo
	v_add_co_u32 v45, vcc_lo, v45, s24
	s_wait_alu 0xfffd
	v_add_co_ci_u32_e64 v46, null, s25, v46, vcc_lo
	v_add_co_u32 v47, vcc_lo, v47, s24
	;; [unrolled: 3-line block ×3, first 2 shown]
	s_add_nc_u64 s[28:29], s[28:29], s[22:23]
	v_mul_f32_e32 v2, v9, v2
	s_wait_alu 0xfffd
	v_add_co_ci_u32_e64 v50, null, s25, v50, vcc_lo
	v_add_co_u32 v51, vcc_lo, v51, s24
	s_wait_alu 0xfffe
	v_cmp_lt_i64_e64 s3, s[28:29], s[4:5]
	s_wait_alu 0xfffd
	v_add_co_ci_u32_e64 v52, null, s25, v52, vcc_lo
	v_add_co_u32 v53, vcc_lo, v53, s24
	v_fmac_f32_e32 v10, v2, v60
	s_wait_alu 0xfffd
	v_add_co_ci_u32_e64 v54, null, s25, v54, vcc_lo
	s_and_b32 vcc_lo, exec_lo, s3
	s_add_nc_u64 s[26:27], s[26:27], s[22:23]
	s_wait_alu 0xfffe
	s_cbranch_vccz .LBB92_50
; %bb.41:                               ;   in Loop: Header=BB92_3 Depth=1
	v_mov_b32_e32 v56, v10
	s_branch .LBB92_3
.LBB92_42:                              ;   in Loop: Header=BB92_3 Depth=1
	v_add_co_u32 v2, vcc_lo, v23, v18
	s_wait_alu 0xfffd
	v_add_co_ci_u32_e64 v3, null, v24, v19, vcc_lo
	v_add_co_u32 v4, vcc_lo, v25, v18
	s_wait_alu 0xfffd
	v_add_co_ci_u32_e64 v5, null, v26, v19, vcc_lo
	global_load_u16 v2, v[2:3], off
	global_load_u16 v10, v[4:5], off
	v_dual_mov_b32 v3, v1 :: v_dual_mov_b32 v4, v1
	v_dual_mov_b32 v5, v1 :: v_dual_mov_b32 v6, v1
	;; [unrolled: 1-line block ×6, first 2 shown]
	v_mov_b32_e32 v15, v1
	v_mov_b32_e32 v17, v1
	s_wait_loadcnt 0x1
	v_cvt_f32_f16_e32 v2, v2
	s_wait_loadcnt 0x0
	v_cvt_f32_f16_e32 v10, v10
	s_wait_alu 0xfffe
	s_or_b32 exec_lo, exec_lo, s3
	s_and_saveexec_b32 s3, s2
	s_cbranch_execz .LBB92_32
.LBB92_43:                              ;   in Loop: Header=BB92_3 Depth=1
	v_add_co_u32 v57, vcc_lo, v51, v18
	s_wait_alu 0xfffd
	v_add_co_ci_u32_e64 v58, null, v52, v19, vcc_lo
	v_add_co_u32 v61, vcc_lo, v53, v18
	s_wait_alu 0xfffd
	v_add_co_ci_u32_e64 v62, null, v54, v19, vcc_lo
	global_load_u16 v3, v[57:58], off
	global_load_u16 v11, v[61:62], off
	s_wait_loadcnt 0x1
	v_cvt_f32_f16_e32 v3, v3
	s_wait_loadcnt 0x0
	v_cvt_f32_f16_e32 v11, v11
	s_wait_alu 0xfffe
	s_or_b32 exec_lo, exec_lo, s3
	s_and_saveexec_b32 s3, s2
	s_cbranch_execz .LBB92_33
.LBB92_44:                              ;   in Loop: Header=BB92_3 Depth=1
	v_add_co_u32 v57, vcc_lo, v47, v18
	s_wait_alu 0xfffd
	v_add_co_ci_u32_e64 v58, null, v48, v19, vcc_lo
	v_add_co_u32 v61, vcc_lo, v49, v18
	s_wait_alu 0xfffd
	v_add_co_ci_u32_e64 v62, null, v50, v19, vcc_lo
	global_load_u16 v4, v[57:58], off
	global_load_u16 v12, v[61:62], off
	s_wait_loadcnt 0x1
	v_cvt_f32_f16_e32 v4, v4
	s_wait_loadcnt 0x0
	v_cvt_f32_f16_e32 v12, v12
	s_wait_alu 0xfffe
	s_or_b32 exec_lo, exec_lo, s3
	s_and_saveexec_b32 s3, s2
	s_cbranch_execz .LBB92_34
.LBB92_45:                              ;   in Loop: Header=BB92_3 Depth=1
	v_add_co_u32 v57, vcc_lo, v43, v18
	s_wait_alu 0xfffd
	v_add_co_ci_u32_e64 v58, null, v44, v19, vcc_lo
	v_add_co_u32 v61, vcc_lo, v45, v18
	s_wait_alu 0xfffd
	v_add_co_ci_u32_e64 v62, null, v46, v19, vcc_lo
	global_load_u16 v5, v[57:58], off
	global_load_u16 v13, v[61:62], off
	s_wait_loadcnt 0x1
	v_cvt_f32_f16_e32 v5, v5
	s_wait_loadcnt 0x0
	v_cvt_f32_f16_e32 v13, v13
	s_wait_alu 0xfffe
	s_or_b32 exec_lo, exec_lo, s3
	s_and_saveexec_b32 s3, s2
	s_cbranch_execz .LBB92_35
.LBB92_46:                              ;   in Loop: Header=BB92_3 Depth=1
	v_add_co_u32 v57, vcc_lo, v39, v18
	s_wait_alu 0xfffd
	v_add_co_ci_u32_e64 v58, null, v40, v19, vcc_lo
	v_add_co_u32 v61, vcc_lo, v41, v18
	s_wait_alu 0xfffd
	v_add_co_ci_u32_e64 v62, null, v42, v19, vcc_lo
	global_load_u16 v6, v[57:58], off
	global_load_u16 v14, v[61:62], off
	s_wait_loadcnt 0x1
	v_cvt_f32_f16_e32 v6, v6
	s_wait_loadcnt 0x0
	v_cvt_f32_f16_e32 v14, v14
	s_wait_alu 0xfffe
	s_or_b32 exec_lo, exec_lo, s3
	s_and_saveexec_b32 s3, s2
	s_cbranch_execz .LBB92_36
.LBB92_47:                              ;   in Loop: Header=BB92_3 Depth=1
	v_add_co_u32 v57, vcc_lo, v35, v18
	s_wait_alu 0xfffd
	v_add_co_ci_u32_e64 v58, null, v36, v19, vcc_lo
	v_add_co_u32 v61, vcc_lo, v37, v18
	s_wait_alu 0xfffd
	v_add_co_ci_u32_e64 v62, null, v38, v19, vcc_lo
	global_load_u16 v7, v[57:58], off
	global_load_u16 v15, v[61:62], off
	s_wait_loadcnt 0x1
	v_cvt_f32_f16_e32 v7, v7
	s_wait_loadcnt 0x0
	v_cvt_f32_f16_e32 v15, v15
	s_wait_alu 0xfffe
	s_or_b32 exec_lo, exec_lo, s3
	s_and_saveexec_b32 s3, s2
	s_cbranch_execz .LBB92_37
.LBB92_48:                              ;   in Loop: Header=BB92_3 Depth=1
	v_add_co_u32 v57, vcc_lo, v31, v18
	s_wait_alu 0xfffd
	v_add_co_ci_u32_e64 v58, null, v32, v19, vcc_lo
	v_add_co_u32 v61, vcc_lo, v33, v18
	s_wait_alu 0xfffd
	v_add_co_ci_u32_e64 v62, null, v34, v19, vcc_lo
	global_load_u16 v8, v[57:58], off
	global_load_u16 v16, v[61:62], off
	s_wait_loadcnt 0x1
	v_cvt_f32_f16_e32 v8, v8
	s_wait_loadcnt 0x0
	v_cvt_f32_f16_e32 v16, v16
	s_wait_alu 0xfffe
	s_or_b32 exec_lo, exec_lo, s3
	s_and_saveexec_b32 s3, s2
	s_cbranch_execnz .LBB92_38
	s_branch .LBB92_39
.LBB92_49:
                                        ; implicit-def: $vgpr10
                                        ; implicit-def: $vgpr55
	s_branch .LBB92_51
.LBB92_50:
	s_cbranch_execnz .LBB92_83
.LBB92_51:
	v_dual_mov_b32 v10, 0 :: v_dual_mov_b32 v55, 0
	s_and_not1_b32 vcc_lo, exec_lo, s31
	s_wait_alu 0xfffe
	s_cbranch_vccnz .LBB92_83
; %bb.52:
	v_bfe_u32 v48, v0, 10, 10
	v_dual_mov_b32 v1, 0 :: v_dual_and_b32 v50, 0x3ff, v0
	s_lshl_b64 s[20:21], s[16:17], 1
	s_mov_b32 s3, 0
	s_delay_alu instid0(VALU_DEP_2) | instskip(SKIP_2) | instid1(VALU_DEP_3)
	v_dual_mov_b32 v84, 0 :: v_dual_lshlrev_b32 v49, 3, v48
	v_dual_mov_b32 v85, 0 :: v_dual_lshlrev_b32 v8, 4, v48
	v_dual_mov_b32 v5, v1 :: v_dual_add_nc_u32 v4, s30, v50
	v_add_co_u32 v10, s2, v49, s16
	s_wait_alu 0xf1ff
	v_add_co_ci_u32_e64 v11, null, 0, 0, s2
	s_delay_alu instid0(VALU_DEP_3) | instskip(NEXT) | instid1(VALU_DEP_3)
	v_lshlrev_b64_e32 v[18:19], 1, v[4:5]
	v_mul_lo_u32 v6, s7, v10
	v_mad_co_u64_u32 v[2:3], null, s6, v10, 0
	s_delay_alu instid0(VALU_DEP_4) | instskip(SKIP_2) | instid1(VALU_DEP_1)
	v_mul_lo_u32 v7, s6, v11
	s_load_b32 s2, s[0:1], 0x44
	s_mov_b32 s19, s3
	v_add3_u32 v3, v3, v7, v6
	v_add_co_u32 v6, s18, v8, s20
	s_wait_alu 0xf1ff
	v_add_co_ci_u32_e64 v7, null, 0, s21, s18
	s_delay_alu instid0(VALU_DEP_3) | instskip(NEXT) | instid1(VALU_DEP_3)
	v_lshlrev_b64_e32 v[4:5], 1, v[2:3]
	v_add_co_u32 v8, vcc_lo, v6, 2
	s_wait_alu 0xfffd
	s_delay_alu instid0(VALU_DEP_3) | instskip(NEXT) | instid1(VALU_DEP_3)
	v_add_co_ci_u32_e64 v9, null, 0, v7, vcc_lo
	v_add_co_u32 v51, vcc_lo, s8, v4
	s_wait_alu 0xfffd
	v_add_co_ci_u32_e64 v52, null, s9, v5, vcc_lo
	v_add_co_u32 v53, vcc_lo, s10, v4
	s_wait_alu 0xfffd
	;; [unrolled: 3-line block ×5, first 2 shown]
	v_add_co_ci_u32_e64 v28, null, 0, v7, vcc_lo
	v_add_co_u32 v42, vcc_lo, v6, 10
	v_mad_co_u64_u32 v[22:23], null, s6, v4, s[8:9]
	v_mul_lo_u32 v5, s6, v5
	v_mul_lo_u32 v15, s7, v4
	v_mad_co_u64_u32 v[36:37], null, s6, v4, s[10:11]
	s_wait_alu 0xfffd
	v_add_co_ci_u32_e64 v30, null, 0, v7, vcc_lo
	v_add_co_u32 v44, vcc_lo, v6, 12
	s_wait_alu 0xfffd
	v_add_co_ci_u32_e64 v32, null, 0, v7, vcc_lo
	v_add_co_u32 v6, vcc_lo, v6, 14
	v_mad_co_u64_u32 v[20:21], null, s6, v8, s[8:9]
	v_mul_lo_u32 v9, s6, v9
	v_mul_lo_u32 v12, s7, v8
	v_mad_co_u64_u32 v[34:35], null, s6, v8, s[10:11]
	s_wait_alu 0xfffd
	v_add_co_ci_u32_e64 v7, null, 0, v7, vcc_lo
	v_add_co_u32 v4, vcc_lo, v10, 7
	v_add3_u32 v23, v15, v23, v5
	v_add3_u32 v37, v15, v37, v5
	s_wait_alu 0xfffd
	v_add_co_ci_u32_e64 v5, null, 0, v11, vcc_lo
	v_mul_lo_u32 v61, s6, v7
	v_add_co_u32 v7, vcc_lo, v10, 6
	v_add3_u32 v21, v12, v21, v9
	v_add3_u32 v35, v12, v35, v9
	s_wait_alu 0xfffd
	v_add_co_ci_u32_e64 v12, null, 0, v11, vcc_lo
	v_mul_lo_u32 v8, s7, v4
	v_mul_lo_u32 v9, s6, v5
	v_mad_co_u64_u32 v[4:5], null, s6, v4, 0
	v_mad_co_u64_u32 v[24:25], null, s6, v13, s[8:9]
	v_mul_lo_u32 v17, s7, v13
	v_mul_lo_u32 v59, s6, v32
	v_mad_co_u64_u32 v[32:33], null, s6, v6, s[8:9]
	v_mul_lo_u32 v62, s7, v6
	v_mad_co_u64_u32 v[38:39], null, s6, v13, s[10:11]
	v_mad_co_u64_u32 v[46:47], null, s6, v6, s[10:11]
	v_mul_lo_u32 v13, s7, v7
	v_mul_lo_u32 v12, s6, v12
	v_mad_co_u64_u32 v[6:7], null, s6, v7, 0
	v_add3_u32 v5, v5, v9, v8
	v_add_co_u32 v8, vcc_lo, v10, 5
	v_mad_co_u64_u32 v[26:27], null, s6, v16, s[8:9]
	v_mul_lo_u32 v55, s6, v28
	v_mul_lo_u32 v56, s7, v16
	v_mad_co_u64_u32 v[40:41], null, s6, v16, s[10:11]
	s_wait_alu 0xfffd
	v_add_co_ci_u32_e64 v9, null, 0, v11, vcc_lo
	v_add3_u32 v7, v7, v12, v13
	v_mad_co_u64_u32 v[28:29], null, s6, v42, s[8:9]
	v_mul_lo_u32 v57, s6, v30
	v_mul_lo_u32 v58, s7, v42
	v_mad_co_u64_u32 v[42:43], null, s6, v42, s[10:11]
	v_lshlrev_b64_e32 v[4:5], 1, v[4:5]
	v_mad_co_u64_u32 v[30:31], null, s6, v44, s[8:9]
	v_mul_lo_u32 v60, s7, v44
	v_mad_co_u64_u32 v[44:45], null, s6, v44, s[10:11]
	v_mul_lo_u32 v12, s7, v8
	v_mul_lo_u32 v13, s6, v9
	v_mad_co_u64_u32 v[8:9], null, s6, v8, 0
	v_lshlrev_b64_e32 v[6:7], 1, v[6:7]
	v_add3_u32 v27, v56, v27, v55
	v_add3_u32 v41, v56, v41, v55
	v_add_co_u32 v56, vcc_lo, s8, v4
	v_add3_u32 v29, v58, v29, v57
	v_add3_u32 v43, v58, v43, v57
	s_wait_alu 0xfffd
	v_add_co_ci_u32_e64 v57, null, s9, v5, vcc_lo
	v_add_co_u32 v58, vcc_lo, s10, v4
	v_add3_u32 v31, v60, v31, v59
	v_add3_u32 v45, v60, v45, v59
	s_wait_alu 0xfffd
	v_add_co_ci_u32_e64 v59, null, s11, v5, vcc_lo
	v_add_co_u32 v60, vcc_lo, s8, v6
	v_mul_lo_u32 v14, s6, v14
	v_add3_u32 v9, v9, v13, v12
	v_add3_u32 v33, v62, v33, v61
	;; [unrolled: 1-line block ×3, first 2 shown]
	s_wait_alu 0xfffd
	v_add_co_ci_u32_e64 v61, null, s9, v7, vcc_lo
	v_add_co_u32 v12, vcc_lo, v10, 4
	s_wait_kmcnt 0x0
	s_lshl_b32 s18, s2, 8
	v_add_co_u32 v62, s2, s10, v6
	s_wait_alu 0xfffd
	v_add_co_ci_u32_e64 v6, null, 0, v11, vcc_lo
	v_lshlrev_b64_e32 v[4:5], 1, v[8:9]
	v_add_co_u32 v8, vcc_lo, v10, 3
	s_wait_alu 0xfffd
	v_add_co_ci_u32_e64 v9, null, 0, v11, vcc_lo
	v_add3_u32 v25, v17, v25, v14
	v_add3_u32 v39, v17, v39, v14
	s_wait_alu 0xf1ff
	v_add_co_ci_u32_e64 v63, null, s11, v7, s2
	v_mul_lo_u32 v13, s7, v12
	v_mul_lo_u32 v14, s6, v6
	v_mad_co_u64_u32 v[6:7], null, s6, v12, 0
	v_mul_lo_u32 v12, s7, v8
	v_mul_lo_u32 v15, s6, v9
	v_mad_co_u64_u32 v[8:9], null, s6, v8, 0
	v_add_co_u32 v64, vcc_lo, s8, v4
	s_wait_alu 0xfffd
	v_add_co_ci_u32_e64 v65, null, s9, v5, vcc_lo
	v_add3_u32 v7, v7, v14, v13
	v_add_co_u32 v66, vcc_lo, s10, v4
	s_wait_alu 0xfffd
	v_add_co_ci_u32_e64 v67, null, s11, v5, vcc_lo
	v_add_co_u32 v10, vcc_lo, v10, 2
	v_add3_u32 v9, v9, v15, v12
	s_wait_alu 0xfffd
	v_add_co_ci_u32_e64 v11, null, 0, v11, vcc_lo
	v_lshlrev_b64_e32 v[4:5], 1, v[6:7]
	v_mul_lo_u32 v12, s7, v10
	v_lshlrev_b64_e32 v[6:7], 1, v[8:9]
	s_delay_alu instid0(VALU_DEP_4)
	v_mul_lo_u32 v11, s6, v11
	v_mad_co_u64_u32 v[8:9], null, s6, v10, 0
	v_add_co_u32 v68, vcc_lo, s8, v4
	s_wait_alu 0xfffd
	v_add_co_ci_u32_e64 v69, null, s9, v5, vcc_lo
	v_add_co_u32 v70, vcc_lo, s10, v4
	s_wait_alu 0xfffd
	v_add_co_ci_u32_e64 v71, null, s11, v5, vcc_lo
	;; [unrolled: 3-line block ×3, first 2 shown]
	v_add3_u32 v9, v9, v11, v12
	v_add_co_u32 v74, vcc_lo, s10, v6
	s_wait_alu 0xfffd
	v_add_co_ci_u32_e64 v75, null, s11, v7, vcc_lo
	v_add_co_u32 v2, vcc_lo, v2, s6
	s_wait_alu 0xfffd
	v_add_co_ci_u32_e64 v3, null, s7, v3, vcc_lo
	v_lshlrev_b64_e32 v[4:5], 1, v[8:9]
	s_wait_alu 0xfffe
	s_mul_u64 s[20:21], s[6:7], s[18:19]
	s_delay_alu instid0(VALU_DEP_2) | instskip(NEXT) | instid1(VALU_DEP_2)
	v_lshlrev_b64_e32 v[2:3], 1, v[2:3]
	v_add_co_u32 v76, vcc_lo, s8, v4
	s_wait_alu 0xfffd
	v_add_co_ci_u32_e64 v77, null, s9, v5, vcc_lo
	v_add_co_u32 v78, vcc_lo, s10, v4
	s_wait_alu 0xfffd
	v_add_co_ci_u32_e64 v79, null, s11, v5, vcc_lo
	;; [unrolled: 3-line block ×4, first 2 shown]
	s_add_nc_u64 s[8:9], s[0:1], 64
	s_wait_alu 0xfffe
	s_lshl_b64 s[10:11], s[20:21], 1
	s_add_nc_u64 s[20:21], s[16:17], 0xff
.LBB92_53:                              ; =>This Inner Loop Header: Depth=1
	s_wait_alu 0xfffe
	v_cmp_ge_i64_e64 s2, s[20:21], s[4:5]
	v_add_co_u32 v86, s22, v49, s20
	s_wait_alu 0xf1ff
	v_add_co_ci_u32_e64 v87, null, 0, s21, s22
                                        ; implicit-def: $vgpr55
                                        ; implicit-def: $vgpr10
	s_and_b32 vcc_lo, exec_lo, s2
	s_mov_b32 s2, -1
	s_wait_alu 0xfffe
	s_cbranch_vccz .LBB92_75
; %bb.54:                               ;   in Loop: Header=BB92_53 Depth=1
	s_load_b32 s2, s[8:9], 0xc
	v_dual_mov_b32 v88, 0 :: v_dual_mov_b32 v55, 0
	s_wait_kmcnt 0x0
	s_and_b32 s2, s2, 0xffff
	s_wait_alu 0xfffe
	v_mad_u32_u24 v2, v48, s2, v50
	s_mov_b32 s2, exec_lo
	s_delay_alu instid0(VALU_DEP_1) | instskip(NEXT) | instid1(VALU_DEP_1)
	v_and_b32_e32 v2, 31, v2
	v_cmpx_gt_u32_e32 8, v2
	s_cbranch_execz .LBB92_58
; %bb.55:                               ;   in Loop: Header=BB92_53 Depth=1
	v_add_co_u32 v2, vcc_lo, v86, v2
	s_wait_alu 0xfffd
	v_add_co_ci_u32_e64 v3, null, 0, v87, vcc_lo
	v_dual_mov_b32 v55, 0 :: v_dual_mov_b32 v88, 0
	s_delay_alu instid0(VALU_DEP_3) | instskip(SKIP_1) | instid1(VALU_DEP_3)
	v_add_co_u32 v2, vcc_lo, 0xffffff01, v2
	s_wait_alu 0xfffd
	v_add_co_ci_u32_e64 v3, null, -1, v3, vcc_lo
	s_mov_b32 s22, exec_lo
	v_cmpx_gt_i64_e64 s[4:5], v[2:3]
	s_cbranch_execz .LBB92_57
; %bb.56:                               ;   in Loop: Header=BB92_53 Depth=1
	v_lshlrev_b64_e32 v[2:3], 2, v[2:3]
	s_delay_alu instid0(VALU_DEP_1) | instskip(SKIP_1) | instid1(VALU_DEP_2)
	v_add_co_u32 v4, vcc_lo, s12, v2
	s_wait_alu 0xfffd
	v_add_co_ci_u32_e64 v5, null, s13, v3, vcc_lo
	v_add_co_u32 v2, vcc_lo, s14, v2
	s_wait_alu 0xfffd
	v_add_co_ci_u32_e64 v3, null, s15, v3, vcc_lo
	global_load_b32 v55, v[4:5], off
	global_load_b32 v88, v[2:3], off
.LBB92_57:                              ;   in Loop: Header=BB92_53 Depth=1
	s_wait_alu 0xfffe
	s_or_b32 exec_lo, exec_lo, s22
.LBB92_58:                              ;   in Loop: Header=BB92_53 Depth=1
	s_wait_alu 0xfffe
	s_or_b32 exec_lo, exec_lo, s2
	v_add_co_u32 v9, vcc_lo, 0xffffff01, v86
	s_wait_alu 0xfffd
	v_add_co_ci_u32_e64 v10, null, -1, v87, vcc_lo
	v_mov_b32_e32 v8, v1
	v_dual_mov_b32 v2, v1 :: v_dual_mov_b32 v3, v1
	v_dual_mov_b32 v4, v1 :: v_dual_mov_b32 v5, v1
	;; [unrolled: 1-line block ×3, first 2 shown]
	v_cmp_gt_i64_e32 vcc_lo, s[4:5], v[9:10]
	s_delay_alu instid0(VALU_DEP_3) | instskip(NEXT) | instid1(VALU_DEP_3)
	v_dual_mov_b32 v17, v8 :: v_dual_mov_b32 v14, v5
	v_dual_mov_b32 v15, v6 :: v_dual_mov_b32 v16, v7
	v_dual_mov_b32 v13, v4 :: v_dual_mov_b32 v12, v3
	v_dual_mov_b32 v11, v2 :: v_dual_mov_b32 v10, v1
	v_mov_b32_e32 v9, v8
	v_mov_b32_e32 v8, v7
	;; [unrolled: 1-line block ×8, first 2 shown]
	s_and_saveexec_b32 s2, vcc_lo
	s_cbranch_execz .LBB92_60
; %bb.59:                               ;   in Loop: Header=BB92_53 Depth=1
	v_add_co_u32 v2, vcc_lo, v51, v18
	s_wait_alu 0xfffd
	v_add_co_ci_u32_e64 v3, null, v52, v19, vcc_lo
	v_add_co_u32 v4, vcc_lo, v53, v18
	s_wait_alu 0xfffd
	v_add_co_ci_u32_e64 v5, null, v54, v19, vcc_lo
	global_load_u16 v2, v[2:3], off
	global_load_u16 v10, v[4:5], off
	v_dual_mov_b32 v3, v1 :: v_dual_mov_b32 v4, v1
	v_dual_mov_b32 v5, v1 :: v_dual_mov_b32 v6, v1
	;; [unrolled: 1-line block ×6, first 2 shown]
	v_mov_b32_e32 v15, v1
	v_mov_b32_e32 v17, v1
	s_wait_loadcnt 0x1
	v_cvt_f32_f16_e32 v2, v2
	s_wait_loadcnt 0x0
	v_cvt_f32_f16_e32 v10, v10
.LBB92_60:                              ;   in Loop: Header=BB92_53 Depth=1
	s_wait_alu 0xfffe
	s_or_b32 exec_lo, exec_lo, s2
	v_add_co_u32 v89, vcc_lo, 0xffffff02, v86
	s_wait_alu 0xfffd
	v_add_co_ci_u32_e64 v90, null, -1, v87, vcc_lo
	s_mov_b32 s2, exec_lo
	v_cmpx_gt_i64_e64 s[4:5], v[89:90]
	s_cbranch_execz .LBB92_62
; %bb.61:                               ;   in Loop: Header=BB92_53 Depth=1
	v_add_co_u32 v89, vcc_lo, v80, v18
	s_wait_alu 0xfffd
	v_add_co_ci_u32_e64 v90, null, v81, v19, vcc_lo
	v_add_co_u32 v91, vcc_lo, v82, v18
	s_wait_alu 0xfffd
	v_add_co_ci_u32_e64 v92, null, v83, v19, vcc_lo
	global_load_u16 v3, v[89:90], off
	global_load_u16 v11, v[91:92], off
	s_wait_loadcnt 0x1
	v_cvt_f32_f16_e32 v3, v3
	s_wait_loadcnt 0x0
	v_cvt_f32_f16_e32 v11, v11
.LBB92_62:                              ;   in Loop: Header=BB92_53 Depth=1
	s_wait_alu 0xfffe
	s_or_b32 exec_lo, exec_lo, s2
	v_add_co_u32 v89, vcc_lo, 0xffffff03, v86
	s_wait_alu 0xfffd
	v_add_co_ci_u32_e64 v90, null, -1, v87, vcc_lo
	s_mov_b32 s2, exec_lo
	v_cmpx_gt_i64_e64 s[4:5], v[89:90]
	s_cbranch_execz .LBB92_64
; %bb.63:                               ;   in Loop: Header=BB92_53 Depth=1
	v_add_co_u32 v89, vcc_lo, v76, v18
	s_wait_alu 0xfffd
	v_add_co_ci_u32_e64 v90, null, v77, v19, vcc_lo
	v_add_co_u32 v91, vcc_lo, v78, v18
	s_wait_alu 0xfffd
	v_add_co_ci_u32_e64 v92, null, v79, v19, vcc_lo
	global_load_u16 v4, v[89:90], off
	global_load_u16 v12, v[91:92], off
	s_wait_loadcnt 0x1
	v_cvt_f32_f16_e32 v4, v4
	s_wait_loadcnt 0x0
	v_cvt_f32_f16_e32 v12, v12
.LBB92_64:                              ;   in Loop: Header=BB92_53 Depth=1
	;; [unrolled: 22-line block ×7, first 2 shown]
	s_wait_alu 0xfffe
	s_or_b32 exec_lo, exec_lo, s2
	s_wait_loadcnt 0x1
	ds_bpermute_b32 v90, v1, v55
	s_wait_loadcnt 0x0
	ds_bpermute_b32 v89, v1, v88
	s_mov_b32 s2, 0
	s_wait_dscnt 0x1
	v_sub_f32_e32 v10, v10, v90
	ds_bpermute_b32 v90, v1, v55 offset:4
	s_wait_dscnt 0x0
	v_sub_f32_e32 v11, v11, v90
	s_delay_alu instid0(VALU_DEP_1) | instskip(NEXT) | instid1(VALU_DEP_1)
	v_dual_mul_f32 v11, v3, v11 :: v_dual_mul_f32 v10, v2, v10
	v_fma_f32 v10, v10, v89, v84
	ds_bpermute_b32 v89, v1, v88 offset:4
	s_wait_dscnt 0x0
	v_fmac_f32_e32 v10, v11, v89
	ds_bpermute_b32 v11, v1, v55 offset:8
	s_wait_dscnt 0x0
	v_dual_sub_f32 v11, v12, v11 :: v_dual_add_f32 v2, v85, v2
	s_delay_alu instid0(VALU_DEP_1) | instskip(SKIP_4) | instid1(VALU_DEP_1)
	v_dual_mul_f32 v11, v4, v11 :: v_dual_add_f32 v2, v3, v2
	ds_bpermute_b32 v3, v1, v88 offset:8
	v_add_f32_e32 v2, v4, v2
	ds_bpermute_b32 v4, v1, v55 offset:12
	v_add_f32_e32 v2, v5, v2
	v_add_f32_e32 v2, v6, v2
	s_delay_alu instid0(VALU_DEP_1)
	v_add_f32_e32 v2, v7, v2
	s_wait_dscnt 0x1
	v_fmac_f32_e32 v10, v11, v3
	ds_bpermute_b32 v3, v1, v88 offset:12
	v_add_f32_e32 v2, v8, v2
	s_wait_dscnt 0x1
	v_sub_f32_e32 v4, v13, v4
	s_delay_alu instid0(VALU_DEP_1) | instskip(SKIP_1) | instid1(VALU_DEP_1)
	v_mul_f32_e32 v4, v5, v4
	s_wait_dscnt 0x0
	v_fmac_f32_e32 v10, v4, v3
	ds_bpermute_b32 v4, v1, v55 offset:16
	ds_bpermute_b32 v3, v1, v88 offset:16
	s_wait_dscnt 0x1
	v_sub_f32_e32 v4, v14, v4
	s_delay_alu instid0(VALU_DEP_1) | instskip(SKIP_1) | instid1(VALU_DEP_1)
	v_mul_f32_e32 v4, v6, v4
	s_wait_dscnt 0x0
	v_fmac_f32_e32 v10, v4, v3
	ds_bpermute_b32 v4, v1, v55 offset:20
	ds_bpermute_b32 v3, v1, v88 offset:20
	;; [unrolled: 8-line block ×4, first 2 shown]
	v_add_f32_e32 v55, v9, v2
	s_wait_dscnt 0x1
	v_sub_f32_e32 v4, v17, v4
	s_delay_alu instid0(VALU_DEP_1) | instskip(SKIP_1) | instid1(VALU_DEP_1)
	v_mul_f32_e32 v4, v9, v4
	s_wait_dscnt 0x0
	v_fmac_f32_e32 v10, v4, v3
.LBB92_75:                              ;   in Loop: Header=BB92_53 Depth=1
	s_wait_alu 0xfffe
	s_and_b32 vcc_lo, exec_lo, s2
	s_wait_alu 0xfffe
	s_cbranch_vccz .LBB92_81
; %bb.76:                               ;   in Loop: Header=BB92_53 Depth=1
	s_load_b32 s2, s[8:9], 0x0
	v_dual_mov_b32 v4, 0 :: v_dual_mov_b32 v5, 0
	s_wait_kmcnt 0x0
	s_cmp_lt_u32 ttmp9, s2
	s_cselect_b32 s2, 12, 18
	s_wait_alu 0xfffe
	s_add_nc_u64 s[22:23], s[8:9], s[2:3]
	s_load_u16 s2, s[22:23], 0x0
	s_wait_kmcnt 0x0
	v_mad_u32_u24 v2, v48, s2, v50
	s_mov_b32 s2, exec_lo
	s_delay_alu instid0(VALU_DEP_1) | instskip(NEXT) | instid1(VALU_DEP_1)
	v_and_b32_e32 v2, 31, v2
	v_cmpx_gt_u32_e32 8, v2
	s_cbranch_execz .LBB92_80
; %bb.77:                               ;   in Loop: Header=BB92_53 Depth=1
	v_add_co_u32 v2, vcc_lo, v86, v2
	s_wait_alu 0xfffd
	v_add_co_ci_u32_e64 v3, null, 0, v87, vcc_lo
	v_dual_mov_b32 v4, 0 :: v_dual_mov_b32 v5, 0
	s_delay_alu instid0(VALU_DEP_3) | instskip(SKIP_1) | instid1(VALU_DEP_3)
	v_add_co_u32 v2, vcc_lo, 0xffffff01, v2
	s_wait_alu 0xfffd
	v_add_co_ci_u32_e64 v3, null, -1, v3, vcc_lo
	s_mov_b32 s22, exec_lo
	v_cmpx_gt_i64_e64 s[4:5], v[2:3]
	s_cbranch_execz .LBB92_79
; %bb.78:                               ;   in Loop: Header=BB92_53 Depth=1
	v_lshlrev_b64_e32 v[2:3], 2, v[2:3]
	s_delay_alu instid0(VALU_DEP_1) | instskip(SKIP_1) | instid1(VALU_DEP_2)
	v_add_co_u32 v4, vcc_lo, s12, v2
	s_wait_alu 0xfffd
	v_add_co_ci_u32_e64 v5, null, s13, v3, vcc_lo
	v_add_co_u32 v2, vcc_lo, s14, v2
	s_wait_alu 0xfffd
	v_add_co_ci_u32_e64 v3, null, s15, v3, vcc_lo
	global_load_b32 v4, v[4:5], off
	global_load_b32 v5, v[2:3], off
.LBB92_79:                              ;   in Loop: Header=BB92_53 Depth=1
	s_wait_alu 0xfffe
	s_or_b32 exec_lo, exec_lo, s22
.LBB92_80:                              ;   in Loop: Header=BB92_53 Depth=1
	s_wait_alu 0xfffe
	s_or_b32 exec_lo, exec_lo, s2
	v_add_co_u32 v2, vcc_lo, v51, v18
	s_wait_alu 0xfffd
	v_add_co_ci_u32_e64 v3, null, v52, v19, vcc_lo
	s_wait_loadcnt 0x1
	ds_bpermute_b32 v88, v1, v4
	global_load_u16 v2, v[2:3], off
	s_wait_loadcnt 0x0
	v_cvt_f32_f16_e32 v6, v2
	v_add_co_u32 v2, vcc_lo, v53, v18
	s_wait_alu 0xfffd
	v_add_co_ci_u32_e64 v3, null, v54, v19, vcc_lo
	global_load_u16 v2, v[2:3], off
	s_wait_loadcnt 0x0
	v_cvt_f32_f16_e32 v7, v2
	v_add_co_u32 v2, vcc_lo, v20, v18
	s_wait_alu 0xfffd
	v_add_co_ci_u32_e64 v3, null, v21, v19, vcc_lo
	;; [unrolled: 6-line block ×15, first 2 shown]
	s_wait_dscnt 0x0
	v_sub_f32_e32 v7, v7, v88
	global_load_u16 v2, v[2:3], off
	ds_bpermute_b32 v3, v1, v5
	s_wait_loadcnt 0x0
	v_cvt_f32_f16_e32 v2, v2
	v_mul_f32_e32 v7, v7, v6
	s_wait_dscnt 0x0
	s_delay_alu instid0(VALU_DEP_1) | instskip(SKIP_3) | instid1(VALU_DEP_1)
	v_dual_fmac_f32 v84, v7, v3 :: v_dual_add_f32 v3, v85, v6
	ds_bpermute_b32 v7, v1, v4 offset:4
	ds_bpermute_b32 v6, v1, v5 offset:4
	v_add_f32_e32 v3, v3, v8
	v_add_f32_e32 v3, v3, v10
	s_delay_alu instid0(VALU_DEP_1) | instskip(NEXT) | instid1(VALU_DEP_1)
	v_add_f32_e32 v3, v3, v12
	v_add_f32_e32 v3, v3, v14
	s_wait_dscnt 0x1
	v_sub_f32_e32 v7, v9, v7
	s_delay_alu instid0(VALU_DEP_2) | instskip(NEXT) | instid1(VALU_DEP_2)
	v_add_f32_e32 v3, v3, v16
	v_mul_f32_e32 v7, v7, v8
	s_delay_alu instid0(VALU_DEP_2) | instskip(SKIP_1) | instid1(VALU_DEP_2)
	v_add_f32_e32 v3, v3, v55
	s_wait_dscnt 0x0
	v_fmac_f32_e32 v84, v7, v6
	ds_bpermute_b32 v7, v1, v4 offset:8
	ds_bpermute_b32 v6, v1, v5 offset:8
	s_wait_dscnt 0x1
	v_sub_f32_e32 v7, v11, v7
	s_delay_alu instid0(VALU_DEP_1) | instskip(SKIP_1) | instid1(VALU_DEP_1)
	v_mul_f32_e32 v7, v7, v10
	s_wait_dscnt 0x0
	v_fmac_f32_e32 v84, v7, v6
	ds_bpermute_b32 v7, v1, v4 offset:12
	ds_bpermute_b32 v6, v1, v5 offset:12
	s_wait_dscnt 0x1
	v_sub_f32_e32 v7, v13, v7
	s_delay_alu instid0(VALU_DEP_1) | instskip(SKIP_1) | instid1(VALU_DEP_1)
	v_mul_f32_e32 v7, v7, v12
	;; [unrolled: 8-line block ×4, first 2 shown]
	s_wait_dscnt 0x0
	v_fmac_f32_e32 v84, v7, v6
	ds_bpermute_b32 v7, v1, v4 offset:24
	ds_bpermute_b32 v4, v1, v4 offset:28
	;; [unrolled: 1-line block ×4, first 2 shown]
	s_wait_dscnt 0x3
	v_sub_f32_e32 v7, v86, v7
	s_wait_dscnt 0x2
	s_delay_alu instid0(VALU_DEP_1) | instskip(NEXT) | instid1(VALU_DEP_1)
	v_dual_sub_f32 v2, v2, v4 :: v_dual_mul_f32 v7, v7, v55
	v_mul_f32_e32 v2, v2, v87
	v_add_f32_e32 v55, v3, v87
	s_wait_dscnt 0x1
	s_delay_alu instid0(VALU_DEP_3) | instskip(SKIP_1) | instid1(VALU_DEP_1)
	v_fmac_f32_e32 v84, v7, v6
	s_wait_dscnt 0x0
	v_fmac_f32_e32 v84, v2, v5
	s_delay_alu instid0(VALU_DEP_1)
	v_mov_b32_e32 v10, v84
.LBB92_81:                              ;   in Loop: Header=BB92_53 Depth=1
	v_add_co_u32 v51, vcc_lo, v51, s10
	s_wait_alu 0xfffd
	v_add_co_ci_u32_e64 v52, null, s11, v52, vcc_lo
	v_add_co_u32 v53, vcc_lo, v53, s10
	s_wait_alu 0xfffd
	v_add_co_ci_u32_e64 v54, null, s11, v54, vcc_lo
	;; [unrolled: 3-line block ×27, first 2 shown]
	v_add_co_u32 v78, vcc_lo, v78, s10
	s_add_nc_u64 s[16:17], s[16:17], s[18:19]
	s_wait_alu 0xfffd
	v_add_co_ci_u32_e64 v79, null, s11, v79, vcc_lo
	v_add_co_u32 v80, vcc_lo, v80, s10
	s_wait_alu 0xfffe
	v_cmp_ge_i64_e64 s2, s[16:17], s[4:5]
	s_wait_alu 0xfffd
	v_add_co_ci_u32_e64 v81, null, s11, v81, vcc_lo
	v_add_co_u32 v82, vcc_lo, v82, s10
	s_wait_alu 0xfffd
	v_add_co_ci_u32_e64 v83, null, s11, v83, vcc_lo
	s_and_b32 vcc_lo, exec_lo, s2
	s_add_nc_u64 s[20:21], s[20:21], s[18:19]
	s_wait_alu 0xfffe
	s_cbranch_vccnz .LBB92_83
; %bb.82:                               ;   in Loop: Header=BB92_53 Depth=1
	v_dual_mov_b32 v85, v55 :: v_dual_mov_b32 v84, v10
	s_branch .LBB92_53
.LBB92_83:
	v_and_b32_e32 v2, 0x3ff, v0
	v_bfe_u32 v1, v0, 10, 10
	v_bfe_u32 v0, v0, 5, 5
	s_mov_b32 s3, 0
	s_mov_b32 s2, exec_lo
	s_delay_alu instid0(VALU_DEP_2) | instskip(NEXT) | instid1(VALU_DEP_2)
	v_mad_u32_u24 v3, v1, 33, v2
	v_add_nc_u32_e32 v0, v0, v1
	s_delay_alu instid0(VALU_DEP_2)
	v_lshl_add_u32 v1, v3, 2, 0
	ds_store_b32 v1, v10
	ds_store_b32 v1, v55 offset:4224
	s_wait_dscnt 0x0
	s_barrier_signal -1
	s_barrier_wait -1
	global_inv scope:SCOPE_SE
	v_cmpx_gt_u32_e32 32, v0
	s_cbranch_execz .LBB92_89
; %bb.84:
	v_and_b32_e32 v1, 31, v2
	v_mbcnt_lo_u32_b32 v3, -1, 0
	s_mov_b32 s2, ttmp9
	s_wait_alu 0xfffe
	s_lshl_b64 s[2:3], s[2:3], 5
	v_mad_u32_u24 v1, v1, 33, v0
	v_xor_b32_e32 v5, 16, v3
	v_xor_b32_e32 v7, 8, v3
	s_wait_alu 0xfffe
	v_or_b32_e32 v0, s2, v0
	v_cmp_eq_u32_e64 s2, 0, v2
	v_lshl_add_u32 v1, v1, 2, 0
	v_cmp_gt_i32_e32 vcc_lo, 32, v5
	ds_load_b32 v4, v1
	ds_load_b32 v1, v1 offset:4224
	s_wait_alu 0xfffd
	v_cndmask_b32_e32 v5, v3, v5, vcc_lo
	v_cmp_gt_i32_e32 vcc_lo, 32, v7
	s_delay_alu instid0(VALU_DEP_2) | instskip(SKIP_2) | instid1(VALU_DEP_1)
	v_lshlrev_b32_e32 v5, 2, v5
	s_wait_alu 0xfffd
	v_cndmask_b32_e32 v7, v3, v7, vcc_lo
	v_lshlrev_b32_e32 v7, 2, v7
	s_wait_dscnt 0x1
	ds_bpermute_b32 v6, v5, v4
	s_wait_dscnt 0x1
	ds_bpermute_b32 v5, v5, v1
	s_wait_dscnt 0x0
	v_dual_add_f32 v4, v4, v6 :: v_dual_add_f32 v1, v1, v5
	ds_bpermute_b32 v5, v7, v4
	ds_bpermute_b32 v6, v7, v1
	v_xor_b32_e32 v7, 4, v3
	s_delay_alu instid0(VALU_DEP_1) | instskip(SKIP_3) | instid1(VALU_DEP_1)
	v_cmp_gt_i32_e32 vcc_lo, 32, v7
	s_wait_alu 0xfffd
	v_cndmask_b32_e32 v7, v3, v7, vcc_lo
	s_wait_dscnt 0x1
	v_dual_add_f32 v4, v4, v5 :: v_dual_lshlrev_b32 v7, 2, v7
	s_wait_dscnt 0x0
	v_add_f32_e32 v1, v1, v6
	ds_bpermute_b32 v5, v7, v4
	ds_bpermute_b32 v6, v7, v1
	v_xor_b32_e32 v7, 2, v3
	s_delay_alu instid0(VALU_DEP_1) | instskip(SKIP_3) | instid1(VALU_DEP_1)
	v_cmp_gt_i32_e32 vcc_lo, 32, v7
	s_wait_alu 0xfffd
	v_cndmask_b32_e32 v7, v3, v7, vcc_lo
	s_wait_dscnt 0x1
	v_dual_add_f32 v4, v4, v5 :: v_dual_lshlrev_b32 v7, 2, v7
	s_wait_dscnt 0x0
	v_add_f32_e32 v1, v1, v6
	ds_bpermute_b32 v5, v7, v4
	ds_bpermute_b32 v6, v7, v1
	v_xor_b32_e32 v7, 1, v3
	s_delay_alu instid0(VALU_DEP_1) | instskip(SKIP_2) | instid1(VALU_DEP_1)
	v_cmp_gt_i32_e32 vcc_lo, 32, v7
	s_wait_alu 0xfffd
	v_cndmask_b32_e32 v3, v3, v7, vcc_lo
	v_lshlrev_b32_e32 v7, 2, v3
	s_wait_dscnt 0x1
	v_add_f32_e32 v5, v4, v5
	s_wait_dscnt 0x0
	v_add_f32_e32 v3, v1, v6
	v_mov_b32_e32 v1, s3
	ds_bpermute_b32 v6, v7, v5
	ds_bpermute_b32 v4, v7, v3
	v_cmp_gt_i64_e32 vcc_lo, s[6:7], v[0:1]
	s_and_b32 s2, s2, vcc_lo
	s_wait_alu 0xfffe
	s_and_b32 exec_lo, exec_lo, s2
	s_cbranch_execz .LBB92_89
; %bb.85:
	s_load_b128 s[0:3], s[0:1], 0x30
	v_lshlrev_b64_e32 v[0:1], 1, v[0:1]
	s_wait_kmcnt 0x0
	s_cmp_eq_u64 s[0:1], 0
	s_cbranch_scc1 .LBB92_87
; %bb.86:
	s_wait_dscnt 0x1
	v_add_f32_e32 v2, v5, v6
	v_add_co_u32 v5, vcc_lo, s0, v0
	s_wait_alu 0xfffd
	v_add_co_ci_u32_e64 v6, null, s1, v1, vcc_lo
	s_delay_alu instid0(VALU_DEP_3)
	v_cvt_f16_f32_e32 v2, v2
	global_store_b16 v[5:6], v2, off
.LBB92_87:
	s_cmp_eq_u64 s[2:3], 0
	s_cbranch_scc1 .LBB92_89
; %bb.88:
	s_wait_dscnt 0x0
	v_add_f32_e32 v2, v3, v4
	v_add_co_u32 v0, vcc_lo, s2, v0
	s_wait_alu 0xfffd
	v_add_co_ci_u32_e64 v1, null, s3, v1, vcc_lo
	s_delay_alu instid0(VALU_DEP_3)
	v_cvt_f16_f32_e32 v2, v2
	global_store_b16 v[0:1], v2, off
.LBB92_89:
	s_endpgm
	.section	.rodata,"a",@progbits
	.p2align	6, 0x0
	.amdhsa_kernel _ZN2at6native12_GLOBAL__N_135GammaBetaBackwardCUDAKernelTemplateIN3c104HalfEfLj32ELj32ELj256ELb0ELb0ELb0EEEvllPKT_S7_PKT0_SA_PS5_SB_
		.amdhsa_group_segment_fixed_size 0
		.amdhsa_private_segment_fixed_size 0
		.amdhsa_kernarg_size 320
		.amdhsa_user_sgpr_count 2
		.amdhsa_user_sgpr_dispatch_ptr 0
		.amdhsa_user_sgpr_queue_ptr 0
		.amdhsa_user_sgpr_kernarg_segment_ptr 1
		.amdhsa_user_sgpr_dispatch_id 0
		.amdhsa_user_sgpr_private_segment_size 0
		.amdhsa_wavefront_size32 1
		.amdhsa_uses_dynamic_stack 0
		.amdhsa_enable_private_segment 0
		.amdhsa_system_sgpr_workgroup_id_x 1
		.amdhsa_system_sgpr_workgroup_id_y 1
		.amdhsa_system_sgpr_workgroup_id_z 0
		.amdhsa_system_sgpr_workgroup_info 0
		.amdhsa_system_vgpr_workitem_id 1
		.amdhsa_next_free_vgpr 93
		.amdhsa_next_free_sgpr 36
		.amdhsa_reserve_vcc 1
		.amdhsa_float_round_mode_32 0
		.amdhsa_float_round_mode_16_64 0
		.amdhsa_float_denorm_mode_32 3
		.amdhsa_float_denorm_mode_16_64 3
		.amdhsa_fp16_overflow 0
		.amdhsa_workgroup_processor_mode 1
		.amdhsa_memory_ordered 1
		.amdhsa_forward_progress 1
		.amdhsa_inst_pref_size 82
		.amdhsa_round_robin_scheduling 0
		.amdhsa_exception_fp_ieee_invalid_op 0
		.amdhsa_exception_fp_denorm_src 0
		.amdhsa_exception_fp_ieee_div_zero 0
		.amdhsa_exception_fp_ieee_overflow 0
		.amdhsa_exception_fp_ieee_underflow 0
		.amdhsa_exception_fp_ieee_inexact 0
		.amdhsa_exception_int_div_zero 0
	.end_amdhsa_kernel
	.section	.text._ZN2at6native12_GLOBAL__N_135GammaBetaBackwardCUDAKernelTemplateIN3c104HalfEfLj32ELj32ELj256ELb0ELb0ELb0EEEvllPKT_S7_PKT0_SA_PS5_SB_,"axG",@progbits,_ZN2at6native12_GLOBAL__N_135GammaBetaBackwardCUDAKernelTemplateIN3c104HalfEfLj32ELj32ELj256ELb0ELb0ELb0EEEvllPKT_S7_PKT0_SA_PS5_SB_,comdat
.Lfunc_end92:
	.size	_ZN2at6native12_GLOBAL__N_135GammaBetaBackwardCUDAKernelTemplateIN3c104HalfEfLj32ELj32ELj256ELb0ELb0ELb0EEEvllPKT_S7_PKT0_SA_PS5_SB_, .Lfunc_end92-_ZN2at6native12_GLOBAL__N_135GammaBetaBackwardCUDAKernelTemplateIN3c104HalfEfLj32ELj32ELj256ELb0ELb0ELb0EEEvllPKT_S7_PKT0_SA_PS5_SB_
                                        ; -- End function
	.set _ZN2at6native12_GLOBAL__N_135GammaBetaBackwardCUDAKernelTemplateIN3c104HalfEfLj32ELj32ELj256ELb0ELb0ELb0EEEvllPKT_S7_PKT0_SA_PS5_SB_.num_vgpr, 93
	.set _ZN2at6native12_GLOBAL__N_135GammaBetaBackwardCUDAKernelTemplateIN3c104HalfEfLj32ELj32ELj256ELb0ELb0ELb0EEEvllPKT_S7_PKT0_SA_PS5_SB_.num_agpr, 0
	.set _ZN2at6native12_GLOBAL__N_135GammaBetaBackwardCUDAKernelTemplateIN3c104HalfEfLj32ELj32ELj256ELb0ELb0ELb0EEEvllPKT_S7_PKT0_SA_PS5_SB_.numbered_sgpr, 36
	.set _ZN2at6native12_GLOBAL__N_135GammaBetaBackwardCUDAKernelTemplateIN3c104HalfEfLj32ELj32ELj256ELb0ELb0ELb0EEEvllPKT_S7_PKT0_SA_PS5_SB_.num_named_barrier, 0
	.set _ZN2at6native12_GLOBAL__N_135GammaBetaBackwardCUDAKernelTemplateIN3c104HalfEfLj32ELj32ELj256ELb0ELb0ELb0EEEvllPKT_S7_PKT0_SA_PS5_SB_.private_seg_size, 0
	.set _ZN2at6native12_GLOBAL__N_135GammaBetaBackwardCUDAKernelTemplateIN3c104HalfEfLj32ELj32ELj256ELb0ELb0ELb0EEEvllPKT_S7_PKT0_SA_PS5_SB_.uses_vcc, 1
	.set _ZN2at6native12_GLOBAL__N_135GammaBetaBackwardCUDAKernelTemplateIN3c104HalfEfLj32ELj32ELj256ELb0ELb0ELb0EEEvllPKT_S7_PKT0_SA_PS5_SB_.uses_flat_scratch, 0
	.set _ZN2at6native12_GLOBAL__N_135GammaBetaBackwardCUDAKernelTemplateIN3c104HalfEfLj32ELj32ELj256ELb0ELb0ELb0EEEvllPKT_S7_PKT0_SA_PS5_SB_.has_dyn_sized_stack, 0
	.set _ZN2at6native12_GLOBAL__N_135GammaBetaBackwardCUDAKernelTemplateIN3c104HalfEfLj32ELj32ELj256ELb0ELb0ELb0EEEvllPKT_S7_PKT0_SA_PS5_SB_.has_recursion, 0
	.set _ZN2at6native12_GLOBAL__N_135GammaBetaBackwardCUDAKernelTemplateIN3c104HalfEfLj32ELj32ELj256ELb0ELb0ELb0EEEvllPKT_S7_PKT0_SA_PS5_SB_.has_indirect_call, 0
	.section	.AMDGPU.csdata,"",@progbits
; Kernel info:
; codeLenInByte = 10472
; TotalNumSgprs: 38
; NumVgprs: 93
; ScratchSize: 0
; MemoryBound: 0
; FloatMode: 240
; IeeeMode: 1
; LDSByteSize: 0 bytes/workgroup (compile time only)
; SGPRBlocks: 0
; VGPRBlocks: 11
; NumSGPRsForWavesPerEU: 38
; NumVGPRsForWavesPerEU: 93
; Occupancy: 16
; WaveLimiterHint : 0
; COMPUTE_PGM_RSRC2:SCRATCH_EN: 0
; COMPUTE_PGM_RSRC2:USER_SGPR: 2
; COMPUTE_PGM_RSRC2:TRAP_HANDLER: 0
; COMPUTE_PGM_RSRC2:TGID_X_EN: 1
; COMPUTE_PGM_RSRC2:TGID_Y_EN: 1
; COMPUTE_PGM_RSRC2:TGID_Z_EN: 0
; COMPUTE_PGM_RSRC2:TIDIG_COMP_CNT: 1
	.section	.text._ZN2at6native12_GLOBAL__N_118cuComputeGradInputIN3c108BFloat16EfLb0EEEvPKT_S7_llPKT0_SA_S7_PS5_,"axG",@progbits,_ZN2at6native12_GLOBAL__N_118cuComputeGradInputIN3c108BFloat16EfLb0EEEvPKT_S7_llPKT0_SA_S7_PS5_,comdat
	.globl	_ZN2at6native12_GLOBAL__N_118cuComputeGradInputIN3c108BFloat16EfLb0EEEvPKT_S7_llPKT0_SA_S7_PS5_ ; -- Begin function _ZN2at6native12_GLOBAL__N_118cuComputeGradInputIN3c108BFloat16EfLb0EEEvPKT_S7_llPKT0_SA_S7_PS5_
	.p2align	8
	.type	_ZN2at6native12_GLOBAL__N_118cuComputeGradInputIN3c108BFloat16EfLb0EEEvPKT_S7_llPKT0_SA_S7_PS5_,@function
_ZN2at6native12_GLOBAL__N_118cuComputeGradInputIN3c108BFloat16EfLb0EEEvPKT_S7_llPKT0_SA_S7_PS5_: ; @_ZN2at6native12_GLOBAL__N_118cuComputeGradInputIN3c108BFloat16EfLb0EEEvPKT_S7_llPKT0_SA_S7_PS5_
; %bb.0:
	s_load_b128 s[16:19], s[0:1], 0x10
	s_mov_b32 s4, ttmp7
	s_ashr_i32 s5, ttmp7, 31
	s_wait_kmcnt 0x0
	v_cmp_le_i64_e64 s2, s[16:17], s[4:5]
	s_and_b32 vcc_lo, exec_lo, s2
	s_cbranch_vccnz .LBB93_49
; %bb.1:
	s_clause 0x1
	s_load_b32 s2, s[0:1], 0x4c
	s_load_b256 s[8:15], s[0:1], 0x20
	s_cls_i32 s3, s19
	v_and_b32_e32 v11, 0x3ff, v0
	v_bfe_u32 v12, v0, 10, 10
	v_mov_b32_e32 v0, 0
	s_clause 0x1
	s_load_b32 s35, s[0:1], 0x44
	s_load_b128 s[20:23], s[0:1], 0x0
	v_cmp_gt_i64_e64 s36, s[18:19], 0
	v_mbcnt_lo_u32_b32 v14, -1, 0
	v_cmp_eq_u32_e64 s0, 0, v12
	v_cmp_ne_u32_e64 s1, 0, v12
	s_mov_b32 s28, ttmp7
	v_lshlrev_b32_e32 v7, 3, v11
	v_cndmask_b32_e64 v13, 0, 1, s36
	s_delay_alu instid0(VALU_DEP_2)
	v_dual_mov_b32 v3, v0 :: v_dual_add_nc_u32 v18, 0, v7
	s_wait_kmcnt 0x0
	s_lshr_b32 s29, s2, 16
	s_and_b32 s30, s2, 0xffff
	s_cmp_lg_u64 s[12:13], 0
	s_mul_i32 s37, s29, s30
	s_cselect_b32 s31, -1, 0
	s_cmp_gt_u32 s30, 1
	s_cselect_b32 s33, -1, 0
	s_cmp_gt_u32 s29, 1
	s_cselect_b32 s34, -1, 0
	s_xor_b32 s2, s18, s19
	s_add_co_i32 s3, s3, -1
	s_ashr_i32 s2, s2, 31
	s_delay_alu instid0(SALU_CYCLE_1) | instskip(NEXT) | instid1(SALU_CYCLE_1)
	s_add_co_i32 s2, s2, 32
	s_min_u32 s6, s3, s2
	s_delay_alu instid0(SALU_CYCLE_1) | instskip(NEXT) | instid1(SALU_CYCLE_1)
	s_lshl_b64 s[2:3], s[18:19], s6
	s_min_u32 s2, s2, 1
	s_delay_alu instid0(SALU_CYCLE_1) | instskip(SKIP_2) | instid1(SALU_CYCLE_3)
	s_or_b32 s2, s3, s2
	s_sub_co_i32 s3, 32, s6
	s_cvt_f32_i32 s2, s2
	v_ldexp_f32 v10, s2, s3
	s_delay_alu instid0(VALU_DEP_1) | instskip(SKIP_1) | instid1(VALU_DEP_2)
	v_div_scale_f32 v1, null, v10, v10, 1.0
	v_div_scale_f32 v5, vcc_lo, 1.0, v10, 1.0
	v_rcp_f32_e32 v4, v1
	v_xor_b32_e32 v1, 0x80000000, v1
	s_delay_alu instid0(TRANS32_DEP_1) | instid1(VALU_DEP_1)
	v_fma_f32 v2, v1, v4, 1.0
	s_delay_alu instid0(VALU_DEP_1) | instskip(NEXT) | instid1(VALU_DEP_1)
	v_fmac_f32_e32 v4, v2, v4
	v_mul_f32_e32 v6, v5, v4
	s_delay_alu instid0(VALU_DEP_1) | instskip(NEXT) | instid1(VALU_DEP_1)
	v_fma_f32 v2, v1, v6, v5
	v_fmac_f32_e32 v6, v2, v4
	v_mad_u32_u24 v2, v12, s30, v11
	s_delay_alu instid0(VALU_DEP_2) | instskip(NEXT) | instid1(VALU_DEP_2)
	v_fmac_f32_e32 v5, v1, v6
	v_lshlrev_b32_e32 v1, 3, v2
	v_cmp_gt_i64_e64 s2, s[18:19], v[2:3]
	s_wait_alu 0xfffe
	v_add_nc_u32_e32 v15, s37, v2
	s_delay_alu instid0(VALU_DEP_3) | instskip(SKIP_1) | instid1(VALU_DEP_1)
	v_add_nc_u32_e32 v16, 0, v1
	v_div_fmas_f32 v4, v5, v4, v6
	v_div_fixup_f32 v17, v4, v10, 1.0
	s_branch .LBB93_4
.LBB93_2:                               ;   in Loop: Header=BB93_4 Depth=1
	s_or_b32 exec_lo, exec_lo, s26
.LBB93_3:                               ;   in Loop: Header=BB93_4 Depth=1
	s_add_co_i32 s4, s35, s28
	s_wait_storecnt 0x0
	s_wait_loadcnt_dscnt 0x0
	s_wait_alu 0xfffe
	s_ashr_i32 s5, s4, 31
	s_mov_b32 s28, s4
	s_wait_alu 0xfffe
	v_cmp_le_i64_e64 s3, s[16:17], s[4:5]
	s_barrier_signal -1
	s_barrier_wait -1
	global_inv scope:SCOPE_SE
	s_and_b32 vcc_lo, exec_lo, s3
	s_wait_alu 0xfffe
	s_cbranch_vccnz .LBB93_49
.LBB93_4:                               ; =>This Loop Header: Depth=1
                                        ;     Child Loop BB93_8 Depth 2
                                        ;     Child Loop BB93_20 Depth 2
	;; [unrolled: 1-line block ×6, first 2 shown]
	s_lshl_b64 s[6:7], s[4:5], 2
	s_mul_u64 s[4:5], s[4:5], s[18:19]
	s_wait_alu 0xfffe
	s_add_nc_u64 s[24:25], s[8:9], s[6:7]
	s_add_nc_u64 s[6:7], s[10:11], s[6:7]
	s_load_b32 s38, s[24:25], 0x0
	s_load_b32 s39, s[6:7], 0x0
	v_cmp_ne_u32_e64 s3, 1, v13
	s_lshl_b64 s[26:27], s[4:5], 1
	s_and_not1_b32 vcc_lo, exec_lo, s31
	s_add_nc_u64 s[6:7], s[22:23], s[26:27]
	s_add_nc_u64 s[24:25], s[20:21], s[26:27]
	s_mov_b32 s4, -1
                                        ; implicit-def: $vgpr4_vgpr5
	s_wait_alu 0xfffe
	s_cbranch_vccnz .LBB93_16
; %bb.5:                                ;   in Loop: Header=BB93_4 Depth=1
	s_and_b32 vcc_lo, exec_lo, s3
	s_wait_alu 0xfffe
	s_cbranch_vccnz .LBB93_14
; %bb.6:                                ;   in Loop: Header=BB93_4 Depth=1
	v_dual_mov_b32 v4, 0 :: v_dual_mov_b32 v5, 0
	s_mov_b32 s4, 0
	s_branch .LBB93_8
.LBB93_7:                               ;   in Loop: Header=BB93_8 Depth=2
	s_wait_alu 0xfffe
	s_or_b32 exec_lo, exec_lo, s3
	s_wait_kmcnt 0x0
	v_dual_subrev_f32 v6, s38, v9 :: v_dual_mul_f32 v7, v1, v8
	s_add_co_i32 s4, s4, s37
	s_wait_alu 0xfffe
	s_ashr_i32 s5, s4, 31
	s_delay_alu instid0(VALU_DEP_1) | instskip(SKIP_2) | instid1(VALU_DEP_2)
	v_mul_f32_e32 v6, v6, v7
	s_wait_alu 0xfffe
	v_cmp_le_i64_e64 s3, s[18:19], s[4:5]
	v_dual_fmac_f32 v4, v1, v8 :: v_dual_fmac_f32 v5, s39, v6
	s_and_b32 vcc_lo, exec_lo, s3
	s_wait_alu 0xfffe
	s_cbranch_vccnz .LBB93_15
.LBB93_8:                               ;   Parent Loop BB93_4 Depth=1
                                        ; =>  This Inner Loop Header: Depth=2
	s_wait_alu 0xfffe
	v_dual_mov_b32 v1, 0 :: v_dual_add_nc_u32 v6, s4, v2
	s_delay_alu instid0(VALU_DEP_1) | instskip(NEXT) | instid1(VALU_DEP_1)
	v_ashrrev_i32_e32 v7, 31, v6
	v_cmp_gt_i64_e32 vcc_lo, s[18:19], v[6:7]
	v_lshlrev_b64_e32 v[6:7], 1, v[6:7]
	s_and_saveexec_b32 s5, vcc_lo
	s_cbranch_execz .LBB93_10
; %bb.9:                                ;   in Loop: Header=BB93_8 Depth=2
	s_delay_alu instid0(VALU_DEP_1) | instskip(SKIP_1) | instid1(VALU_DEP_2)
	v_add_co_u32 v8, s3, s12, v6
	s_wait_alu 0xf1ff
	v_add_co_ci_u32_e64 v9, null, s13, v7, s3
	global_load_u16 v1, v[8:9], off
	s_wait_loadcnt 0x0
	v_lshlrev_b32_e32 v1, 16, v1
.LBB93_10:                              ;   in Loop: Header=BB93_8 Depth=2
	s_wait_alu 0xfffe
	s_or_b32 exec_lo, exec_lo, s5
	v_dual_mov_b32 v8, 0 :: v_dual_mov_b32 v9, 0
	s_and_saveexec_b32 s5, vcc_lo
	s_cbranch_execz .LBB93_12
; %bb.11:                               ;   in Loop: Header=BB93_8 Depth=2
	v_add_co_u32 v19, s3, s6, v6
	s_wait_alu 0xf1ff
	v_add_co_ci_u32_e64 v20, null, s7, v7, s3
	global_load_u16 v9, v[19:20], off
	s_wait_loadcnt 0x0
	v_lshlrev_b32_e32 v9, 16, v9
.LBB93_12:                              ;   in Loop: Header=BB93_8 Depth=2
	s_wait_alu 0xfffe
	s_or_b32 exec_lo, exec_lo, s5
	s_and_saveexec_b32 s3, vcc_lo
	s_cbranch_execz .LBB93_7
; %bb.13:                               ;   in Loop: Header=BB93_8 Depth=2
	v_add_co_u32 v6, vcc_lo, s24, v6
	s_wait_alu 0xfffd
	v_add_co_ci_u32_e64 v7, null, s25, v7, vcc_lo
	global_load_u16 v6, v[6:7], off
	s_wait_loadcnt 0x0
	v_lshlrev_b32_e32 v8, 16, v6
	s_branch .LBB93_7
.LBB93_14:                              ;   in Loop: Header=BB93_4 Depth=1
	v_mov_b32_e32 v1, v0
	s_delay_alu instid0(VALU_DEP_1)
	v_dual_mov_b32 v5, v1 :: v_dual_mov_b32 v4, v0
.LBB93_15:                              ;   in Loop: Header=BB93_4 Depth=1
	s_mov_b32 s4, 0
.LBB93_16:                              ;   in Loop: Header=BB93_4 Depth=1
	s_wait_alu 0xfffe
	s_and_not1_b32 vcc_lo, exec_lo, s4
	s_wait_alu 0xfffe
	s_cbranch_vccnz .LBB93_25
; %bb.17:                               ;   in Loop: Header=BB93_4 Depth=1
	s_and_not1_b32 vcc_lo, exec_lo, s36
	s_wait_alu 0xfffe
	s_cbranch_vccnz .LBB93_24
; %bb.18:                               ;   in Loop: Header=BB93_4 Depth=1
	v_dual_mov_b32 v4, 0 :: v_dual_mov_b32 v5, 0
	s_mov_b32 s4, 0
	s_branch .LBB93_20
.LBB93_19:                              ;   in Loop: Header=BB93_20 Depth=2
	s_wait_alu 0xfffe
	s_or_b32 exec_lo, exec_lo, s3
	s_wait_kmcnt 0x0
	v_dual_subrev_f32 v1, s38, v1 :: v_dual_add_f32 v4, v4, v8
	s_add_co_i32 s4, s4, s37
	s_wait_alu 0xfffe
	s_ashr_i32 s5, s4, 31
	s_delay_alu instid0(VALU_DEP_1) | instskip(SKIP_2) | instid1(VALU_DEP_2)
	v_mul_f32_e32 v1, v1, v8
	s_wait_alu 0xfffe
	v_cmp_le_i64_e64 s3, s[18:19], s[4:5]
	v_fmac_f32_e32 v5, s39, v1
	s_and_b32 vcc_lo, exec_lo, s3
	s_wait_alu 0xfffe
	s_cbranch_vccnz .LBB93_25
.LBB93_20:                              ;   Parent Loop BB93_4 Depth=1
                                        ; =>  This Inner Loop Header: Depth=2
	s_wait_alu 0xfffe
	v_dual_mov_b32 v1, 0 :: v_dual_add_nc_u32 v6, s4, v2
	s_delay_alu instid0(VALU_DEP_1) | instskip(NEXT) | instid1(VALU_DEP_1)
	v_ashrrev_i32_e32 v7, 31, v6
	v_cmp_gt_i64_e32 vcc_lo, s[18:19], v[6:7]
	v_lshlrev_b64_e32 v[6:7], 1, v[6:7]
	s_and_saveexec_b32 s5, vcc_lo
	s_cbranch_execz .LBB93_22
; %bb.21:                               ;   in Loop: Header=BB93_20 Depth=2
	s_delay_alu instid0(VALU_DEP_1) | instskip(SKIP_1) | instid1(VALU_DEP_2)
	v_add_co_u32 v8, s3, s6, v6
	s_wait_alu 0xf1ff
	v_add_co_ci_u32_e64 v9, null, s7, v7, s3
	global_load_u16 v1, v[8:9], off
	s_wait_loadcnt 0x0
	v_lshlrev_b32_e32 v1, 16, v1
.LBB93_22:                              ;   in Loop: Header=BB93_20 Depth=2
	s_wait_alu 0xfffe
	s_or_b32 exec_lo, exec_lo, s5
	v_mov_b32_e32 v8, 0
	s_and_saveexec_b32 s3, vcc_lo
	s_cbranch_execz .LBB93_19
; %bb.23:                               ;   in Loop: Header=BB93_20 Depth=2
	v_add_co_u32 v6, vcc_lo, s24, v6
	s_wait_alu 0xfffd
	v_add_co_ci_u32_e64 v7, null, s25, v7, vcc_lo
	global_load_u16 v6, v[6:7], off
	s_wait_loadcnt 0x0
	v_lshlrev_b32_e32 v8, 16, v6
	s_branch .LBB93_19
.LBB93_24:                              ;   in Loop: Header=BB93_4 Depth=1
	v_mov_b32_e32 v1, v0
	s_delay_alu instid0(VALU_DEP_1)
	v_dual_mov_b32 v5, v1 :: v_dual_mov_b32 v4, v0
.LBB93_25:                              ;   in Loop: Header=BB93_4 Depth=1
	s_and_not1_b32 vcc_lo, exec_lo, s33
	s_wait_alu 0xfffe
	s_cbranch_vccnz .LBB93_28
; %bb.26:                               ;   in Loop: Header=BB93_4 Depth=1
	s_mov_b32 s3, s30
.LBB93_27:                              ;   Parent Loop BB93_4 Depth=1
                                        ; =>  This Inner Loop Header: Depth=2
	s_wait_alu 0xfffe
	s_lshr_b32 s4, s3, 1
	s_cmp_lt_u32 s3, 4
	s_wait_alu 0xfffe
	v_xor_b32_e32 v1, s4, v14
	s_mov_b32 s3, s4
	s_delay_alu instid0(VALU_DEP_1) | instskip(SKIP_2) | instid1(VALU_DEP_1)
	v_cmp_gt_i32_e32 vcc_lo, 32, v1
	s_wait_alu 0xfffd
	v_cndmask_b32_e32 v1, v14, v1, vcc_lo
	v_lshlrev_b32_e32 v1, 2, v1
	ds_bpermute_b32 v6, v1, v5
	ds_bpermute_b32 v1, v1, v4
	s_wait_dscnt 0x0
	v_dual_add_f32 v5, v5, v6 :: v_dual_add_f32 v4, v4, v1
	s_cbranch_scc0 .LBB93_27
.LBB93_28:                              ;   in Loop: Header=BB93_4 Depth=1
	s_and_not1_b32 vcc_lo, exec_lo, s34
	s_mov_b32 s5, s29
	s_wait_alu 0xfffe
	s_cbranch_vccnz .LBB93_40
.LBB93_29:                              ;   Parent Loop BB93_4 Depth=1
                                        ; =>  This Inner Loop Header: Depth=2
	s_wait_alu 0xfffe
	s_lshr_b32 s40, s5, 1
	s_and_b32 s4, s5, 0xfffe
	s_wait_alu 0xfffe
	v_cmp_le_u32_e64 s3, s40, v12
	v_cmp_gt_u32_e64 s4, s4, v12
	v_cmp_gt_u32_e32 vcc_lo, s40, v12
	s_and_b32 s4, s3, s4
	s_wait_alu 0xfffe
	s_and_saveexec_b32 s3, s4
	s_cbranch_execz .LBB93_31
; %bb.30:                               ;   in Loop: Header=BB93_29 Depth=2
	v_subrev_nc_u32_e32 v1, s40, v12
	s_delay_alu instid0(VALU_DEP_1) | instskip(NEXT) | instid1(VALU_DEP_1)
	v_mad_u32_u24 v1, v1, s30, v11
	v_lshl_add_u32 v1, v1, 3, 0
	ds_store_b64 v1, v[4:5]
.LBB93_31:                              ;   in Loop: Header=BB93_29 Depth=2
	s_wait_alu 0xfffe
	s_or_b32 exec_lo, exec_lo, s3
	s_wait_dscnt 0x0
	s_barrier_signal -1
	s_barrier_wait -1
	global_inv scope:SCOPE_SE
	s_and_saveexec_b32 s3, vcc_lo
	s_cbranch_execz .LBB93_33
; %bb.32:                               ;   in Loop: Header=BB93_29 Depth=2
	ds_load_b64 v[6:7], v16
	s_wait_dscnt 0x0
	v_dual_add_f32 v5, v5, v7 :: v_dual_add_f32 v4, v4, v6
.LBB93_33:                              ;   in Loop: Header=BB93_29 Depth=2
	s_wait_alu 0xfffe
	s_or_b32 exec_lo, exec_lo, s3
	s_cmp_lt_u32 s5, 4
	s_wait_loadcnt 0x0
	s_barrier_signal -1
	s_barrier_wait -1
	global_inv scope:SCOPE_SE
	s_cbranch_scc1 .LBB93_35
; %bb.34:                               ;   in Loop: Header=BB93_29 Depth=2
	s_mov_b32 s5, s40
	s_branch .LBB93_29
.LBB93_35:                              ;   in Loop: Header=BB93_4 Depth=1
	s_and_saveexec_b32 s3, s0
; %bb.36:                               ;   in Loop: Header=BB93_4 Depth=1
	ds_store_b64 v18, v[4:5]
; %bb.37:                               ;   in Loop: Header=BB93_4 Depth=1
	s_wait_alu 0xfffe
	s_or_b32 exec_lo, exec_lo, s3
	s_wait_loadcnt_dscnt 0x0
	s_barrier_signal -1
	s_barrier_wait -1
	global_inv scope:SCOPE_SE
	s_and_saveexec_b32 s3, s1
; %bb.38:                               ;   in Loop: Header=BB93_4 Depth=1
	ds_load_b64 v[4:5], v18
; %bb.39:                               ;   in Loop: Header=BB93_4 Depth=1
	s_wait_alu 0xfffe
	s_or_b32 exec_lo, exec_lo, s3
.LBB93_40:                              ;   in Loop: Header=BB93_4 Depth=1
	s_wait_kmcnt 0x0
	v_mul_f32_e32 v1, s39, v17
	s_and_not1_b32 vcc_lo, exec_lo, s31
	s_add_nc_u64 s[4:5], s[14:15], s[26:27]
	s_wait_alu 0xfffe
	s_cbranch_vccnz .LBB93_45
; %bb.41:                               ;   in Loop: Header=BB93_4 Depth=1
	s_and_saveexec_b32 s26, s2
	s_cbranch_execz .LBB93_44
; %bb.42:                               ;   in Loop: Header=BB93_4 Depth=1
	v_dual_mov_b32 v6, v15 :: v_dual_mov_b32 v9, v3
	v_mov_b32_e32 v8, v2
	s_mov_b32 s27, 0
.LBB93_43:                              ;   Parent Loop BB93_4 Depth=1
                                        ; =>  This Inner Loop Header: Depth=2
	s_delay_alu instid0(VALU_DEP_1) | instskip(NEXT) | instid1(VALU_DEP_1)
	v_lshlrev_b64_e32 v[19:20], 1, v[8:9]
	v_add_co_u32 v7, vcc_lo, s6, v19
	s_wait_alu 0xfffd
	s_delay_alu instid0(VALU_DEP_2)
	v_add_co_ci_u32_e64 v8, null, s7, v20, vcc_lo
	v_add_co_u32 v21, vcc_lo, s24, v19
	s_wait_alu 0xfffd
	v_add_co_ci_u32_e64 v22, null, s25, v20, vcc_lo
	v_add_co_u32 v23, vcc_lo, s12, v19
	s_wait_alu 0xfffd
	v_add_co_ci_u32_e64 v24, null, s13, v20, vcc_lo
	global_load_u16 v9, v[21:22], off
	global_load_u16 v7, v[7:8], off
	;; [unrolled: 1-line block ×3, first 2 shown]
	v_add_co_u32 v19, s3, s4, v19
	s_wait_alu 0xf1ff
	v_add_co_ci_u32_e64 v20, null, s5, v20, s3
	s_wait_loadcnt 0x2
	v_lshlrev_b32_e32 v9, 16, v9
	s_wait_loadcnt 0x1
	v_lshlrev_b32_e32 v7, 16, v7
	s_wait_loadcnt 0x0
	s_delay_alu instid0(VALU_DEP_2) | instskip(NEXT) | instid1(VALU_DEP_2)
	v_dual_mul_f32 v9, v10, v9 :: v_dual_lshlrev_b32 v8, 16, v8
	v_subrev_f32_e32 v7, s38, v7
	s_wait_dscnt 0x0
	s_delay_alu instid0(VALU_DEP_2) | instskip(NEXT) | instid1(VALU_DEP_2)
	v_fma_f32 v8, v9, v8, -v4
	v_mul_f32_e32 v7, s39, v7
	s_delay_alu instid0(VALU_DEP_1) | instskip(NEXT) | instid1(VALU_DEP_1)
	v_fma_f32 v7, -v5, v7, v8
	v_mul_f32_e32 v21, v1, v7
	s_delay_alu instid0(VALU_DEP_1) | instskip(SKIP_1) | instid1(VALU_DEP_2)
	v_bfe_u32 v7, v21, 16, 1
	v_cmp_o_f32_e64 s3, v21, v21
	v_add3_u32 v22, v21, v7, 0x7fff
	v_ashrrev_i32_e32 v7, 31, v6
	s_delay_alu instid0(VALU_DEP_1) | instskip(SKIP_1) | instid1(VALU_DEP_4)
	v_dual_mov_b32 v9, v7 :: v_dual_mov_b32 v8, v6
	v_cmp_le_i64_e32 vcc_lo, s[18:19], v[6:7]
	v_lshrrev_b32_e32 v7, 16, v22
	v_add_nc_u32_e32 v6, s37, v6
	s_wait_alu 0xf1ff
	s_delay_alu instid0(VALU_DEP_2)
	v_cndmask_b32_e64 v7, 0x7fc0, v7, s3
	s_or_b32 s27, vcc_lo, s27
	global_store_b16 v[19:20], v7, off
	s_and_not1_b32 exec_lo, exec_lo, s27
	s_cbranch_execnz .LBB93_43
.LBB93_44:                              ;   in Loop: Header=BB93_4 Depth=1
	s_or_b32 exec_lo, exec_lo, s26
	s_cbranch_execnz .LBB93_3
	s_branch .LBB93_46
.LBB93_45:                              ;   in Loop: Header=BB93_4 Depth=1
.LBB93_46:                              ;   in Loop: Header=BB93_4 Depth=1
	s_and_saveexec_b32 s26, s2
	s_cbranch_execz .LBB93_2
; %bb.47:                               ;   in Loop: Header=BB93_4 Depth=1
	v_dual_mov_b32 v19, s39 :: v_dual_mov_b32 v6, v15
	v_dual_mov_b32 v9, v3 :: v_dual_mov_b32 v8, v2
	s_mov_b32 s27, 0
.LBB93_48:                              ;   Parent Loop BB93_4 Depth=1
                                        ; =>  This Inner Loop Header: Depth=2
	s_delay_alu instid0(VALU_DEP_1) | instskip(NEXT) | instid1(VALU_DEP_1)
	v_lshlrev_b64_e32 v[20:21], 1, v[8:9]
	v_add_co_u32 v7, vcc_lo, s6, v20
	s_wait_alu 0xfffd
	s_delay_alu instid0(VALU_DEP_2)
	v_add_co_ci_u32_e64 v8, null, s7, v21, vcc_lo
	v_add_co_u32 v22, vcc_lo, s24, v20
	s_wait_alu 0xfffd
	v_add_co_ci_u32_e64 v23, null, s25, v21, vcc_lo
	global_load_u16 v7, v[7:8], off
	global_load_u16 v8, v[22:23], off
	v_add_co_u32 v20, s3, s4, v20
	s_wait_alu 0xf1ff
	v_add_co_ci_u32_e64 v21, null, s5, v21, s3
	s_wait_loadcnt 0x1
	v_lshlrev_b32_e32 v7, 16, v7
	s_wait_loadcnt 0x0
	s_delay_alu instid0(VALU_DEP_1) | instskip(SKIP_1) | instid1(VALU_DEP_1)
	v_dual_subrev_f32 v7, s38, v7 :: v_dual_lshlrev_b32 v8, 16, v8
	s_wait_dscnt 0x0
	v_fma_f32 v8, v10, v8, -v4
	s_delay_alu instid0(VALU_DEP_2) | instskip(NEXT) | instid1(VALU_DEP_1)
	v_mul_f32_e32 v7, v19, v7
	v_fma_f32 v7, -v7, v5, v8
	s_delay_alu instid0(VALU_DEP_1) | instskip(NEXT) | instid1(VALU_DEP_1)
	v_mul_f32_e32 v22, v1, v7
	v_bfe_u32 v7, v22, 16, 1
	s_delay_alu instid0(VALU_DEP_1) | instskip(SKIP_1) | instid1(VALU_DEP_1)
	v_add3_u32 v23, v22, v7, 0x7fff
	v_ashrrev_i32_e32 v7, 31, v6
	v_dual_mov_b32 v9, v7 :: v_dual_mov_b32 v8, v6
	v_cmp_le_i64_e32 vcc_lo, s[18:19], v[6:7]
	s_delay_alu instid0(VALU_DEP_4)
	v_lshrrev_b32_e32 v7, 16, v23
	v_cmp_o_f32_e64 s3, v22, v22
	v_add_nc_u32_e32 v6, s37, v6
	s_or_b32 s27, vcc_lo, s27
	s_wait_alu 0xf1ff
	v_cndmask_b32_e64 v7, 0x7fc0, v7, s3
	global_store_b16 v[20:21], v7, off
	s_and_not1_b32 exec_lo, exec_lo, s27
	s_cbranch_execnz .LBB93_48
	s_branch .LBB93_2
.LBB93_49:
	s_endpgm
	.section	.rodata,"a",@progbits
	.p2align	6, 0x0
	.amdhsa_kernel _ZN2at6native12_GLOBAL__N_118cuComputeGradInputIN3c108BFloat16EfLb0EEEvPKT_S7_llPKT0_SA_S7_PS5_
		.amdhsa_group_segment_fixed_size 0
		.amdhsa_private_segment_fixed_size 0
		.amdhsa_kernarg_size 320
		.amdhsa_user_sgpr_count 2
		.amdhsa_user_sgpr_dispatch_ptr 0
		.amdhsa_user_sgpr_queue_ptr 0
		.amdhsa_user_sgpr_kernarg_segment_ptr 1
		.amdhsa_user_sgpr_dispatch_id 0
		.amdhsa_user_sgpr_private_segment_size 0
		.amdhsa_wavefront_size32 1
		.amdhsa_uses_dynamic_stack 0
		.amdhsa_enable_private_segment 0
		.amdhsa_system_sgpr_workgroup_id_x 1
		.amdhsa_system_sgpr_workgroup_id_y 1
		.amdhsa_system_sgpr_workgroup_id_z 0
		.amdhsa_system_sgpr_workgroup_info 0
		.amdhsa_system_vgpr_workitem_id 1
		.amdhsa_next_free_vgpr 25
		.amdhsa_next_free_sgpr 41
		.amdhsa_reserve_vcc 1
		.amdhsa_float_round_mode_32 0
		.amdhsa_float_round_mode_16_64 0
		.amdhsa_float_denorm_mode_32 3
		.amdhsa_float_denorm_mode_16_64 3
		.amdhsa_fp16_overflow 0
		.amdhsa_workgroup_processor_mode 1
		.amdhsa_memory_ordered 1
		.amdhsa_forward_progress 1
		.amdhsa_inst_pref_size 17
		.amdhsa_round_robin_scheduling 0
		.amdhsa_exception_fp_ieee_invalid_op 0
		.amdhsa_exception_fp_denorm_src 0
		.amdhsa_exception_fp_ieee_div_zero 0
		.amdhsa_exception_fp_ieee_overflow 0
		.amdhsa_exception_fp_ieee_underflow 0
		.amdhsa_exception_fp_ieee_inexact 0
		.amdhsa_exception_int_div_zero 0
	.end_amdhsa_kernel
	.section	.text._ZN2at6native12_GLOBAL__N_118cuComputeGradInputIN3c108BFloat16EfLb0EEEvPKT_S7_llPKT0_SA_S7_PS5_,"axG",@progbits,_ZN2at6native12_GLOBAL__N_118cuComputeGradInputIN3c108BFloat16EfLb0EEEvPKT_S7_llPKT0_SA_S7_PS5_,comdat
.Lfunc_end93:
	.size	_ZN2at6native12_GLOBAL__N_118cuComputeGradInputIN3c108BFloat16EfLb0EEEvPKT_S7_llPKT0_SA_S7_PS5_, .Lfunc_end93-_ZN2at6native12_GLOBAL__N_118cuComputeGradInputIN3c108BFloat16EfLb0EEEvPKT_S7_llPKT0_SA_S7_PS5_
                                        ; -- End function
	.set _ZN2at6native12_GLOBAL__N_118cuComputeGradInputIN3c108BFloat16EfLb0EEEvPKT_S7_llPKT0_SA_S7_PS5_.num_vgpr, 25
	.set _ZN2at6native12_GLOBAL__N_118cuComputeGradInputIN3c108BFloat16EfLb0EEEvPKT_S7_llPKT0_SA_S7_PS5_.num_agpr, 0
	.set _ZN2at6native12_GLOBAL__N_118cuComputeGradInputIN3c108BFloat16EfLb0EEEvPKT_S7_llPKT0_SA_S7_PS5_.numbered_sgpr, 41
	.set _ZN2at6native12_GLOBAL__N_118cuComputeGradInputIN3c108BFloat16EfLb0EEEvPKT_S7_llPKT0_SA_S7_PS5_.num_named_barrier, 0
	.set _ZN2at6native12_GLOBAL__N_118cuComputeGradInputIN3c108BFloat16EfLb0EEEvPKT_S7_llPKT0_SA_S7_PS5_.private_seg_size, 0
	.set _ZN2at6native12_GLOBAL__N_118cuComputeGradInputIN3c108BFloat16EfLb0EEEvPKT_S7_llPKT0_SA_S7_PS5_.uses_vcc, 1
	.set _ZN2at6native12_GLOBAL__N_118cuComputeGradInputIN3c108BFloat16EfLb0EEEvPKT_S7_llPKT0_SA_S7_PS5_.uses_flat_scratch, 0
	.set _ZN2at6native12_GLOBAL__N_118cuComputeGradInputIN3c108BFloat16EfLb0EEEvPKT_S7_llPKT0_SA_S7_PS5_.has_dyn_sized_stack, 0
	.set _ZN2at6native12_GLOBAL__N_118cuComputeGradInputIN3c108BFloat16EfLb0EEEvPKT_S7_llPKT0_SA_S7_PS5_.has_recursion, 0
	.set _ZN2at6native12_GLOBAL__N_118cuComputeGradInputIN3c108BFloat16EfLb0EEEvPKT_S7_llPKT0_SA_S7_PS5_.has_indirect_call, 0
	.section	.AMDGPU.csdata,"",@progbits
; Kernel info:
; codeLenInByte = 2164
; TotalNumSgprs: 43
; NumVgprs: 25
; ScratchSize: 0
; MemoryBound: 0
; FloatMode: 240
; IeeeMode: 1
; LDSByteSize: 0 bytes/workgroup (compile time only)
; SGPRBlocks: 0
; VGPRBlocks: 3
; NumSGPRsForWavesPerEU: 43
; NumVGPRsForWavesPerEU: 25
; Occupancy: 16
; WaveLimiterHint : 0
; COMPUTE_PGM_RSRC2:SCRATCH_EN: 0
; COMPUTE_PGM_RSRC2:USER_SGPR: 2
; COMPUTE_PGM_RSRC2:TRAP_HANDLER: 0
; COMPUTE_PGM_RSRC2:TGID_X_EN: 1
; COMPUTE_PGM_RSRC2:TGID_Y_EN: 1
; COMPUTE_PGM_RSRC2:TGID_Z_EN: 0
; COMPUTE_PGM_RSRC2:TIDIG_COMP_CNT: 1
	.section	.text._ZN2at6native12_GLOBAL__N_128layer_norm_grad_input_kernelIN3c108BFloat16EfLb0EEEvPKT_S7_PKT0_SA_S7_PS5_i,"axG",@progbits,_ZN2at6native12_GLOBAL__N_128layer_norm_grad_input_kernelIN3c108BFloat16EfLb0EEEvPKT_S7_PKT0_SA_S7_PS5_i,comdat
	.globl	_ZN2at6native12_GLOBAL__N_128layer_norm_grad_input_kernelIN3c108BFloat16EfLb0EEEvPKT_S7_PKT0_SA_S7_PS5_i ; -- Begin function _ZN2at6native12_GLOBAL__N_128layer_norm_grad_input_kernelIN3c108BFloat16EfLb0EEEvPKT_S7_PKT0_SA_S7_PS5_i
	.p2align	8
	.type	_ZN2at6native12_GLOBAL__N_128layer_norm_grad_input_kernelIN3c108BFloat16EfLb0EEEvPKT_S7_PKT0_SA_S7_PS5_i,@function
_ZN2at6native12_GLOBAL__N_128layer_norm_grad_input_kernelIN3c108BFloat16EfLb0EEEvPKT_S7_PKT0_SA_S7_PS5_i: ; @_ZN2at6native12_GLOBAL__N_128layer_norm_grad_input_kernelIN3c108BFloat16EfLb0EEEvPKT_S7_PKT0_SA_S7_PS5_i
; %bb.0:
	s_clause 0x1
	s_load_b256 s[4:11], s[0:1], 0x0
	s_load_b32 s12, s[0:1], 0x30
	s_mov_b32 s2, ttmp9
	s_mov_b32 s3, 0
	s_load_b64 s[14:15], s[0:1], 0x20
	s_lshl_b64 s[16:17], s[2:3], 2
	v_dual_mov_b32 v10, 0 :: v_dual_lshlrev_b32 v1, 2, v0
	v_mov_b32_e32 v9, 0
	s_delay_alu instid0(VALU_DEP_2)
	v_or_b32_e32 v2, 3, v1
	s_wait_kmcnt 0x0
	s_add_nc_u64 s[8:9], s[8:9], s[16:17]
	s_add_nc_u64 s[10:11], s[10:11], s[16:17]
	s_load_b32 s18, s[8:9], 0x0
	s_load_b32 s19, s[10:11], 0x0
	s_ashr_i32 s13, s12, 31
	s_delay_alu instid0(SALU_CYCLE_1) | instskip(SKIP_2) | instid1(SALU_CYCLE_1)
	s_mul_u64 s[8:9], s[12:13], s[2:3]
	s_mov_b32 s2, exec_lo
	s_lshl_b64 s[16:17], s[8:9], 1
	s_add_nc_u64 s[8:9], s[6:7], s[16:17]
	s_add_nc_u64 s[10:11], s[4:5], s[16:17]
	v_cmpx_gt_u32_e64 s12, v2
	s_cbranch_execz .LBB94_12
; %bb.1:
	s_load_b32 s20, s[0:1], 0x44
	s_cmp_lg_u64 s[14:15], 0
	v_dual_mov_b32 v2, 0 :: v_dual_mov_b32 v9, 0
	v_mov_b32_e32 v10, 0
	s_cselect_b32 s13, -1, 0
	s_wait_kmcnt 0x0
	s_and_b32 s20, s20, 0xffff
	s_delay_alu instid0(SALU_CYCLE_1)
	s_lshl_b32 s20, s20, 2
	s_branch .LBB94_3
.LBB94_2:                               ;   in Loop: Header=BB94_3 Depth=1
	global_load_u16 v5, v[5:6], off offset:6
	global_load_u16 v3, v[3:4], off offset:6
	s_wait_loadcnt 0x5
	v_lshlrev_b32_e32 v7, 16, v17
	s_wait_loadcnt 0x4
	v_lshlrev_b32_e32 v8, 16, v18
	v_lshlrev_b32_e32 v4, 16, v16
	s_wait_loadcnt 0x2
	v_lshlrev_b32_e32 v17, 16, v19
	s_delay_alu instid0(VALU_DEP_3) | instskip(SKIP_1) | instid1(VALU_DEP_2)
	v_dual_subrev_f32 v7, s18, v7 :: v_dual_mul_f32 v18, v11, v8
	v_lshlrev_b32_e32 v6, 16, v15
	v_dual_mul_f32 v16, v12, v4 :: v_dual_mul_f32 v7, v7, v18
	s_delay_alu instid0(VALU_DEP_2) | instskip(NEXT) | instid1(VALU_DEP_1)
	v_dual_subrev_f32 v6, s18, v6 :: v_dual_lshlrev_b32 v15, 16, v20
	v_dual_mul_f32 v6, v6, v16 :: v_dual_add_nc_u32 v1, s20, v1
	v_fmac_f32_e32 v10, v12, v4
	v_mul_f32_e32 v4, v14, v17
	s_delay_alu instid0(VALU_DEP_3) | instskip(NEXT) | instid1(VALU_DEP_1)
	v_dual_subrev_f32 v12, s18, v15 :: v_dual_fmac_f32 v9, s19, v6
	v_fmac_f32_e32 v9, s19, v7
	v_add_nc_u32_e32 v7, 3, v1
	s_delay_alu instid0(VALU_DEP_1)
	v_cmp_le_u32_e32 vcc_lo, s12, v7
	s_or_b32 s3, vcc_lo, s3
	s_wait_loadcnt 0x1
	v_lshlrev_b32_e32 v5, 16, v5
	s_wait_loadcnt 0x0
	v_dual_fmac_f32 v10, v11, v8 :: v_dual_lshlrev_b32 v3, 16, v3
	v_mul_f32_e32 v4, v12, v4
	s_delay_alu instid0(VALU_DEP_2) | instskip(NEXT) | instid1(VALU_DEP_2)
	v_dual_mul_f32 v6, v13, v5 :: v_dual_subrev_f32 v3, s18, v3
	v_dual_fmac_f32 v9, s19, v4 :: v_dual_fmac_f32 v10, v14, v17
	s_delay_alu instid0(VALU_DEP_1) | instskip(NEXT) | instid1(VALU_DEP_1)
	v_dual_mul_f32 v3, v3, v6 :: v_dual_fmac_f32 v10, v13, v5
	v_fmac_f32_e32 v9, s19, v3
	s_and_not1_b32 exec_lo, exec_lo, s3
	s_cbranch_execz .LBB94_11
.LBB94_3:                               ; =>This Inner Loop Header: Depth=1
	v_lshlrev_b64_e32 v[7:8], 1, v[1:2]
	v_dual_mov_b32 v11, 1.0 :: v_dual_mov_b32 v12, 1.0
	s_wait_alu 0xfffe
	s_and_b32 vcc_lo, exec_lo, s13
	s_wait_alu 0xfffe
	s_cbranch_vccz .LBB94_5
; %bb.4:                                ;   in Loop: Header=BB94_3 Depth=1
	v_add_co_u32 v3, vcc_lo, s14, v7
	s_wait_alu 0xfffd
	v_add_co_ci_u32_e64 v4, null, s15, v8, vcc_lo
	global_load_u16 v3, v[3:4], off
	s_wait_loadcnt 0x0
	v_lshlrev_b32_e32 v12, 16, v3
.LBB94_5:                               ;   in Loop: Header=BB94_3 Depth=1
	v_add_co_u32 v3, vcc_lo, s8, v7
	s_wait_alu 0xfffd
	v_add_co_ci_u32_e64 v4, null, s9, v8, vcc_lo
	v_add_co_u32 v5, vcc_lo, s10, v7
	s_wait_alu 0xfffd
	v_add_co_ci_u32_e64 v6, null, s11, v8, vcc_lo
	global_load_u16 v15, v[3:4], off
	global_load_u16 v16, v[5:6], off
	s_and_not1_b32 vcc_lo, exec_lo, s13
	s_wait_alu 0xfffe
	s_cbranch_vccnz .LBB94_7
; %bb.6:                                ;   in Loop: Header=BB94_3 Depth=1
	v_add_co_u32 v13, vcc_lo, s14, v7
	s_wait_alu 0xfffd
	v_add_co_ci_u32_e64 v14, null, s15, v8, vcc_lo
	global_load_u16 v11, v[13:14], off offset:2
	s_wait_loadcnt 0x0
	v_lshlrev_b32_e32 v11, 16, v11
.LBB94_7:                               ;   in Loop: Header=BB94_3 Depth=1
	global_load_u16 v17, v[3:4], off offset:2
	global_load_u16 v18, v[5:6], off offset:2
	v_dual_mov_b32 v13, 1.0 :: v_dual_mov_b32 v14, 1.0
	s_and_not1_b32 vcc_lo, exec_lo, s13
	s_wait_alu 0xfffe
	s_cbranch_vccnz .LBB94_9
; %bb.8:                                ;   in Loop: Header=BB94_3 Depth=1
	v_add_co_u32 v19, vcc_lo, s14, v7
	s_wait_alu 0xfffd
	v_add_co_ci_u32_e64 v20, null, s15, v8, vcc_lo
	global_load_u16 v14, v[19:20], off offset:4
	s_wait_loadcnt 0x0
	v_lshlrev_b32_e32 v14, 16, v14
.LBB94_9:                               ;   in Loop: Header=BB94_3 Depth=1
	global_load_u16 v20, v[3:4], off offset:4
	global_load_u16 v19, v[5:6], off offset:4
	s_and_not1_b32 vcc_lo, exec_lo, s13
	s_wait_alu 0xfffe
	s_cbranch_vccnz .LBB94_2
; %bb.10:                               ;   in Loop: Header=BB94_3 Depth=1
	v_add_co_u32 v7, vcc_lo, s14, v7
	s_wait_alu 0xfffd
	v_add_co_ci_u32_e64 v8, null, s15, v8, vcc_lo
	global_load_u16 v7, v[7:8], off offset:6
	s_wait_loadcnt 0x0
	v_lshlrev_b32_e32 v13, 16, v7
	s_branch .LBB94_2
.LBB94_11:
	s_or_b32 exec_lo, exec_lo, s3
.LBB94_12:
	s_delay_alu instid0(SALU_CYCLE_1) | instskip(NEXT) | instid1(SALU_CYCLE_1)
	s_or_b32 exec_lo, exec_lo, s2
	s_mov_b32 s3, exec_lo
	v_cmpx_gt_u32_e64 s12, v1
	s_cbranch_execz .LBB94_19
; %bb.13:
	v_mov_b32_e32 v2, 0
	s_cmp_lg_u64 s[14:15], 0
	s_delay_alu instid0(VALU_DEP_1) | instskip(NEXT) | instid1(VALU_DEP_1)
	v_lshlrev_b64_e32 v[2:3], 1, v[1:2]
	v_add_co_u32 v6, vcc_lo, s16, v2
	s_wait_alu 0xfffd
	s_delay_alu instid0(VALU_DEP_2)
	v_add_co_ci_u32_e64 v7, null, s17, v3, vcc_lo
	v_add_co_u32 v2, vcc_lo, s14, v2
	s_wait_alu 0xfffd
	v_add_co_ci_u32_e64 v3, null, s15, v3, vcc_lo
	v_add_co_u32 v4, vcc_lo, s6, v6
	s_wait_alu 0xfffd
	;; [unrolled: 3-line block ×3, first 2 shown]
	v_add_co_ci_u32_e64 v7, null, s5, v7, vcc_lo
	s_cselect_b32 s4, -1, 0
	s_mov_b32 s5, 0
	s_branch .LBB94_16
.LBB94_14:                              ;   in Loop: Header=BB94_16 Depth=1
	global_load_u16 v8, v[2:3], off
	s_wait_loadcnt 0x0
	v_lshlrev_b32_e32 v8, 16, v8
.LBB94_15:                              ;   in Loop: Header=BB94_16 Depth=1
	global_load_u16 v11, v[6:7], off
	global_load_u16 v12, v[4:5], off
	v_add_co_u32 v2, vcc_lo, v2, 2
	s_wait_alu 0xfffd
	v_add_co_ci_u32_e64 v3, null, 0, v3, vcc_lo
	v_add_co_u32 v4, vcc_lo, v4, 2
	s_wait_alu 0xfffd
	v_add_co_ci_u32_e64 v5, null, 0, v5, vcc_lo
	v_add_co_u32 v6, s2, v6, 2
	s_wait_alu 0xf1ff
	v_add_co_ci_u32_e64 v7, null, 0, v7, s2
	s_wait_loadcnt 0x0
	v_lshlrev_b32_e32 v12, 16, v12
	s_wait_kmcnt 0x0
	s_delay_alu instid0(VALU_DEP_1) | instskip(NEXT) | instid1(VALU_DEP_1)
	v_dual_subrev_f32 v12, s18, v12 :: v_dual_lshlrev_b32 v11, 16, v11
	v_mul_f32_e32 v13, v8, v11
	v_dual_fmac_f32 v10, v8, v11 :: v_dual_add_nc_u32 v1, 1, v1
	s_delay_alu instid0(VALU_DEP_2) | instskip(NEXT) | instid1(VALU_DEP_2)
	v_mul_f32_e32 v12, v12, v13
	v_cmp_le_u32_e32 vcc_lo, s12, v1
	s_delay_alu instid0(VALU_DEP_2)
	v_fmac_f32_e32 v9, s19, v12
	s_or_b32 s5, vcc_lo, s5
	s_wait_alu 0xfffe
	s_and_not1_b32 exec_lo, exec_lo, s5
	s_cbranch_execz .LBB94_18
.LBB94_16:                              ; =>This Inner Loop Header: Depth=1
	s_wait_alu 0xfffe
	s_and_not1_b32 vcc_lo, exec_lo, s4
	s_wait_alu 0xfffe
	s_cbranch_vccz .LBB94_14
; %bb.17:                               ;   in Loop: Header=BB94_16 Depth=1
	v_mov_b32_e32 v8, 1.0
	s_branch .LBB94_15
.LBB94_18:
	s_or_b32 exec_lo, exec_lo, s5
.LBB94_19:
	s_delay_alu instid0(SALU_CYCLE_1)
	s_or_b32 exec_lo, exec_lo, s3
	v_mbcnt_lo_u32_b32 v1, -1, 0
	s_barrier_signal -1
	s_barrier_wait -1
	global_inv scope:SCOPE_SE
	v_lshl_or_b32 v3, v1, 2, 64
	v_cmp_gt_u32_e32 vcc_lo, 24, v1
	ds_bpermute_b32 v2, v3, v10
	s_wait_alu 0xfffd
	v_cndmask_b32_e64 v4, 0, 8, vcc_lo
	v_cmp_gt_u32_e32 vcc_lo, 28, v1
	s_delay_alu instid0(VALU_DEP_2) | instskip(SKIP_3) | instid1(VALU_DEP_2)
	v_add_lshl_u32 v4, v4, v1, 2
	s_wait_alu 0xfffd
	v_cndmask_b32_e64 v5, 0, 4, vcc_lo
	v_cmp_gt_u32_e32 vcc_lo, 30, v1
	v_add_lshl_u32 v5, v5, v1, 2
	s_wait_dscnt 0x0
	v_add_f32_e32 v2, v10, v2
	ds_bpermute_b32 v6, v4, v2
	s_wait_dscnt 0x0
	v_add_f32_e32 v2, v2, v6
	s_wait_alu 0xfffd
	v_cndmask_b32_e64 v6, 0, 2, vcc_lo
	v_cmp_ne_u32_e32 vcc_lo, 31, v1
	ds_bpermute_b32 v7, v5, v2
	v_add_lshl_u32 v6, v6, v1, 2
	s_wait_alu 0xfffd
	v_add_co_ci_u32_e64 v8, null, 0, v1, vcc_lo
	s_wait_dscnt 0x0
	v_add_f32_e32 v2, v2, v7
	ds_bpermute_b32 v7, v6, v2
	s_wait_dscnt 0x0
	v_add_f32_e32 v1, v2, v7
	v_lshlrev_b32_e32 v7, 2, v8
	v_and_b32_e32 v8, 31, v0
	v_lshrrev_b32_e32 v2, 3, v0
	ds_bpermute_b32 v10, v7, v1
	v_cmp_eq_u32_e32 vcc_lo, 0, v8
	s_and_saveexec_b32 s2, vcc_lo
	s_cbranch_execz .LBB94_21
; %bb.20:
	v_add_nc_u32_e32 v11, 0, v2
	s_wait_dscnt 0x0
	v_add_f32_e32 v1, v1, v10
	ds_store_b32 v11, v1
.LBB94_21:
	s_wait_alu 0xfffe
	s_or_b32 exec_lo, exec_lo, s2
	s_wait_loadcnt_dscnt 0x0
	s_barrier_signal -1
	s_barrier_wait -1
	global_inv scope:SCOPE_SE
	s_load_b32 s4, s[0:1], 0x44
	v_mov_b32_e32 v1, 0
	v_lshl_add_u32 v8, v8, 2, 0
	s_wait_kmcnt 0x0
	s_bfe_u32 s2, s4, 0xb0005
	s_wait_alu 0xfffe
	v_cmp_gt_u32_e64 s2, s2, v0
	s_and_saveexec_b32 s3, s2
; %bb.22:
	ds_load_b32 v1, v8
; %bb.23:
	s_wait_alu 0xfffe
	s_or_b32 exec_lo, exec_lo, s3
	v_cmp_gt_u32_e64 s3, 32, v0
	s_and_saveexec_b32 s5, s3
	s_cbranch_execz .LBB94_25
; %bb.24:
	s_wait_dscnt 0x0
	ds_bpermute_b32 v10, v3, v1
	s_wait_dscnt 0x0
	v_add_f32_e32 v1, v1, v10
	ds_bpermute_b32 v10, v4, v1
	s_wait_dscnt 0x0
	v_add_f32_e32 v1, v1, v10
	;; [unrolled: 3-line block ×5, first 2 shown]
.LBB94_25:
	s_wait_alu 0xfffe
	s_or_b32 exec_lo, exec_lo, s5
	ds_bpermute_b32 v10, v3, v9
	s_wait_loadcnt_dscnt 0x0
	s_barrier_signal -1
	s_barrier_wait -1
	global_inv scope:SCOPE_SE
	v_add_f32_e32 v9, v9, v10
	ds_bpermute_b32 v10, v4, v9
	s_wait_dscnt 0x0
	v_add_f32_e32 v9, v9, v10
	ds_bpermute_b32 v10, v5, v9
	s_wait_dscnt 0x0
	;; [unrolled: 3-line block ×3, first 2 shown]
	v_add_f32_e32 v9, v9, v10
	ds_bpermute_b32 v10, v7, v9
	s_and_saveexec_b32 s5, vcc_lo
	s_cbranch_execz .LBB94_27
; %bb.26:
	v_add_nc_u32_e32 v2, 0, v2
	s_wait_dscnt 0x0
	v_add_f32_e32 v9, v9, v10
	ds_store_b32 v2, v9
.LBB94_27:
	s_wait_alu 0xfffe
	s_or_b32 exec_lo, exec_lo, s5
	v_mov_b32_e32 v2, 0
	s_wait_loadcnt_dscnt 0x0
	s_barrier_signal -1
	s_barrier_wait -1
	global_inv scope:SCOPE_SE
	s_and_saveexec_b32 s5, s2
; %bb.28:
	ds_load_b32 v2, v8
; %bb.29:
	s_wait_alu 0xfffe
	s_or_b32 exec_lo, exec_lo, s5
	s_and_saveexec_b32 s2, s3
	s_cbranch_execz .LBB94_31
; %bb.30:
	s_wait_dscnt 0x0
	ds_bpermute_b32 v3, v3, v2
	s_wait_dscnt 0x0
	v_add_f32_e32 v2, v2, v3
	ds_bpermute_b32 v3, v4, v2
	s_wait_dscnt 0x0
	v_add_f32_e32 v2, v2, v3
	;; [unrolled: 3-line block ×5, first 2 shown]
.LBB94_31:
	s_wait_alu 0xfffe
	s_or_b32 exec_lo, exec_lo, s2
	s_delay_alu instid0(SALU_CYCLE_1)
	s_mov_b32 s2, exec_lo
	v_cmpx_eq_u32_e32 0, v0
	s_cbranch_execz .LBB94_33
; %bb.32:
	v_mov_b32_e32 v3, 0
	s_wait_dscnt 0x0
	ds_store_b64 v3, v[1:2]
.LBB94_33:
	s_wait_alu 0xfffe
	s_or_b32 exec_lo, exec_lo, s2
	s_wait_loadcnt_dscnt 0x0
	s_barrier_signal -1
	s_barrier_wait -1
	global_inv scope:SCOPE_SE
	s_mov_b32 s2, exec_lo
	v_cmpx_gt_i32_e64 s12, v0
	s_cbranch_execz .LBB94_39
; %bb.34:
	s_cvt_f32_i32 s5, s12
	s_load_b64 s[2:3], s[0:1], 0x28
	s_and_b32 s1, 0xffff, s4
	s_cmp_lg_u64 s[14:15], 0
	v_div_scale_f32 v1, null, s5, s5, 1.0
	v_div_scale_f32 v5, vcc_lo, 1.0, s5, 1.0
	s_cselect_b32 s4, -1, 0
	v_rcp_f32_e32 v4, v1
	v_xor_b32_e32 v1, 0x80000000, v1
	s_mov_b32 s6, 0
	s_delay_alu instid0(TRANS32_DEP_1) | instid1(VALU_DEP_1)
	v_fma_f32 v2, v1, v4, 1.0
	s_wait_kmcnt 0x0
	s_add_nc_u64 s[2:3], s[2:3], s[16:17]
	s_delay_alu instid0(VALU_DEP_1) | instskip(NEXT) | instid1(VALU_DEP_1)
	v_fmac_f32_e32 v4, v2, v4
	v_mul_f32_e32 v6, v5, v4
	s_delay_alu instid0(VALU_DEP_1) | instskip(NEXT) | instid1(VALU_DEP_1)
	v_fma_f32 v2, v1, v6, v5
	v_fmac_f32_e32 v6, v2, v4
	s_delay_alu instid0(VALU_DEP_1) | instskip(SKIP_3) | instid1(VALU_DEP_1)
	v_dual_mov_b32 v2, 0 :: v_dual_fmac_f32 v5, v1, v6
	ds_load_b64 v[2:3], v2
	s_wait_alu 0xfffd
	v_div_fmas_f32 v1, v5, v4, v6
	v_div_fixup_f32 v1, v1, s5, 1.0
	s_delay_alu instid0(VALU_DEP_1)
	v_mul_f32_e32 v6, s19, v1
	s_branch .LBB94_37
.LBB94_35:                              ;   in Loop: Header=BB94_37 Depth=1
	v_add_co_u32 v8, vcc_lo, s14, v4
	s_wait_alu 0xfffd
	v_add_co_ci_u32_e64 v9, null, s15, v5, vcc_lo
	global_load_u16 v8, v[8:9], off
	s_wait_loadcnt 0x0
	v_lshlrev_b32_e32 v8, 16, v8
.LBB94_36:                              ;   in Loop: Header=BB94_37 Depth=1
	s_wait_loadcnt 0x1
	s_delay_alu instid0(VALU_DEP_1) | instskip(SKIP_2) | instid1(VALU_DEP_2)
	v_dual_mul_f32 v8, s5, v8 :: v_dual_lshlrev_b32 v7, 16, v7
	s_wait_loadcnt 0x0
	v_lshlrev_b32_e32 v1, 16, v1
	v_dual_subrev_f32 v7, s18, v7 :: v_dual_add_nc_u32 v0, s1, v0
	s_delay_alu instid0(VALU_DEP_1) | instskip(NEXT) | instid1(VALU_DEP_2)
	v_cmp_le_i32_e32 vcc_lo, s12, v0
	v_mul_f32_e32 v7, s19, v7
	s_or_b32 s6, vcc_lo, s6
	s_wait_dscnt 0x0
	s_delay_alu instid0(VALU_DEP_1) | instskip(NEXT) | instid1(VALU_DEP_1)
	v_mul_f32_e32 v7, v3, v7
	v_fma_f32 v1, v8, v1, -v7
	s_delay_alu instid0(VALU_DEP_1) | instskip(NEXT) | instid1(VALU_DEP_1)
	v_sub_f32_e32 v1, v1, v2
	v_mul_f32_e32 v1, v6, v1
	s_delay_alu instid0(VALU_DEP_1) | instskip(SKIP_1) | instid1(VALU_DEP_2)
	v_bfe_u32 v7, v1, 16, 1
	v_cmp_o_f32_e64 s0, v1, v1
	v_add3_u32 v7, v1, v7, 0x7fff
	s_delay_alu instid0(VALU_DEP_1) | instskip(SKIP_1) | instid1(VALU_DEP_1)
	v_lshrrev_b32_e32 v7, 16, v7
	s_wait_alu 0xf1ff
	v_cndmask_b32_e64 v1, 0x7fc0, v7, s0
	v_add_co_u32 v4, s0, s2, v4
	s_wait_alu 0xf1ff
	v_add_co_ci_u32_e64 v5, null, s3, v5, s0
	global_store_b16 v[4:5], v1, off
	s_wait_alu 0xfffe
	s_and_not1_b32 exec_lo, exec_lo, s6
	s_cbranch_execz .LBB94_39
.LBB94_37:                              ; =>This Inner Loop Header: Depth=1
	v_ashrrev_i32_e32 v1, 31, v0
	s_delay_alu instid0(VALU_DEP_1) | instskip(NEXT) | instid1(VALU_DEP_1)
	v_lshlrev_b64_e32 v[4:5], 1, v[0:1]
	v_add_co_u32 v7, vcc_lo, s8, v4
	s_wait_alu 0xfffd
	s_delay_alu instid0(VALU_DEP_2)
	v_add_co_ci_u32_e64 v8, null, s9, v5, vcc_lo
	v_add_co_u32 v9, vcc_lo, s10, v4
	s_wait_alu 0xfffd
	v_add_co_ci_u32_e64 v10, null, s11, v5, vcc_lo
	global_load_u16 v7, v[7:8], off
	global_load_u16 v1, v[9:10], off
	s_wait_alu 0xfffe
	s_and_not1_b32 vcc_lo, exec_lo, s4
	s_wait_alu 0xfffe
	s_cbranch_vccz .LBB94_35
; %bb.38:                               ;   in Loop: Header=BB94_37 Depth=1
	v_mov_b32_e32 v8, 1.0
	s_branch .LBB94_36
.LBB94_39:
	s_endpgm
	.section	.rodata,"a",@progbits
	.p2align	6, 0x0
	.amdhsa_kernel _ZN2at6native12_GLOBAL__N_128layer_norm_grad_input_kernelIN3c108BFloat16EfLb0EEEvPKT_S7_PKT0_SA_S7_PS5_i
		.amdhsa_group_segment_fixed_size 0
		.amdhsa_private_segment_fixed_size 0
		.amdhsa_kernarg_size 312
		.amdhsa_user_sgpr_count 2
		.amdhsa_user_sgpr_dispatch_ptr 0
		.amdhsa_user_sgpr_queue_ptr 0
		.amdhsa_user_sgpr_kernarg_segment_ptr 1
		.amdhsa_user_sgpr_dispatch_id 0
		.amdhsa_user_sgpr_private_segment_size 0
		.amdhsa_wavefront_size32 1
		.amdhsa_uses_dynamic_stack 0
		.amdhsa_enable_private_segment 0
		.amdhsa_system_sgpr_workgroup_id_x 1
		.amdhsa_system_sgpr_workgroup_id_y 0
		.amdhsa_system_sgpr_workgroup_id_z 0
		.amdhsa_system_sgpr_workgroup_info 0
		.amdhsa_system_vgpr_workitem_id 0
		.amdhsa_next_free_vgpr 21
		.amdhsa_next_free_sgpr 21
		.amdhsa_reserve_vcc 1
		.amdhsa_float_round_mode_32 0
		.amdhsa_float_round_mode_16_64 0
		.amdhsa_float_denorm_mode_32 3
		.amdhsa_float_denorm_mode_16_64 3
		.amdhsa_fp16_overflow 0
		.amdhsa_workgroup_processor_mode 1
		.amdhsa_memory_ordered 1
		.amdhsa_forward_progress 1
		.amdhsa_inst_pref_size 19
		.amdhsa_round_robin_scheduling 0
		.amdhsa_exception_fp_ieee_invalid_op 0
		.amdhsa_exception_fp_denorm_src 0
		.amdhsa_exception_fp_ieee_div_zero 0
		.amdhsa_exception_fp_ieee_overflow 0
		.amdhsa_exception_fp_ieee_underflow 0
		.amdhsa_exception_fp_ieee_inexact 0
		.amdhsa_exception_int_div_zero 0
	.end_amdhsa_kernel
	.section	.text._ZN2at6native12_GLOBAL__N_128layer_norm_grad_input_kernelIN3c108BFloat16EfLb0EEEvPKT_S7_PKT0_SA_S7_PS5_i,"axG",@progbits,_ZN2at6native12_GLOBAL__N_128layer_norm_grad_input_kernelIN3c108BFloat16EfLb0EEEvPKT_S7_PKT0_SA_S7_PS5_i,comdat
.Lfunc_end94:
	.size	_ZN2at6native12_GLOBAL__N_128layer_norm_grad_input_kernelIN3c108BFloat16EfLb0EEEvPKT_S7_PKT0_SA_S7_PS5_i, .Lfunc_end94-_ZN2at6native12_GLOBAL__N_128layer_norm_grad_input_kernelIN3c108BFloat16EfLb0EEEvPKT_S7_PKT0_SA_S7_PS5_i
                                        ; -- End function
	.set _ZN2at6native12_GLOBAL__N_128layer_norm_grad_input_kernelIN3c108BFloat16EfLb0EEEvPKT_S7_PKT0_SA_S7_PS5_i.num_vgpr, 21
	.set _ZN2at6native12_GLOBAL__N_128layer_norm_grad_input_kernelIN3c108BFloat16EfLb0EEEvPKT_S7_PKT0_SA_S7_PS5_i.num_agpr, 0
	.set _ZN2at6native12_GLOBAL__N_128layer_norm_grad_input_kernelIN3c108BFloat16EfLb0EEEvPKT_S7_PKT0_SA_S7_PS5_i.numbered_sgpr, 21
	.set _ZN2at6native12_GLOBAL__N_128layer_norm_grad_input_kernelIN3c108BFloat16EfLb0EEEvPKT_S7_PKT0_SA_S7_PS5_i.num_named_barrier, 0
	.set _ZN2at6native12_GLOBAL__N_128layer_norm_grad_input_kernelIN3c108BFloat16EfLb0EEEvPKT_S7_PKT0_SA_S7_PS5_i.private_seg_size, 0
	.set _ZN2at6native12_GLOBAL__N_128layer_norm_grad_input_kernelIN3c108BFloat16EfLb0EEEvPKT_S7_PKT0_SA_S7_PS5_i.uses_vcc, 1
	.set _ZN2at6native12_GLOBAL__N_128layer_norm_grad_input_kernelIN3c108BFloat16EfLb0EEEvPKT_S7_PKT0_SA_S7_PS5_i.uses_flat_scratch, 0
	.set _ZN2at6native12_GLOBAL__N_128layer_norm_grad_input_kernelIN3c108BFloat16EfLb0EEEvPKT_S7_PKT0_SA_S7_PS5_i.has_dyn_sized_stack, 0
	.set _ZN2at6native12_GLOBAL__N_128layer_norm_grad_input_kernelIN3c108BFloat16EfLb0EEEvPKT_S7_PKT0_SA_S7_PS5_i.has_recursion, 0
	.set _ZN2at6native12_GLOBAL__N_128layer_norm_grad_input_kernelIN3c108BFloat16EfLb0EEEvPKT_S7_PKT0_SA_S7_PS5_i.has_indirect_call, 0
	.section	.AMDGPU.csdata,"",@progbits
; Kernel info:
; codeLenInByte = 2376
; TotalNumSgprs: 23
; NumVgprs: 21
; ScratchSize: 0
; MemoryBound: 0
; FloatMode: 240
; IeeeMode: 1
; LDSByteSize: 0 bytes/workgroup (compile time only)
; SGPRBlocks: 0
; VGPRBlocks: 2
; NumSGPRsForWavesPerEU: 23
; NumVGPRsForWavesPerEU: 21
; Occupancy: 16
; WaveLimiterHint : 0
; COMPUTE_PGM_RSRC2:SCRATCH_EN: 0
; COMPUTE_PGM_RSRC2:USER_SGPR: 2
; COMPUTE_PGM_RSRC2:TRAP_HANDLER: 0
; COMPUTE_PGM_RSRC2:TGID_X_EN: 1
; COMPUTE_PGM_RSRC2:TGID_Y_EN: 0
; COMPUTE_PGM_RSRC2:TGID_Z_EN: 0
; COMPUTE_PGM_RSRC2:TIDIG_COMP_CNT: 0
	.section	.text._ZN2at6native12_GLOBAL__N_133GammaBetaBackwardSimpleCUDAKernelIN3c108BFloat16EfLb0EEEvllPKT_S7_PKT0_SA_PS5_SB_,"axG",@progbits,_ZN2at6native12_GLOBAL__N_133GammaBetaBackwardSimpleCUDAKernelIN3c108BFloat16EfLb0EEEvllPKT_S7_PKT0_SA_PS5_SB_,comdat
	.globl	_ZN2at6native12_GLOBAL__N_133GammaBetaBackwardSimpleCUDAKernelIN3c108BFloat16EfLb0EEEvllPKT_S7_PKT0_SA_PS5_SB_ ; -- Begin function _ZN2at6native12_GLOBAL__N_133GammaBetaBackwardSimpleCUDAKernelIN3c108BFloat16EfLb0EEEvllPKT_S7_PKT0_SA_PS5_SB_
	.p2align	8
	.type	_ZN2at6native12_GLOBAL__N_133GammaBetaBackwardSimpleCUDAKernelIN3c108BFloat16EfLb0EEEvllPKT_S7_PKT0_SA_PS5_SB_,@function
_ZN2at6native12_GLOBAL__N_133GammaBetaBackwardSimpleCUDAKernelIN3c108BFloat16EfLb0EEEvllPKT_S7_PKT0_SA_PS5_SB_: ; @_ZN2at6native12_GLOBAL__N_133GammaBetaBackwardSimpleCUDAKernelIN3c108BFloat16EfLb0EEEvllPKT_S7_PKT0_SA_PS5_SB_
; %bb.0:
	s_clause 0x1
	s_load_b32 s16, s[0:1], 0x4c
	s_load_b512 s[0:15], s[0:1], 0x0
	v_mov_b32_e32 v1, 0
	s_wait_kmcnt 0x0
	s_and_b32 s16, s16, 0xffff
	s_delay_alu instid0(VALU_DEP_1) | instid1(SALU_CYCLE_1)
	v_mad_co_u64_u32 v[2:3], null, s16, ttmp9, v[0:1]
	s_mov_b32 s16, exec_lo
	v_cmpx_gt_i64_e64 s[2:3], v[2:3]
	s_cbranch_execz .LBB95_13
; %bb.1:
	v_cmp_lt_i64_e64 s16, s[0:1], 1
	v_lshlrev_b64_e32 v[2:3], 1, v[2:3]
	v_mov_b32_e32 v0, 0
	s_wait_alu 0xfffe
	s_and_b32 vcc_lo, exec_lo, s16
	s_cbranch_vccnz .LBB95_9
; %bb.2:
	s_cmp_lg_u64 s[12:13], 0
	v_dual_mov_b32 v5, v3 :: v_dual_mov_b32 v0, 0
	v_dual_mov_b32 v1, 0 :: v_dual_mov_b32 v4, v2
	s_cselect_b32 s16, -1, 0
	s_cmp_lg_u64 s[14:15], 0
	s_cselect_b32 s17, -1, 0
	s_lshl_b64 s[2:3], s[2:3], 1
	s_branch .LBB95_5
.LBB95_3:                               ;   in Loop: Header=BB95_5 Depth=1
	v_add_co_u32 v7, vcc_lo, s4, v4
	s_wait_alu 0xfffd
	v_add_co_ci_u32_e64 v8, null, s5, v5, vcc_lo
	global_load_u16 v7, v[7:8], off
	s_wait_loadcnt 0x0
	v_lshlrev_b32_e32 v7, 16, v7
.LBB95_4:                               ;   in Loop: Header=BB95_5 Depth=1
	v_add_co_u32 v4, vcc_lo, v4, s2
	s_delay_alu instid0(VALU_DEP_2)
	v_dual_add_f32 v1, v1, v6 :: v_dual_add_f32 v0, v0, v7
	s_wait_alu 0xfffd
	v_add_co_ci_u32_e64 v5, null, s3, v5, vcc_lo
	s_add_nc_u64 s[0:1], s[0:1], -1
	s_add_nc_u64 s[10:11], s[10:11], 4
	s_wait_alu 0xfffe
	s_cmp_eq_u64 s[0:1], 0
	s_add_nc_u64 s[8:9], s[8:9], 4
	s_cbranch_scc1 .LBB95_9
.LBB95_5:                               ; =>This Inner Loop Header: Depth=1
	v_mov_b32_e32 v6, 0
	s_wait_alu 0xfffe
	s_and_not1_b32 vcc_lo, exec_lo, s16
	s_wait_alu 0xfffe
	s_cbranch_vccnz .LBB95_7
; %bb.6:                                ;   in Loop: Header=BB95_5 Depth=1
	v_add_co_u32 v6, vcc_lo, s6, v4
	s_wait_alu 0xfffd
	v_add_co_ci_u32_e64 v7, null, s7, v5, vcc_lo
	v_add_co_u32 v8, vcc_lo, s4, v4
	s_wait_alu 0xfffd
	v_add_co_ci_u32_e64 v9, null, s5, v5, vcc_lo
	global_load_u16 v6, v[6:7], off
	global_load_u16 v7, v[8:9], off
	s_load_b32 s18, s[8:9], 0x0
	s_load_b32 s19, s[10:11], 0x0
	s_wait_loadcnt 0x1
	v_lshlrev_b32_e32 v6, 16, v6
	s_wait_loadcnt 0x0
	s_wait_kmcnt 0x0
	s_delay_alu instid0(VALU_DEP_1) | instskip(NEXT) | instid1(VALU_DEP_1)
	v_dual_subrev_f32 v6, s18, v6 :: v_dual_lshlrev_b32 v7, 16, v7
	v_mul_f32_e32 v6, v6, v7
	s_delay_alu instid0(VALU_DEP_1)
	v_mul_f32_e32 v6, s19, v6
.LBB95_7:                               ;   in Loop: Header=BB95_5 Depth=1
	s_and_not1_b32 vcc_lo, exec_lo, s17
	s_wait_alu 0xfffe
	s_cbranch_vccz .LBB95_3
; %bb.8:                                ;   in Loop: Header=BB95_5 Depth=1
	v_mov_b32_e32 v7, 0
	s_branch .LBB95_4
.LBB95_9:
	s_cmp_lg_u64 s[12:13], 0
	s_cbranch_scc0 .LBB95_11
; %bb.10:
	v_bfe_u32 v4, v1, 16, 1
	v_cmp_o_f32_e32 vcc_lo, v1, v1
	s_delay_alu instid0(VALU_DEP_2) | instskip(NEXT) | instid1(VALU_DEP_1)
	v_add3_u32 v4, v1, v4, 0x7fff
	v_lshrrev_b32_e32 v4, 16, v4
	s_wait_alu 0xfffd
	s_delay_alu instid0(VALU_DEP_1)
	v_cndmask_b32_e32 v1, 0x7fc0, v4, vcc_lo
	v_add_co_u32 v4, vcc_lo, s12, v2
	s_wait_alu 0xfffd
	v_add_co_ci_u32_e64 v5, null, s13, v3, vcc_lo
	global_store_b16 v[4:5], v1, off
.LBB95_11:
	s_cmp_eq_u64 s[14:15], 0
	s_cbranch_scc1 .LBB95_13
; %bb.12:
	v_bfe_u32 v1, v0, 16, 1
	v_cmp_o_f32_e32 vcc_lo, v0, v0
	s_delay_alu instid0(VALU_DEP_2) | instskip(NEXT) | instid1(VALU_DEP_1)
	v_add3_u32 v1, v0, v1, 0x7fff
	v_lshrrev_b32_e32 v1, 16, v1
	s_wait_alu 0xfffd
	s_delay_alu instid0(VALU_DEP_1)
	v_cndmask_b32_e32 v4, 0x7fc0, v1, vcc_lo
	v_add_co_u32 v0, vcc_lo, s14, v2
	s_wait_alu 0xfffd
	v_add_co_ci_u32_e64 v1, null, s15, v3, vcc_lo
	global_store_b16 v[0:1], v4, off
.LBB95_13:
	s_endpgm
	.section	.rodata,"a",@progbits
	.p2align	6, 0x0
	.amdhsa_kernel _ZN2at6native12_GLOBAL__N_133GammaBetaBackwardSimpleCUDAKernelIN3c108BFloat16EfLb0EEEvllPKT_S7_PKT0_SA_PS5_SB_
		.amdhsa_group_segment_fixed_size 0
		.amdhsa_private_segment_fixed_size 0
		.amdhsa_kernarg_size 320
		.amdhsa_user_sgpr_count 2
		.amdhsa_user_sgpr_dispatch_ptr 0
		.amdhsa_user_sgpr_queue_ptr 0
		.amdhsa_user_sgpr_kernarg_segment_ptr 1
		.amdhsa_user_sgpr_dispatch_id 0
		.amdhsa_user_sgpr_private_segment_size 0
		.amdhsa_wavefront_size32 1
		.amdhsa_uses_dynamic_stack 0
		.amdhsa_enable_private_segment 0
		.amdhsa_system_sgpr_workgroup_id_x 1
		.amdhsa_system_sgpr_workgroup_id_y 0
		.amdhsa_system_sgpr_workgroup_id_z 0
		.amdhsa_system_sgpr_workgroup_info 0
		.amdhsa_system_vgpr_workitem_id 0
		.amdhsa_next_free_vgpr 10
		.amdhsa_next_free_sgpr 20
		.amdhsa_reserve_vcc 1
		.amdhsa_float_round_mode_32 0
		.amdhsa_float_round_mode_16_64 0
		.amdhsa_float_denorm_mode_32 3
		.amdhsa_float_denorm_mode_16_64 3
		.amdhsa_fp16_overflow 0
		.amdhsa_workgroup_processor_mode 1
		.amdhsa_memory_ordered 1
		.amdhsa_forward_progress 1
		.amdhsa_inst_pref_size 5
		.amdhsa_round_robin_scheduling 0
		.amdhsa_exception_fp_ieee_invalid_op 0
		.amdhsa_exception_fp_denorm_src 0
		.amdhsa_exception_fp_ieee_div_zero 0
		.amdhsa_exception_fp_ieee_overflow 0
		.amdhsa_exception_fp_ieee_underflow 0
		.amdhsa_exception_fp_ieee_inexact 0
		.amdhsa_exception_int_div_zero 0
	.end_amdhsa_kernel
	.section	.text._ZN2at6native12_GLOBAL__N_133GammaBetaBackwardSimpleCUDAKernelIN3c108BFloat16EfLb0EEEvllPKT_S7_PKT0_SA_PS5_SB_,"axG",@progbits,_ZN2at6native12_GLOBAL__N_133GammaBetaBackwardSimpleCUDAKernelIN3c108BFloat16EfLb0EEEvllPKT_S7_PKT0_SA_PS5_SB_,comdat
.Lfunc_end95:
	.size	_ZN2at6native12_GLOBAL__N_133GammaBetaBackwardSimpleCUDAKernelIN3c108BFloat16EfLb0EEEvllPKT_S7_PKT0_SA_PS5_SB_, .Lfunc_end95-_ZN2at6native12_GLOBAL__N_133GammaBetaBackwardSimpleCUDAKernelIN3c108BFloat16EfLb0EEEvllPKT_S7_PKT0_SA_PS5_SB_
                                        ; -- End function
	.set _ZN2at6native12_GLOBAL__N_133GammaBetaBackwardSimpleCUDAKernelIN3c108BFloat16EfLb0EEEvllPKT_S7_PKT0_SA_PS5_SB_.num_vgpr, 10
	.set _ZN2at6native12_GLOBAL__N_133GammaBetaBackwardSimpleCUDAKernelIN3c108BFloat16EfLb0EEEvllPKT_S7_PKT0_SA_PS5_SB_.num_agpr, 0
	.set _ZN2at6native12_GLOBAL__N_133GammaBetaBackwardSimpleCUDAKernelIN3c108BFloat16EfLb0EEEvllPKT_S7_PKT0_SA_PS5_SB_.numbered_sgpr, 20
	.set _ZN2at6native12_GLOBAL__N_133GammaBetaBackwardSimpleCUDAKernelIN3c108BFloat16EfLb0EEEvllPKT_S7_PKT0_SA_PS5_SB_.num_named_barrier, 0
	.set _ZN2at6native12_GLOBAL__N_133GammaBetaBackwardSimpleCUDAKernelIN3c108BFloat16EfLb0EEEvllPKT_S7_PKT0_SA_PS5_SB_.private_seg_size, 0
	.set _ZN2at6native12_GLOBAL__N_133GammaBetaBackwardSimpleCUDAKernelIN3c108BFloat16EfLb0EEEvllPKT_S7_PKT0_SA_PS5_SB_.uses_vcc, 1
	.set _ZN2at6native12_GLOBAL__N_133GammaBetaBackwardSimpleCUDAKernelIN3c108BFloat16EfLb0EEEvllPKT_S7_PKT0_SA_PS5_SB_.uses_flat_scratch, 0
	.set _ZN2at6native12_GLOBAL__N_133GammaBetaBackwardSimpleCUDAKernelIN3c108BFloat16EfLb0EEEvllPKT_S7_PKT0_SA_PS5_SB_.has_dyn_sized_stack, 0
	.set _ZN2at6native12_GLOBAL__N_133GammaBetaBackwardSimpleCUDAKernelIN3c108BFloat16EfLb0EEEvllPKT_S7_PKT0_SA_PS5_SB_.has_recursion, 0
	.set _ZN2at6native12_GLOBAL__N_133GammaBetaBackwardSimpleCUDAKernelIN3c108BFloat16EfLb0EEEvllPKT_S7_PKT0_SA_PS5_SB_.has_indirect_call, 0
	.section	.AMDGPU.csdata,"",@progbits
; Kernel info:
; codeLenInByte = 568
; TotalNumSgprs: 22
; NumVgprs: 10
; ScratchSize: 0
; MemoryBound: 0
; FloatMode: 240
; IeeeMode: 1
; LDSByteSize: 0 bytes/workgroup (compile time only)
; SGPRBlocks: 0
; VGPRBlocks: 1
; NumSGPRsForWavesPerEU: 22
; NumVGPRsForWavesPerEU: 10
; Occupancy: 16
; WaveLimiterHint : 0
; COMPUTE_PGM_RSRC2:SCRATCH_EN: 0
; COMPUTE_PGM_RSRC2:USER_SGPR: 2
; COMPUTE_PGM_RSRC2:TRAP_HANDLER: 0
; COMPUTE_PGM_RSRC2:TGID_X_EN: 1
; COMPUTE_PGM_RSRC2:TGID_Y_EN: 0
; COMPUTE_PGM_RSRC2:TGID_Z_EN: 0
; COMPUTE_PGM_RSRC2:TIDIG_COMP_CNT: 0
	.section	.text._ZN2at6native12_GLOBAL__N_135GammaBetaBackwardCUDAKernelTemplateIN3c108BFloat16EfLj64ELj1ELj32ELb1ELb1ELb0EEEvllPKT_S7_PKT0_SA_PS5_SB_,"axG",@progbits,_ZN2at6native12_GLOBAL__N_135GammaBetaBackwardCUDAKernelTemplateIN3c108BFloat16EfLj64ELj1ELj32ELb1ELb1ELb0EEEvllPKT_S7_PKT0_SA_PS5_SB_,comdat
	.globl	_ZN2at6native12_GLOBAL__N_135GammaBetaBackwardCUDAKernelTemplateIN3c108BFloat16EfLj64ELj1ELj32ELb1ELb1ELb0EEEvllPKT_S7_PKT0_SA_PS5_SB_ ; -- Begin function _ZN2at6native12_GLOBAL__N_135GammaBetaBackwardCUDAKernelTemplateIN3c108BFloat16EfLj64ELj1ELj32ELb1ELb1ELb0EEEvllPKT_S7_PKT0_SA_PS5_SB_
	.p2align	8
	.type	_ZN2at6native12_GLOBAL__N_135GammaBetaBackwardCUDAKernelTemplateIN3c108BFloat16EfLj64ELj1ELj32ELb1ELb1ELb0EEEvllPKT_S7_PKT0_SA_PS5_SB_,@function
_ZN2at6native12_GLOBAL__N_135GammaBetaBackwardCUDAKernelTemplateIN3c108BFloat16EfLj64ELj1ELj32ELb1ELb1ELb0EEEvllPKT_S7_PKT0_SA_PS5_SB_: ; @_ZN2at6native12_GLOBAL__N_135GammaBetaBackwardCUDAKernelTemplateIN3c108BFloat16EfLj64ELj1ELj32ELb1ELb1ELb0EEEvllPKT_S7_PKT0_SA_PS5_SB_
; %bb.0:
	s_load_b128 s[8:11], s[0:1], 0x0
	s_lshl_b32 s16, ttmp7, 5
	s_mov_b32 s17, 0
	v_bfe_u32 v6, v0, 10, 10
	s_add_nc_u64 s[18:19], s[0:1], 64
	s_wait_kmcnt 0x0
	v_cmp_gt_i64_e64 s2, s[8:9], s[16:17]
	s_and_b32 vcc_lo, exec_lo, s2
	s_cbranch_vccnz .LBB96_2
; %bb.1:
	v_bfe_u32 v1, v0, 10, 10
	s_add_nc_u64 s[2:3], s[0:1], 64
	s_mov_b32 s4, s17
	s_branch .LBB96_3
.LBB96_2:
	s_mov_b32 s4, -1
                                        ; implicit-def: $sgpr2_sgpr3
                                        ; implicit-def: $vgpr1
.LBB96_3:
	s_load_b128 s[12:15], s[0:1], 0x30
	v_and_b32_e32 v7, 0x3ff, v0
	v_mov_b32_e32 v23, 0
	v_mov_b32_e32 v43, 0
	s_and_not1_b32 vcc_lo, exec_lo, s4
	s_cbranch_vccnz .LBB96_9
; %bb.4:
	s_clause 0x2
	s_load_b32 s20, s[0:1], 0x4c
	s_load_b32 s22, s[0:1], 0x44
	s_load_b256 s[0:7], s[0:1], 0x10
	v_dual_mov_b32 v1, 0 :: v_dual_lshlrev_b32 v2, 5, v6
	v_lshl_add_u32 v0, ttmp9, 6, v7
	s_mov_b32 s21, 0
	v_dual_mov_b32 v8, 4 :: v_dual_mov_b32 v9, 8
	v_dual_mov_b32 v10, 12 :: v_dual_mov_b32 v11, 16
	s_delay_alu instid0(VALU_DEP_3)
	v_lshlrev_b64_e32 v[40:41], 1, v[0:1]
	v_dual_mov_b32 v12, 20 :: v_dual_mov_b32 v13, 24
	v_dual_mov_b32 v14, 28 :: v_dual_mov_b32 v15, 32
	;; [unrolled: 1-line block ×4, first 2 shown]
	s_wait_kmcnt 0x0
	s_and_b32 s20, s20, 0xffff
	v_dual_mov_b32 v20, 52 :: v_dual_mov_b32 v21, 56
	v_mad_u32_u24 v3, v6, s20, v7
	v_add_co_u32 v42, s20, v2, s16
	s_wait_alu 0xf1ff
	v_add_co_ci_u32_e64 v43, null, 0, 0, s20
	s_delay_alu instid0(VALU_DEP_3) | instskip(NEXT) | instid1(VALU_DEP_3)
	v_dual_mov_b32 v24, 64 :: v_dual_and_b32 v23, 31, v3
	v_mul_lo_u32 v4, s11, v42
	s_delay_alu instid0(VALU_DEP_3)
	v_mul_lo_u32 v5, s10, v43
	v_mad_co_u64_u32 v[2:3], null, s10, v42, 0
	s_lshl_b32 s20, s22, 5
	v_dual_mov_b32 v22, 60 :: v_dual_mov_b32 v25, 0x44
	v_mov_b32_e32 v26, 0x48
	v_mov_b32_e32 v27, 0x4c
	;; [unrolled: 1-line block ×3, first 2 shown]
	v_add3_u32 v3, v3, v5, v4
	v_mov_b32_e32 v29, 0x54
	v_mov_b32_e32 v30, 0x58
	;; [unrolled: 1-line block ×4, first 2 shown]
	v_lshlrev_b64_e32 v[4:5], 1, v[2:3]
	v_add_co_u32 v2, vcc_lo, v42, v23
	s_delay_alu instid0(VALU_DEP_1) | instskip(SKIP_1) | instid1(VALU_DEP_4)
	v_add_co_ci_u32_e64 v3, null, 0, v43, vcc_lo
	v_mov_b32_e32 v33, 0x64
	v_add_co_u32 v0, vcc_lo, v4, v40
	s_wait_alu 0xfffd
	v_add_co_ci_u32_e64 v40, null, v5, v41, vcc_lo
	v_lshlrev_b64_e32 v[4:5], 2, v[2:3]
	v_mov_b32_e32 v34, 0x68
	v_mov_b32_e32 v35, 0x6c
	;; [unrolled: 1-line block ×8, first 2 shown]
	s_wait_alu 0xfffe
	s_mul_u64 s[22:23], s[10:11], s[20:21]
	s_lshl_b64 s[24:25], s[20:21], 2
	s_lshl_b64 s[22:23], s[22:23], 1
	;; [unrolled: 1-line block ×3, first 2 shown]
	s_branch .LBB96_6
.LBB96_5:                               ;   in Loop: Header=BB96_6 Depth=1
	s_or_b32 exec_lo, exec_lo, s28
	v_add_co_u32 v45, vcc_lo, s2, v0
	s_wait_alu 0xfffd
	v_add_co_ci_u32_e64 v46, null, s3, v40, vcc_lo
	v_add_co_u32 v47, vcc_lo, s0, v0
	s_wait_alu 0xfffd
	v_add_co_ci_u32_e64 v48, null, s1, v40, vcc_lo
	global_load_u16 v44, v[45:46], off
	v_add_co_u32 v45, vcc_lo, v45, s26
	s_wait_alu 0xfffd
	v_add_co_ci_u32_e64 v46, null, s27, v46, vcc_lo
	v_add_co_u32 v50, vcc_lo, v47, s26
	s_wait_alu 0xfffd
	v_add_co_ci_u32_e64 v51, null, s27, v48, vcc_lo
	;; [unrolled: 3-line block ×4, first 2 shown]
	global_load_u16 v49, v[47:48], off
	global_load_u16 v48, v[45:46], off
	;; [unrolled: 1-line block ×5, first 2 shown]
	v_add_co_u32 v51, vcc_lo, v52, s26
	s_wait_alu 0xfffd
	v_add_co_ci_u32_e64 v52, null, s27, v53, vcc_lo
	v_add_co_u32 v53, vcc_lo, v54, s26
	s_wait_alu 0xfffd
	v_add_co_ci_u32_e64 v54, null, s27, v55, vcc_lo
	global_load_u16 v50, v[51:52], off
	v_add_co_u32 v55, vcc_lo, v53, s26
	s_wait_alu 0xfffd
	v_add_co_ci_u32_e64 v56, null, s27, v54, vcc_lo
	v_add_co_u32 v57, vcc_lo, v51, s26
	s_wait_alu 0xfffd
	v_add_co_ci_u32_e64 v58, null, s27, v52, vcc_lo
	v_add_co_u32 v59, vcc_lo, v55, s26
	s_wait_alu 0xfffd
	v_add_co_ci_u32_e64 v60, null, s27, v56, vcc_lo
	v_add_co_u32 v61, vcc_lo, v57, s26
	s_wait_alu 0xfffd
	v_add_co_ci_u32_e64 v62, null, s27, v58, vcc_lo
	s_clause 0x1
	global_load_u16 v52, v[53:54], off
	global_load_u16 v51, v[55:56], off
	global_load_u16 v53, v[57:58], off
	global_load_u16 v54, v[59:60], off
	global_load_u16 v55, v[61:62], off
	v_add_co_u32 v57, vcc_lo, v59, s26
	s_wait_alu 0xfffd
	v_add_co_ci_u32_e64 v58, null, s27, v60, vcc_lo
	v_add_co_u32 v59, vcc_lo, v61, s26
	s_wait_alu 0xfffd
	v_add_co_ci_u32_e64 v60, null, s27, v62, vcc_lo
	global_load_u16 v56, v[57:58], off
	v_add_co_u32 v57, vcc_lo, v57, s26
	s_wait_alu 0xfffd
	v_add_co_ci_u32_e64 v58, null, s27, v58, vcc_lo
	v_add_co_u32 v61, vcc_lo, v59, s26
	s_wait_alu 0xfffd
	v_add_co_ci_u32_e64 v62, null, s27, v60, vcc_lo
	v_add_co_u32 v63, vcc_lo, v57, s26
	s_wait_alu 0xfffd
	v_add_co_ci_u32_e64 v64, null, s27, v58, vcc_lo
	v_add_co_u32 v65, vcc_lo, v61, s26
	s_wait_alu 0xfffd
	v_add_co_ci_u32_e64 v66, null, s27, v62, vcc_lo
	global_load_u16 v60, v[59:60], off
	global_load_u16 v57, v[57:58], off
	global_load_u16 v58, v[61:62], off
	global_load_u16 v59, v[63:64], off
	global_load_u16 v61, v[65:66], off
	v_add_co_u32 v63, vcc_lo, v63, s26
	s_wait_alu 0xfffd
	v_add_co_ci_u32_e64 v64, null, s27, v64, vcc_lo
	v_add_co_u32 v65, vcc_lo, v65, s26
	s_wait_alu 0xfffd
	v_add_co_ci_u32_e64 v66, null, s27, v66, vcc_lo
	global_load_u16 v62, v[63:64], off
	v_add_co_u32 v63, vcc_lo, v63, s26
	s_wait_alu 0xfffd
	v_add_co_ci_u32_e64 v64, null, s27, v64, vcc_lo
	v_add_co_u32 v67, vcc_lo, v65, s26
	s_wait_alu 0xfffd
	v_add_co_ci_u32_e64 v68, null, s27, v66, vcc_lo
	v_add_co_u32 v69, vcc_lo, v63, s26
	s_wait_alu 0xfffd
	v_add_co_ci_u32_e64 v70, null, s27, v64, vcc_lo
	v_add_co_u32 v71, vcc_lo, v67, s26
	s_wait_alu 0xfffd
	v_add_co_ci_u32_e64 v72, null, s27, v68, vcc_lo
	;; [unrolled: 24-line block ×3, first 2 shown]
	global_load_u16 v73, v[71:72], off
	global_load_u16 v69, v[69:70], off
	;; [unrolled: 1-line block ×5, first 2 shown]
	v_add_co_u32 v75, vcc_lo, v76, s26
	s_wait_alu 0xfffd
	v_add_co_ci_u32_e64 v76, null, s27, v77, vcc_lo
	v_add_co_u32 v77, vcc_lo, v78, s26
	s_wait_alu 0xfffd
	v_add_co_ci_u32_e64 v78, null, s27, v79, vcc_lo
	;; [unrolled: 3-line block ×6, first 2 shown]
	global_load_u16 v74, v[75:76], off
	global_load_u16 v75, v[77:78], off
	;; [unrolled: 1-line block ×4, first 2 shown]
	v_add_co_u32 v80, vcc_lo, v83, s26
	s_wait_alu 0xfffd
	v_add_co_ci_u32_e64 v81, null, s27, v84, vcc_lo
	v_add_co_u32 v82, vcc_lo, v85, s26
	global_load_u16 v79, v[83:84], off
	global_load_u16 v78, v[85:86], off
	s_wait_alu 0xfffd
	v_add_co_ci_u32_e64 v83, null, s27, v86, vcc_lo
	v_add_co_u32 v84, vcc_lo, v80, s26
	s_wait_alu 0xfffd
	v_add_co_ci_u32_e64 v85, null, s27, v81, vcc_lo
	v_add_co_u32 v86, vcc_lo, v82, s26
	s_wait_alu 0xfffd
	v_add_co_ci_u32_e64 v87, null, s27, v83, vcc_lo
	global_load_u16 v80, v[80:81], off
	v_add_co_u32 v81, vcc_lo, v84, s26
	global_load_u16 v88, v[82:83], off
	s_wait_alu 0xfffd
	v_add_co_ci_u32_e64 v82, null, s27, v85, vcc_lo
	v_add_co_u32 v83, vcc_lo, v86, s26
	global_load_u16 v89, v[84:85], off
	s_wait_alu 0xfffd
	v_add_co_ci_u32_e64 v84, null, s27, v87, vcc_lo
	v_add_co_u32 v85, vcc_lo, v81, s26
	global_load_u16 v87, v[86:87], off
	s_wait_alu 0xfffd
	v_add_co_ci_u32_e64 v86, null, s27, v82, vcc_lo
	global_load_u16 v90, v[81:82], off
	v_add_co_u32 v81, vcc_lo, v83, s26
	s_wait_alu 0xfffd
	v_add_co_ci_u32_e64 v82, null, s27, v84, vcc_lo
	global_load_u16 v91, v[83:84], off
	v_add_co_u32 v83, vcc_lo, v85, s26
	s_wait_alu 0xfffd
	v_add_co_ci_u32_e64 v84, null, s27, v86, vcc_lo
	;; [unrolled: 4-line block ×4, first 2 shown]
	global_load_u16 v94, v[83:84], off
	global_load_u16 v95, v[85:86], off
	v_add_co_u32 v83, vcc_lo, v85, s26
	s_wait_alu 0xfffd
	v_add_co_ci_u32_e64 v84, null, s27, v86, vcc_lo
	v_add_co_u32 v85, vcc_lo, v81, s26
	s_wait_alu 0xfffd
	v_add_co_ci_u32_e64 v86, null, s27, v82, vcc_lo
	global_load_u16 v96, v[81:82], off
	global_load_u16 v97, v[83:84], off
	;; [unrolled: 1-line block ×3, first 2 shown]
	v_add_co_u32 v81, vcc_lo, v83, s26
	s_wait_alu 0xfffd
	v_add_co_ci_u32_e64 v82, null, s27, v84, vcc_lo
	v_add_co_u32 v83, vcc_lo, v85, s26
	s_wait_alu 0xfffd
	v_add_co_ci_u32_e64 v84, null, s27, v86, vcc_lo
	global_load_u16 v99, v[81:82], off
	global_load_u16 v100, v[83:84], off
	v_add_co_u32 v81, vcc_lo, v81, s26
	s_wait_alu 0xfffd
	v_add_co_ci_u32_e64 v82, null, s27, v82, vcc_lo
	v_add_co_u32 v83, vcc_lo, v83, s26
	s_wait_alu 0xfffd
	v_add_co_ci_u32_e64 v84, null, s27, v84, vcc_lo
	global_load_u16 v101, v[81:82], off
	global_load_u16 v102, v[83:84], off
	;; [unrolled: 8-line block ×4, first 2 shown]
	v_add_co_u32 v81, vcc_lo, v81, s26
	s_wait_alu 0xfffd
	v_add_co_ci_u32_e64 v82, null, s27, v82, vcc_lo
	v_add_co_u32 v83, vcc_lo, v83, s26
	s_wait_alu 0xfffd
	v_add_co_ci_u32_e64 v84, null, s27, v84, vcc_lo
	global_load_u16 v107, v[81:82], off
	v_add_co_u32 v81, vcc_lo, v81, s26
	s_wait_alu 0xfffd
	v_add_co_ci_u32_e64 v82, null, s27, v82, vcc_lo
	global_load_u16 v108, v[83:84], off
	global_load_u16 v109, v[81:82], off
	v_add_co_u32 v83, vcc_lo, v83, s26
	s_wait_alu 0xfffd
	v_add_co_ci_u32_e64 v84, null, s27, v84, vcc_lo
	v_add_co_u32 v81, vcc_lo, v81, s26
	s_wait_alu 0xfffd
	v_add_co_ci_u32_e64 v82, null, s27, v82, vcc_lo
	global_load_u16 v110, v[83:84], off
	v_add_co_u32 v85, vcc_lo, v81, s26
	s_wait_alu 0xfffd
	v_add_co_ci_u32_e64 v86, null, s27, v82, vcc_lo
	global_load_u16 v111, v[81:82], off
	;; [unrolled: 4-line block ×3, first 2 shown]
	global_load_u16 v81, v[81:82], off
	s_wait_loadcnt 0x3e
	ds_bpermute_b32 v82, v1, v42
	ds_bpermute_b32 v84, v8, v42
	;; [unrolled: 1-line block ×7, first 2 shown]
	v_add_co_u32 v0, vcc_lo, v0, s22
	s_add_nc_u64 s[16:17], s[16:17], s[20:21]
	s_wait_alu 0xfffd
	v_add_co_ci_u32_e64 v40, null, s23, v40, vcc_lo
	v_add_co_u32 v4, vcc_lo, v4, s24
	s_wait_alu 0xfffe
	v_cmp_lt_i64_e64 s28, s[16:17], s[8:9]
	s_wait_alu 0xfffd
	v_add_co_ci_u32_e64 v5, null, s25, v5, vcc_lo
	v_add_co_u32 v2, vcc_lo, v2, s20
	s_wait_alu 0xfffd
	v_add_co_ci_u32_e64 v3, null, 0, v3, vcc_lo
	s_and_b32 vcc_lo, exec_lo, s28
	v_lshlrev_b32_e32 v44, 16, v44
	s_wait_dscnt 0x6
	s_delay_alu instid0(VALU_DEP_1)
	v_sub_f32_e32 v44, v44, v82
	ds_bpermute_b32 v82, v9, v41
	v_lshlrev_b32_e32 v49, 16, v49
	s_wait_loadcnt 0x3c
	v_lshlrev_b32_e32 v47, 16, v47
	s_wait_loadcnt 0x3a
	v_lshlrev_b32_e32 v45, 16, v45
	v_mul_f32_e32 v44, v44, v49
	v_dual_add_f32 v43, v43, v49 :: v_dual_lshlrev_b32 v48, 16, v48
	s_wait_dscnt 0x5
	s_delay_alu instid0(VALU_DEP_2) | instskip(NEXT) | instid1(VALU_DEP_2)
	v_fmac_f32_e32 v23, v44, v85
	v_sub_f32_e32 v48, v48, v84
	ds_bpermute_b32 v84, v10, v41
	ds_bpermute_b32 v85, v13, v42
	v_add_f32_e32 v43, v43, v47
	s_delay_alu instid0(VALU_DEP_1)
	v_dual_mul_f32 v44, v48, v47 :: v_dual_add_f32 v43, v43, v45
	s_wait_loadcnt 0x37
	v_lshlrev_b32_e32 v51, 16, v51
	s_wait_loadcnt 0x36
	v_lshlrev_b32_e32 v53, 16, v53
	s_wait_dscnt 0x5
	v_dual_fmac_f32 v23, v44, v112 :: v_dual_lshlrev_b32 v46, 16, v46
	s_wait_loadcnt 0x34
	s_delay_alu instid0(VALU_DEP_1) | instskip(NEXT) | instid1(VALU_DEP_1)
	v_dual_sub_f32 v46, v46, v86 :: v_dual_lshlrev_b32 v55, 16, v55
	v_mul_f32_e32 v44, v46, v45
	ds_bpermute_b32 v45, v19, v41
	s_wait_dscnt 0x3
	v_fmac_f32_e32 v23, v44, v82
	v_lshlrev_b32_e32 v48, 16, v50
	ds_bpermute_b32 v50, v12, v42
	ds_bpermute_b32 v82, v14, v42
	v_sub_f32_e32 v46, v48, v113
	v_lshlrev_b32_e32 v48, 16, v52
	ds_bpermute_b32 v52, v11, v41
	v_mul_f32_e32 v44, v46, v48
	s_wait_dscnt 0x5
	s_delay_alu instid0(VALU_DEP_1)
	v_dual_fmac_f32 v23, v44, v84 :: v_dual_sub_f32 v46, v53, v114
	ds_bpermute_b32 v53, v12, v41
	v_mul_f32_e32 v44, v46, v51
	s_wait_dscnt 0x3
	v_sub_f32_e32 v46, v55, v50
	v_lshlrev_b32_e32 v50, 16, v54
	ds_bpermute_b32 v54, v13, v41
	s_wait_loadcnt 0x32
	v_lshlrev_b32_e32 v55, 16, v60
	ds_bpermute_b32 v60, v15, v42
	s_wait_dscnt 0x3
	v_dual_fmac_f32 v23, v44, v52 :: v_dual_mul_f32 v44, v46, v50
	s_wait_loadcnt 0x2b
	v_lshlrev_b32_e32 v49, 16, v63
	s_wait_dscnt 0x2
	s_delay_alu instid0(VALU_DEP_2)
	v_fmac_f32_e32 v23, v44, v53
	v_sub_f32_e32 v46, v55, v85
	ds_bpermute_b32 v53, v15, v41
	v_lshlrev_b32_e32 v52, 16, v56
	ds_bpermute_b32 v55, v14, v41
	v_lshlrev_b32_e32 v56, 16, v58
	ds_bpermute_b32 v58, v16, v42
	v_add_f32_e32 v43, v43, v48
	v_mul_f32_e32 v44, v46, v52
	ds_bpermute_b32 v48, v20, v41
	v_dual_sub_f32 v46, v56, v82 :: v_dual_add_f32 v43, v43, v51
	s_wait_dscnt 0x5
	v_fmac_f32_e32 v23, v44, v54
	ds_bpermute_b32 v54, v16, v41
	v_lshlrev_b32_e32 v56, 16, v57
	v_lshlrev_b32_e32 v57, 16, v61
	ds_bpermute_b32 v61, v17, v42
	v_mul_f32_e32 v44, v46, v56
	s_wait_dscnt 0x6
	v_sub_f32_e32 v46, v57, v60
	ds_bpermute_b32 v60, v18, v42
	v_lshlrev_b32_e32 v57, 16, v59
	v_lshlrev_b32_e32 v59, 16, v66
	s_wait_dscnt 0x5
	v_fmac_f32_e32 v23, v44, v55
	s_delay_alu instid0(VALU_DEP_3)
	v_dual_mul_f32 v44, v46, v57 :: v_dual_lshlrev_b32 v55, 16, v62
	s_wait_dscnt 0x4
	v_sub_f32_e32 v46, v59, v58
	s_wait_loadcnt 0x2a
	v_lshlrev_b32_e32 v58, 16, v65
	ds_bpermute_b32 v59, v17, v41
	v_fmac_f32_e32 v23, v44, v53
	s_wait_dscnt 0x2
	v_sub_f32_e32 v53, v58, v61
	ds_bpermute_b32 v61, v18, v41
	s_wait_loadcnt 0x28
	v_dual_mul_f32 v47, v53, v49 :: v_dual_lshlrev_b32 v58, 16, v67
	s_wait_loadcnt_dscnt 0x2602
	s_delay_alu instid0(VALU_DEP_1)
	v_dual_sub_f32 v53, v58, v60 :: v_dual_lshlrev_b32 v58, 16, v73
	v_mul_f32_e32 v44, v46, v55
	ds_bpermute_b32 v46, v19, v42
	v_fmac_f32_e32 v23, v44, v54
	ds_bpermute_b32 v44, v20, v42
	s_wait_dscnt 0x3
	v_dual_fmac_f32 v23, v47, v59 :: v_dual_lshlrev_b32 v54, 16, v64
	s_delay_alu instid0(VALU_DEP_1) | instskip(SKIP_2) | instid1(VALU_DEP_2)
	v_mul_f32_e32 v47, v53, v54
	v_lshlrev_b32_e32 v53, 16, v68
	s_wait_dscnt 0x2
	v_fmac_f32_e32 v23, v47, v61
	s_wait_loadcnt 0x25
	v_lshlrev_b32_e32 v47, 16, v69
	ds_bpermute_b32 v61, v21, v41
	s_wait_dscnt 0x2
	v_sub_f32_e32 v46, v58, v46
	s_wait_loadcnt 0x24
	v_lshlrev_b32_e32 v51, 16, v70
	s_wait_loadcnt 0x1b
	v_lshlrev_b32_e32 v58, 16, v80
	v_mul_f32_e32 v46, v46, v53
	s_wait_dscnt 0x1
	v_sub_f32_e32 v44, v51, v44
	v_dual_add_f32 v43, v43, v50 :: v_dual_lshlrev_b32 v50, 16, v75
	s_delay_alu instid0(VALU_DEP_2) | instskip(NEXT) | instid1(VALU_DEP_2)
	v_dual_fmac_f32 v23, v46, v45 :: v_dual_mul_f32 v44, v44, v47
	v_add_f32_e32 v43, v43, v52
	ds_bpermute_b32 v46, v21, v42
	v_dual_fmac_f32 v23, v44, v48 :: v_dual_lshlrev_b32 v52, 16, v77
	v_dual_add_f32 v43, v43, v56 :: v_dual_lshlrev_b32 v44, 16, v71
	v_lshlrev_b32_e32 v56, 16, v79
	s_wait_loadcnt 0x18
	v_lshlrev_b32_e32 v60, 16, v87
	s_delay_alu instid0(VALU_DEP_3) | instskip(NEXT) | instid1(VALU_DEP_1)
	v_dual_add_f32 v43, v43, v57 :: v_dual_lshlrev_b32 v48, 16, v74
	v_add_f32_e32 v43, v43, v55
	ds_bpermute_b32 v55, v22, v42
	v_lshlrev_b32_e32 v45, 16, v72
	s_wait_loadcnt 0x15
	v_dual_add_f32 v43, v43, v49 :: v_dual_lshlrev_b32 v64, 16, v92
	s_delay_alu instid0(VALU_DEP_1)
	v_add_f32_e32 v43, v43, v54
	ds_bpermute_b32 v54, v24, v42
	v_lshlrev_b32_e32 v62, 16, v90
	v_lshlrev_b32_e32 v51, 16, v76
	v_add_f32_e32 v43, v43, v53
	ds_bpermute_b32 v53, v25, v42
	s_wait_loadcnt 0x11
	v_dual_add_f32 v43, v43, v47 :: v_dual_lshlrev_b32 v68, 16, v96
	s_wait_dscnt 0x2
	v_dual_sub_f32 v50, v50, v55 :: v_dual_sub_f32 v45, v45, v46
	ds_bpermute_b32 v46, v22, v41
	ds_bpermute_b32 v55, v24, v41
	v_lshlrev_b32_e32 v66, 16, v94
	ds_bpermute_b32 v47, v26, v42
	v_mul_f32_e32 v45, v45, v44
	v_dual_mul_f32 v50, v50, v48 :: v_dual_lshlrev_b32 v57, 16, v78
	s_wait_dscnt 0x4
	v_dual_sub_f32 v52, v52, v54 :: v_dual_lshlrev_b32 v63, 16, v91
	s_delay_alu instid0(VALU_DEP_3)
	v_fmac_f32_e32 v23, v45, v61
	ds_bpermute_b32 v45, v25, v41
	ds_bpermute_b32 v54, v27, v42
	v_lshlrev_b32_e32 v59, 16, v88
	v_add_f32_e32 v43, v43, v44
	ds_bpermute_b32 v44, v26, v41
	v_lshlrev_b32_e32 v65, 16, v93
	v_add_f32_e32 v43, v43, v48
	s_wait_dscnt 0x5
	v_dual_fmac_f32 v23, v50, v46 :: v_dual_mul_f32 v46, v52, v51
	v_sub_f32_e32 v50, v57, v53
	ds_bpermute_b32 v52, v28, v42
	v_lshlrev_b32_e32 v49, 16, v89
	v_add_f32_e32 v43, v43, v51
	s_wait_dscnt 0x5
	v_fmac_f32_e32 v23, v46, v55
	ds_bpermute_b32 v46, v27, v41
	v_mul_f32_e32 v48, v50, v56
	ds_bpermute_b32 v50, v29, v42
	s_wait_loadcnt 0xa
	v_lshlrev_b32_e32 v57, 16, v103
	s_wait_dscnt 0x6
	v_sub_f32_e32 v47, v59, v47
	ds_bpermute_b32 v51, v30, v42
	v_lshlrev_b32_e32 v67, 16, v95
	v_dual_add_f32 v43, v43, v56 :: v_dual_lshlrev_b32 v56, 16, v102
	v_mul_f32_e32 v47, v47, v58
	s_wait_loadcnt 0x8
	s_delay_alu instid0(VALU_DEP_2) | instskip(NEXT) | instid1(VALU_DEP_1)
	v_dual_add_f32 v43, v43, v58 :: v_dual_lshlrev_b32 v58, 16, v105
	v_add_f32_e32 v43, v43, v49
	s_delay_alu instid0(VALU_DEP_1) | instskip(NEXT) | instid1(VALU_DEP_1)
	v_add_f32_e32 v43, v43, v62
	v_add_f32_e32 v43, v43, v64
	s_wait_loadcnt 0x4
	v_lshlrev_b32_e32 v59, 16, v109
	s_wait_dscnt 0x6
	v_fmac_f32_e32 v23, v48, v45
	ds_bpermute_b32 v45, v28, v41
	s_wait_dscnt 0x6
	v_dual_sub_f32 v48, v60, v54 :: v_dual_lshlrev_b32 v69, 16, v97
	s_wait_dscnt 0x5
	v_dual_fmac_f32 v23, v47, v44 :: v_dual_lshlrev_b32 v54, 16, v101
	ds_bpermute_b32 v44, v29, v41
	s_wait_dscnt 0x5
	v_dual_mul_f32 v47, v48, v49 :: v_dual_sub_f32 v48, v63, v52
	ds_bpermute_b32 v52, v31, v42
	v_lshlrev_b32_e32 v61, 16, v98
	ds_bpermute_b32 v49, v33, v42
	s_wait_dscnt 0x6
	v_fmac_f32_e32 v23, v47, v46
	ds_bpermute_b32 v46, v30, v41
	v_mul_f32_e32 v47, v48, v62
	s_wait_dscnt 0x6
	v_sub_f32_e32 v48, v65, v50
	ds_bpermute_b32 v50, v32, v42
	v_lshlrev_b32_e32 v53, 16, v99
	v_add_f32_e32 v43, v43, v66
	s_wait_dscnt 0x5
	v_fmac_f32_e32 v23, v47, v45
	v_dual_mul_f32 v47, v48, v64 :: v_dual_sub_f32 v48, v67, v51
	ds_bpermute_b32 v45, v31, v41
	v_lshlrev_b32_e32 v51, 16, v104
	v_add_f32_e32 v43, v43, v68
	s_wait_dscnt 0x5
	v_fmac_f32_e32 v23, v47, v44
	s_wait_dscnt 0x4
	v_dual_mul_f32 v47, v48, v66 :: v_dual_sub_f32 v48, v69, v52
	ds_bpermute_b32 v44, v32, v41
	ds_bpermute_b32 v52, v34, v42
	v_add_f32_e32 v43, v43, v61
	s_wait_dscnt 0x4
	v_fmac_f32_e32 v23, v47, v46
	v_mul_f32_e32 v47, v48, v68
	ds_bpermute_b32 v46, v33, v41
	s_wait_dscnt 0x4
	v_sub_f32_e32 v48, v53, v50
	ds_bpermute_b32 v53, v35, v42
	s_wait_dscnt 0x4
	v_dual_fmac_f32 v23, v47, v45 :: v_dual_lshlrev_b32 v50, 16, v106
	ds_bpermute_b32 v47, v34, v41
	v_mul_f32_e32 v45, v48, v61
	v_sub_f32_e32 v48, v54, v49
	ds_bpermute_b32 v54, v36, v42
	v_lshlrev_b32_e32 v49, 16, v107
	s_wait_dscnt 0x5
	v_fmac_f32_e32 v23, v45, v44
	ds_bpermute_b32 v45, v35, v41
	s_wait_dscnt 0x3
	v_sub_f32_e32 v53, v58, v53
	v_lshlrev_b32_e32 v55, 16, v100
	s_delay_alu instid0(VALU_DEP_1)
	v_mul_f32_e32 v44, v48, v55
	v_sub_f32_e32 v48, v57, v52
	ds_bpermute_b32 v52, v37, v42
	v_lshlrev_b32_e32 v57, 16, v108
	v_fmac_f32_e32 v23, v44, v46
	ds_bpermute_b32 v44, v36, v41
	v_mul_f32_e32 v46, v48, v56
	ds_bpermute_b32 v48, v38, v42
	ds_bpermute_b32 v42, v39, v42
	s_wait_dscnt 0x6
	v_fmac_f32_e32 v23, v46, v47
	v_mul_f32_e32 v46, v53, v51
	v_add_f32_e32 v43, v43, v55
	ds_bpermute_b32 v55, v37, v41
	s_wait_dscnt 0x6
	v_sub_f32_e32 v47, v49, v54
	ds_bpermute_b32 v53, v38, v41
	s_wait_dscnt 0x6
	v_fmac_f32_e32 v23, v46, v45
	v_add_f32_e32 v43, v43, v56
	ds_bpermute_b32 v41, v39, v41
	v_mul_f32_e32 v45, v47, v50
	s_wait_loadcnt_dscnt 0x206
	v_dual_sub_f32 v46, v59, v52 :: v_dual_lshlrev_b32 v47, 16, v111
	v_add_f32_e32 v43, v43, v51
	v_lshlrev_b32_e32 v49, 16, v110
	s_wait_dscnt 0x5
	s_delay_alu instid0(VALU_DEP_3) | instskip(SKIP_4) | instid1(VALU_DEP_2)
	v_dual_fmac_f32 v23, v45, v44 :: v_dual_mul_f32 v44, v46, v57
	s_wait_loadcnt_dscnt 0x104
	v_dual_sub_f32 v45, v47, v48 :: v_dual_lshlrev_b32 v46, 16, v83
	v_add_f32_e32 v43, v43, v50
	s_wait_loadcnt_dscnt 0x3
	v_dual_sub_f32 v42, v46, v42 :: v_dual_lshlrev_b32 v47, 16, v81
	s_wait_dscnt 0x2
	v_dual_fmac_f32 v23, v44, v55 :: v_dual_mul_f32 v44, v45, v49
	s_delay_alu instid0(VALU_DEP_2) | instskip(SKIP_1) | instid1(VALU_DEP_2)
	v_dual_add_f32 v43, v43, v57 :: v_dual_mul_f32 v42, v42, v47
	s_wait_dscnt 0x1
	v_fmac_f32_e32 v23, v44, v53
	s_delay_alu instid0(VALU_DEP_2) | instskip(SKIP_1) | instid1(VALU_DEP_2)
	v_add_f32_e32 v43, v43, v49
	s_wait_dscnt 0x0
	v_fmac_f32_e32 v23, v42, v41
	s_delay_alu instid0(VALU_DEP_2)
	v_add_f32_e32 v43, v43, v47
	s_wait_alu 0xfffe
	s_cbranch_vccz .LBB96_8
.LBB96_6:                               ; =>This Inner Loop Header: Depth=1
	v_dual_mov_b32 v41, 0 :: v_dual_mov_b32 v42, 0
	s_mov_b32 s28, exec_lo
	v_cmpx_gt_i64_e64 s[8:9], v[2:3]
	s_cbranch_execz .LBB96_5
; %bb.7:                                ;   in Loop: Header=BB96_6 Depth=1
	v_add_co_u32 v41, vcc_lo, s4, v4
	s_wait_alu 0xfffd
	v_add_co_ci_u32_e64 v42, null, s5, v5, vcc_lo
	v_add_co_u32 v44, vcc_lo, s6, v4
	s_wait_alu 0xfffd
	v_add_co_ci_u32_e64 v45, null, s7, v5, vcc_lo
	global_load_b32 v42, v[41:42], off
	global_load_b32 v41, v[44:45], off
	s_branch .LBB96_5
.LBB96_8:
	v_mov_b32_e32 v1, v6
	s_mov_b64 s[2:3], s[18:19]
.LBB96_9:
	s_load_u16 s2, s[2:3], 0xe
	v_mov_b32_e32 v2, 0
	s_mov_b32 s0, ttmp9
	s_mov_b32 s1, 0
	s_wait_alu 0xfffe
	s_lshl_b64 s[0:1], s[0:1], 6
	s_wait_kmcnt 0x0
	s_cmp_eq_u64 s[12:13], 0
	s_wait_alu 0xfffe
	v_add_co_u32 v0, s0, s0, v7
	s_wait_alu 0xf1ff
	v_mad_co_u64_u32 v[2:3], null, s2, ttmp7, v[1:2]
	v_add_co_ci_u32_e64 v1, null, s1, 0, s0
	s_delay_alu instid0(VALU_DEP_1) | instskip(NEXT) | instid1(VALU_DEP_3)
	v_lshlrev_b64_e32 v[0:1], 1, v[0:1]
	v_mul_lo_u32 v3, v3, s10
	s_delay_alu instid0(VALU_DEP_4)
	v_mul_lo_u32 v4, v2, s11
	s_cbranch_scc1 .LBB96_11
; %bb.10:
	v_mad_co_u64_u32 v[5:6], null, v2, s10, 0
	v_bfe_u32 v7, v23, 16, 1
	s_delay_alu instid0(VALU_DEP_1) | instskip(NEXT) | instid1(VALU_DEP_3)
	v_add3_u32 v7, v23, v7, 0x7fff
	v_add3_u32 v6, v6, v4, v3
	s_delay_alu instid0(VALU_DEP_2) | instskip(NEXT) | instid1(VALU_DEP_2)
	v_lshrrev_b32_e32 v7, 16, v7
	v_lshlrev_b64_e32 v[5:6], 1, v[5:6]
	s_delay_alu instid0(VALU_DEP_1) | instskip(SKIP_1) | instid1(VALU_DEP_2)
	v_add_co_u32 v5, vcc_lo, s12, v5
	s_wait_alu 0xfffd
	v_add_co_ci_u32_e64 v6, null, s13, v6, vcc_lo
	v_cmp_o_f32_e32 vcc_lo, v23, v23
	s_wait_alu 0xfffd
	v_cndmask_b32_e32 v7, 0x7fc0, v7, vcc_lo
	v_add_co_u32 v5, vcc_lo, v5, v0
	s_wait_alu 0xfffd
	v_add_co_ci_u32_e64 v6, null, v6, v1, vcc_lo
	global_store_b16 v[5:6], v7, off
.LBB96_11:
	s_cmp_eq_u64 s[14:15], 0
	s_cbranch_scc1 .LBB96_13
; %bb.12:
	v_mad_co_u64_u32 v[5:6], null, v2, s10, 0
	v_bfe_u32 v2, v43, 16, 1
	s_delay_alu instid0(VALU_DEP_2) | instskip(NEXT) | instid1(VALU_DEP_2)
	v_add3_u32 v6, v6, v4, v3
	v_add3_u32 v4, v43, v2, 0x7fff
	s_delay_alu instid0(VALU_DEP_2) | instskip(NEXT) | instid1(VALU_DEP_2)
	v_lshlrev_b64_e32 v[2:3], 1, v[5:6]
	v_lshrrev_b32_e32 v4, 16, v4
	s_delay_alu instid0(VALU_DEP_2) | instskip(SKIP_1) | instid1(VALU_DEP_3)
	v_add_co_u32 v2, vcc_lo, s14, v2
	s_wait_alu 0xfffd
	v_add_co_ci_u32_e64 v3, null, s15, v3, vcc_lo
	v_cmp_o_f32_e32 vcc_lo, v43, v43
	s_wait_alu 0xfffd
	v_cndmask_b32_e32 v4, 0x7fc0, v4, vcc_lo
	v_add_co_u32 v0, vcc_lo, v2, v0
	s_wait_alu 0xfffd
	v_add_co_ci_u32_e64 v1, null, v3, v1, vcc_lo
	global_store_b16 v[0:1], v4, off
.LBB96_13:
	s_nop 0
	s_sendmsg sendmsg(MSG_DEALLOC_VGPRS)
	s_endpgm
	.section	.rodata,"a",@progbits
	.p2align	6, 0x0
	.amdhsa_kernel _ZN2at6native12_GLOBAL__N_135GammaBetaBackwardCUDAKernelTemplateIN3c108BFloat16EfLj64ELj1ELj32ELb1ELb1ELb0EEEvllPKT_S7_PKT0_SA_PS5_SB_
		.amdhsa_group_segment_fixed_size 0
		.amdhsa_private_segment_fixed_size 0
		.amdhsa_kernarg_size 320
		.amdhsa_user_sgpr_count 2
		.amdhsa_user_sgpr_dispatch_ptr 0
		.amdhsa_user_sgpr_queue_ptr 0
		.amdhsa_user_sgpr_kernarg_segment_ptr 1
		.amdhsa_user_sgpr_dispatch_id 0
		.amdhsa_user_sgpr_private_segment_size 0
		.amdhsa_wavefront_size32 1
		.amdhsa_uses_dynamic_stack 0
		.amdhsa_enable_private_segment 0
		.amdhsa_system_sgpr_workgroup_id_x 1
		.amdhsa_system_sgpr_workgroup_id_y 1
		.amdhsa_system_sgpr_workgroup_id_z 0
		.amdhsa_system_sgpr_workgroup_info 0
		.amdhsa_system_vgpr_workitem_id 1
		.amdhsa_next_free_vgpr 115
		.amdhsa_next_free_sgpr 29
		.amdhsa_reserve_vcc 1
		.amdhsa_float_round_mode_32 0
		.amdhsa_float_round_mode_16_64 0
		.amdhsa_float_denorm_mode_32 3
		.amdhsa_float_denorm_mode_16_64 3
		.amdhsa_fp16_overflow 0
		.amdhsa_workgroup_processor_mode 1
		.amdhsa_memory_ordered 1
		.amdhsa_forward_progress 1
		.amdhsa_inst_pref_size 38
		.amdhsa_round_robin_scheduling 0
		.amdhsa_exception_fp_ieee_invalid_op 0
		.amdhsa_exception_fp_denorm_src 0
		.amdhsa_exception_fp_ieee_div_zero 0
		.amdhsa_exception_fp_ieee_overflow 0
		.amdhsa_exception_fp_ieee_underflow 0
		.amdhsa_exception_fp_ieee_inexact 0
		.amdhsa_exception_int_div_zero 0
	.end_amdhsa_kernel
	.section	.text._ZN2at6native12_GLOBAL__N_135GammaBetaBackwardCUDAKernelTemplateIN3c108BFloat16EfLj64ELj1ELj32ELb1ELb1ELb0EEEvllPKT_S7_PKT0_SA_PS5_SB_,"axG",@progbits,_ZN2at6native12_GLOBAL__N_135GammaBetaBackwardCUDAKernelTemplateIN3c108BFloat16EfLj64ELj1ELj32ELb1ELb1ELb0EEEvllPKT_S7_PKT0_SA_PS5_SB_,comdat
.Lfunc_end96:
	.size	_ZN2at6native12_GLOBAL__N_135GammaBetaBackwardCUDAKernelTemplateIN3c108BFloat16EfLj64ELj1ELj32ELb1ELb1ELb0EEEvllPKT_S7_PKT0_SA_PS5_SB_, .Lfunc_end96-_ZN2at6native12_GLOBAL__N_135GammaBetaBackwardCUDAKernelTemplateIN3c108BFloat16EfLj64ELj1ELj32ELb1ELb1ELb0EEEvllPKT_S7_PKT0_SA_PS5_SB_
                                        ; -- End function
	.set _ZN2at6native12_GLOBAL__N_135GammaBetaBackwardCUDAKernelTemplateIN3c108BFloat16EfLj64ELj1ELj32ELb1ELb1ELb0EEEvllPKT_S7_PKT0_SA_PS5_SB_.num_vgpr, 115
	.set _ZN2at6native12_GLOBAL__N_135GammaBetaBackwardCUDAKernelTemplateIN3c108BFloat16EfLj64ELj1ELj32ELb1ELb1ELb0EEEvllPKT_S7_PKT0_SA_PS5_SB_.num_agpr, 0
	.set _ZN2at6native12_GLOBAL__N_135GammaBetaBackwardCUDAKernelTemplateIN3c108BFloat16EfLj64ELj1ELj32ELb1ELb1ELb0EEEvllPKT_S7_PKT0_SA_PS5_SB_.numbered_sgpr, 29
	.set _ZN2at6native12_GLOBAL__N_135GammaBetaBackwardCUDAKernelTemplateIN3c108BFloat16EfLj64ELj1ELj32ELb1ELb1ELb0EEEvllPKT_S7_PKT0_SA_PS5_SB_.num_named_barrier, 0
	.set _ZN2at6native12_GLOBAL__N_135GammaBetaBackwardCUDAKernelTemplateIN3c108BFloat16EfLj64ELj1ELj32ELb1ELb1ELb0EEEvllPKT_S7_PKT0_SA_PS5_SB_.private_seg_size, 0
	.set _ZN2at6native12_GLOBAL__N_135GammaBetaBackwardCUDAKernelTemplateIN3c108BFloat16EfLj64ELj1ELj32ELb1ELb1ELb0EEEvllPKT_S7_PKT0_SA_PS5_SB_.uses_vcc, 1
	.set _ZN2at6native12_GLOBAL__N_135GammaBetaBackwardCUDAKernelTemplateIN3c108BFloat16EfLj64ELj1ELj32ELb1ELb1ELb0EEEvllPKT_S7_PKT0_SA_PS5_SB_.uses_flat_scratch, 0
	.set _ZN2at6native12_GLOBAL__N_135GammaBetaBackwardCUDAKernelTemplateIN3c108BFloat16EfLj64ELj1ELj32ELb1ELb1ELb0EEEvllPKT_S7_PKT0_SA_PS5_SB_.has_dyn_sized_stack, 0
	.set _ZN2at6native12_GLOBAL__N_135GammaBetaBackwardCUDAKernelTemplateIN3c108BFloat16EfLj64ELj1ELj32ELb1ELb1ELb0EEEvllPKT_S7_PKT0_SA_PS5_SB_.has_recursion, 0
	.set _ZN2at6native12_GLOBAL__N_135GammaBetaBackwardCUDAKernelTemplateIN3c108BFloat16EfLj64ELj1ELj32ELb1ELb1ELb0EEEvllPKT_S7_PKT0_SA_PS5_SB_.has_indirect_call, 0
	.section	.AMDGPU.csdata,"",@progbits
; Kernel info:
; codeLenInByte = 4748
; TotalNumSgprs: 31
; NumVgprs: 115
; ScratchSize: 0
; MemoryBound: 0
; FloatMode: 240
; IeeeMode: 1
; LDSByteSize: 0 bytes/workgroup (compile time only)
; SGPRBlocks: 0
; VGPRBlocks: 14
; NumSGPRsForWavesPerEU: 31
; NumVGPRsForWavesPerEU: 115
; Occupancy: 12
; WaveLimiterHint : 0
; COMPUTE_PGM_RSRC2:SCRATCH_EN: 0
; COMPUTE_PGM_RSRC2:USER_SGPR: 2
; COMPUTE_PGM_RSRC2:TRAP_HANDLER: 0
; COMPUTE_PGM_RSRC2:TGID_X_EN: 1
; COMPUTE_PGM_RSRC2:TGID_Y_EN: 1
; COMPUTE_PGM_RSRC2:TGID_Z_EN: 0
; COMPUTE_PGM_RSRC2:TIDIG_COMP_CNT: 1
	.section	.text._ZN2at6native12_GLOBAL__N_135GammaBetaBackwardCUDAKernelTemplateIN3c108BFloat16EfLj64ELj1ELj32ELb1ELb0ELb0EEEvllPKT_S7_PKT0_SA_PS5_SB_,"axG",@progbits,_ZN2at6native12_GLOBAL__N_135GammaBetaBackwardCUDAKernelTemplateIN3c108BFloat16EfLj64ELj1ELj32ELb1ELb0ELb0EEEvllPKT_S7_PKT0_SA_PS5_SB_,comdat
	.globl	_ZN2at6native12_GLOBAL__N_135GammaBetaBackwardCUDAKernelTemplateIN3c108BFloat16EfLj64ELj1ELj32ELb1ELb0ELb0EEEvllPKT_S7_PKT0_SA_PS5_SB_ ; -- Begin function _ZN2at6native12_GLOBAL__N_135GammaBetaBackwardCUDAKernelTemplateIN3c108BFloat16EfLj64ELj1ELj32ELb1ELb0ELb0EEEvllPKT_S7_PKT0_SA_PS5_SB_
	.p2align	8
	.type	_ZN2at6native12_GLOBAL__N_135GammaBetaBackwardCUDAKernelTemplateIN3c108BFloat16EfLj64ELj1ELj32ELb1ELb0ELb0EEEvllPKT_S7_PKT0_SA_PS5_SB_,@function
_ZN2at6native12_GLOBAL__N_135GammaBetaBackwardCUDAKernelTemplateIN3c108BFloat16EfLj64ELj1ELj32ELb1ELb0ELb0EEEvllPKT_S7_PKT0_SA_PS5_SB_: ; @_ZN2at6native12_GLOBAL__N_135GammaBetaBackwardCUDAKernelTemplateIN3c108BFloat16EfLj64ELj1ELj32ELb1ELb0ELb0EEEvllPKT_S7_PKT0_SA_PS5_SB_
; %bb.0:
	s_clause 0x1
	s_load_b256 s[4:11], s[0:1], 0x0
	s_load_b128 s[12:15], s[0:1], 0x20
	s_lshl_b32 s30, ttmp9, 6
	s_mov_b32 s17, 0
	s_or_b32 s16, s30, 63
	v_mov_b32_e32 v228, v0
	s_wait_kmcnt 0x0
	v_cmp_le_i64_e64 s2, s[6:7], s[16:17]
	s_lshl_b32 s16, ttmp7, 5
	s_wait_alu 0xfffe
	v_cmp_gt_i64_e64 s31, s[4:5], s[16:17]
	s_and_b32 vcc_lo, exec_lo, s2
	v_cndmask_b32_e64 v0, 0, 1, s31
	s_delay_alu instid0(VALU_DEP_1)
	v_cmp_ne_u32_e64 s2, 1, v0
	s_cbranch_vccz .LBB97_141
; %bb.1:
	v_mov_b32_e32 v203, 0
	v_mov_b32_e32 v201, 0
	s_and_b32 vcc_lo, exec_lo, s2
	s_cbranch_vccnz .LBB97_142
; %bb.2:
	v_bfe_u32 v38, v228, 10, 10
	v_dual_mov_b32 v1, 0 :: v_dual_and_b32 v40, 0x3ff, v228
	s_load_b32 s3, s[0:1], 0x44
	s_mov_b32 s19, 0
	s_delay_alu instid0(VALU_DEP_2) | instskip(NEXT) | instid1(VALU_DEP_2)
	v_lshlrev_b32_e32 v39, 5, v38
	v_dual_mov_b32 v7, v1 :: v_dual_add_nc_u32 v6, s30, v40
	s_mov_b32 s23, s19
	v_mov_b32_e32 v41, v1
	s_delay_alu instid0(VALU_DEP_3) | instskip(NEXT) | instid1(VALU_DEP_1)
	v_add_co_u32 v4, s2, v39, s16
	v_add_co_ci_u32_e64 v5, null, 0, 0, s2
	v_cmp_gt_i64_e64 s2, s[6:7], v[6:7]
	s_delay_alu instid0(VALU_DEP_3) | instskip(SKIP_1) | instid1(VALU_DEP_4)
	v_mul_lo_u32 v0, s7, v4
	v_mad_co_u64_u32 v[2:3], null, s6, v4, 0
	v_mul_lo_u32 v8, s6, v5
	v_lshlrev_b64_e32 v[34:35], 1, v[6:7]
	v_mov_b32_e32 v201, 0
	v_mov_b32_e32 v169, 0
	s_add_nc_u64 s[20:21], s[0:1], 64
	s_wait_kmcnt 0x0
	s_lshl_b32 s22, s3, 5
	s_mov_b64 s[26:27], 31
	s_mul_u64 s[24:25], s[6:7], s[22:23]
	v_add3_u32 v3, v3, v8, v0
	v_add_co_u32 v0, vcc_lo, v4, 31
	s_delay_alu instid0(VALU_DEP_1) | instskip(NEXT) | instid1(VALU_DEP_3)
	v_add_co_ci_u32_e64 v8, null, 0, v5, vcc_lo
	v_lshlrev_b64_e32 v[6:7], 1, v[2:3]
	s_delay_alu instid0(VALU_DEP_3) | instskip(SKIP_1) | instid1(VALU_DEP_3)
	v_mul_lo_u32 v12, s7, v0
	s_lshl_b64 s[24:25], s[24:25], 1
	v_mul_lo_u32 v13, s6, v8
	v_mad_co_u64_u32 v[8:9], null, s6, v0, 0
	v_add_co_u32 v0, vcc_lo, v4, 30
	s_wait_alu 0xfffd
	v_add_co_ci_u32_e64 v10, null, 0, v5, vcc_lo
	v_add_co_u32 v42, vcc_lo, s8, v6
	s_delay_alu instid0(VALU_DEP_3) | instskip(NEXT) | instid1(VALU_DEP_3)
	v_mul_lo_u32 v14, s7, v0
	v_mul_lo_u32 v15, s6, v10
	v_mad_co_u64_u32 v[10:11], null, s6, v0, 0
	s_wait_alu 0xfffd
	v_add_co_ci_u32_e64 v43, null, s9, v7, vcc_lo
	v_add_co_u32 v44, vcc_lo, s10, v6
	s_wait_alu 0xfffd
	v_add_co_ci_u32_e64 v45, null, s11, v7, vcc_lo
	v_add_co_u32 v0, vcc_lo, v4, 29
	v_add3_u32 v9, v9, v13, v12
	v_add3_u32 v11, v11, v15, v14
	s_wait_alu 0xfffd
	v_add_co_ci_u32_e64 v12, null, 0, v5, vcc_lo
	v_mul_lo_u32 v13, s7, v0
	v_lshlrev_b64_e32 v[6:7], 1, v[8:9]
	v_lshlrev_b64_e32 v[8:9], 1, v[10:11]
	s_delay_alu instid0(VALU_DEP_4)
	v_mul_lo_u32 v12, s6, v12
	v_mad_co_u64_u32 v[10:11], null, s6, v0, 0
	s_mov_b64 s[28:29], s[16:17]
	v_add_co_u32 v46, vcc_lo, s8, v6
	s_wait_alu 0xfffd
	v_add_co_ci_u32_e64 v47, null, s9, v7, vcc_lo
	v_add_co_u32 v48, vcc_lo, s10, v6
	v_add3_u32 v11, v11, v12, v13
	s_wait_alu 0xfffd
	v_add_co_ci_u32_e64 v49, null, s11, v7, vcc_lo
	v_add_co_u32 v50, vcc_lo, s8, v8
	s_wait_alu 0xfffd
	v_add_co_ci_u32_e64 v51, null, s9, v9, vcc_lo
	v_add_co_u32 v0, vcc_lo, v4, 28
	v_add_co_u32 v52, s3, s10, v8
	v_lshlrev_b64_e32 v[6:7], 1, v[10:11]
	s_wait_alu 0xfffd
	v_add_co_ci_u32_e64 v8, null, 0, v5, vcc_lo
	v_add_co_u32 v10, vcc_lo, v4, 27
	s_wait_alu 0xfffd
	v_add_co_ci_u32_e64 v11, null, 0, v5, vcc_lo
	s_wait_alu 0xf1ff
	v_add_co_ci_u32_e64 v53, null, s11, v9, s3
	v_mul_lo_u32 v12, s7, v0
	v_mul_lo_u32 v13, s6, v8
	v_mad_co_u64_u32 v[8:9], null, s6, v0, 0
	v_mul_lo_u32 v0, s7, v10
	v_mul_lo_u32 v14, s6, v11
	v_mad_co_u64_u32 v[10:11], null, s6, v10, 0
	v_add_co_u32 v54, vcc_lo, s8, v6
	s_wait_alu 0xfffd
	v_add_co_ci_u32_e64 v55, null, s9, v7, vcc_lo
	v_add_co_u32 v56, vcc_lo, s10, v6
	s_wait_alu 0xfffd
	v_add_co_ci_u32_e64 v57, null, s11, v7, vcc_lo
	v_add3_u32 v11, v11, v14, v0
	v_add_co_u32 v0, vcc_lo, v4, 26
	v_add3_u32 v9, v9, v13, v12
	s_wait_alu 0xfffd
	v_add_co_ci_u32_e64 v12, null, 0, v5, vcc_lo
	s_delay_alu instid0(VALU_DEP_3) | instskip(NEXT) | instid1(VALU_DEP_3)
	v_mul_lo_u32 v13, s7, v0
	v_lshlrev_b64_e32 v[6:7], 1, v[8:9]
	v_lshlrev_b64_e32 v[8:9], 1, v[10:11]
	s_delay_alu instid0(VALU_DEP_4) | instskip(SKIP_1) | instid1(VALU_DEP_4)
	v_mul_lo_u32 v12, s6, v12
	v_mad_co_u64_u32 v[10:11], null, s6, v0, 0
	v_add_co_u32 v58, vcc_lo, s8, v6
	s_wait_alu 0xfffd
	v_add_co_ci_u32_e64 v59, null, s9, v7, vcc_lo
	v_add_co_u32 v60, vcc_lo, s10, v6
	s_delay_alu instid0(VALU_DEP_4)
	v_add3_u32 v11, v11, v12, v13
	s_wait_alu 0xfffd
	v_add_co_ci_u32_e64 v61, null, s11, v7, vcc_lo
	v_add_co_u32 v62, vcc_lo, s8, v8
	s_wait_alu 0xfffd
	v_add_co_ci_u32_e64 v63, null, s9, v9, vcc_lo
	v_add_co_u32 v0, vcc_lo, v4, 25
	v_add_co_u32 v64, s3, s10, v8
	v_lshlrev_b64_e32 v[6:7], 1, v[10:11]
	s_wait_alu 0xfffd
	v_add_co_ci_u32_e64 v8, null, 0, v5, vcc_lo
	v_add_co_u32 v10, vcc_lo, v4, 24
	s_wait_alu 0xfffd
	v_add_co_ci_u32_e64 v11, null, 0, v5, vcc_lo
	s_wait_alu 0xf1ff
	v_add_co_ci_u32_e64 v65, null, s11, v9, s3
	v_mul_lo_u32 v12, s7, v0
	v_mul_lo_u32 v13, s6, v8
	v_mad_co_u64_u32 v[8:9], null, s6, v0, 0
	v_mul_lo_u32 v14, s7, v10
	v_mul_lo_u32 v15, s6, v11
	v_mad_co_u64_u32 v[10:11], null, s6, v10, 0
	v_add_co_u32 v0, vcc_lo, s8, v6
	s_wait_alu 0xfffd
	v_add_co_ci_u32_e64 v66, null, s9, v7, vcc_lo
	v_add_co_u32 v67, vcc_lo, s10, v6
	v_add3_u32 v9, v9, v13, v12
	s_wait_alu 0xfffd
	v_add_co_ci_u32_e64 v68, null, s11, v7, vcc_lo
	v_add_co_u32 v12, vcc_lo, v4, 23
	v_add3_u32 v11, v11, v15, v14
	s_wait_alu 0xfffd
	v_add_co_ci_u32_e64 v13, null, 0, v5, vcc_lo
	v_lshlrev_b64_e32 v[6:7], 1, v[8:9]
	v_mul_lo_u32 v14, s7, v12
	v_lshlrev_b64_e32 v[8:9], 1, v[10:11]
	s_delay_alu instid0(VALU_DEP_4)
	v_mul_lo_u32 v13, s6, v13
	v_mad_co_u64_u32 v[10:11], null, s6, v12, 0
	v_add_co_u32 v69, vcc_lo, s8, v6
	s_wait_alu 0xfffd
	v_add_co_ci_u32_e64 v70, null, s9, v7, vcc_lo
	v_add_co_u32 v71, vcc_lo, s10, v6
	s_delay_alu instid0(VALU_DEP_4)
	v_add3_u32 v11, v11, v13, v14
	s_wait_alu 0xfffd
	v_add_co_ci_u32_e64 v72, null, s11, v7, vcc_lo
	v_add_co_u32 v73, vcc_lo, s8, v8
	s_wait_alu 0xfffd
	v_add_co_ci_u32_e64 v74, null, s9, v9, vcc_lo
	v_add_co_u32 v12, vcc_lo, v4, 22
	v_add_co_u32 v75, s3, s10, v8
	v_lshlrev_b64_e32 v[6:7], 1, v[10:11]
	s_wait_alu 0xfffd
	v_add_co_ci_u32_e64 v8, null, 0, v5, vcc_lo
	v_add_co_u32 v10, vcc_lo, v4, 21
	s_wait_alu 0xfffd
	v_add_co_ci_u32_e64 v11, null, 0, v5, vcc_lo
	s_wait_alu 0xf1ff
	v_add_co_ci_u32_e64 v76, null, s11, v9, s3
	v_mul_lo_u32 v13, s7, v12
	v_mul_lo_u32 v14, s6, v8
	v_mad_co_u64_u32 v[8:9], null, s6, v12, 0
	v_mul_lo_u32 v12, s7, v10
	v_mul_lo_u32 v15, s6, v11
	v_mad_co_u64_u32 v[10:11], null, s6, v10, 0
	v_add_co_u32 v77, vcc_lo, s8, v6
	s_wait_alu 0xfffd
	v_add_co_ci_u32_e64 v78, null, s9, v7, vcc_lo
	v_add_co_u32 v79, vcc_lo, s10, v6
	s_wait_alu 0xfffd
	v_add_co_ci_u32_e64 v80, null, s11, v7, vcc_lo
	v_add3_u32 v11, v11, v15, v12
	v_add_co_u32 v12, vcc_lo, v4, 20
	v_add3_u32 v9, v9, v14, v13
	s_wait_alu 0xfffd
	v_add_co_ci_u32_e64 v13, null, 0, v5, vcc_lo
	s_delay_alu instid0(VALU_DEP_3) | instskip(NEXT) | instid1(VALU_DEP_3)
	v_mul_lo_u32 v14, s7, v12
	v_lshlrev_b64_e32 v[6:7], 1, v[8:9]
	v_lshlrev_b64_e32 v[8:9], 1, v[10:11]
	s_delay_alu instid0(VALU_DEP_4) | instskip(SKIP_1) | instid1(VALU_DEP_4)
	v_mul_lo_u32 v13, s6, v13
	v_mad_co_u64_u32 v[10:11], null, s6, v12, 0
	v_add_co_u32 v81, vcc_lo, s8, v6
	s_wait_alu 0xfffd
	v_add_co_ci_u32_e64 v82, null, s9, v7, vcc_lo
	v_add_co_u32 v83, vcc_lo, s10, v6
	s_delay_alu instid0(VALU_DEP_4)
	v_add3_u32 v11, v11, v13, v14
	s_wait_alu 0xfffd
	v_add_co_ci_u32_e64 v84, null, s11, v7, vcc_lo
	v_add_co_u32 v85, vcc_lo, s8, v8
	s_wait_alu 0xfffd
	v_add_co_ci_u32_e64 v86, null, s9, v9, vcc_lo
	v_add_co_u32 v12, vcc_lo, v4, 19
	v_add_co_u32 v87, s3, s10, v8
	v_lshlrev_b64_e32 v[6:7], 1, v[10:11]
	s_wait_alu 0xfffd
	v_add_co_ci_u32_e64 v8, null, 0, v5, vcc_lo
	v_add_co_u32 v10, vcc_lo, v4, 18
	s_wait_alu 0xfffd
	v_add_co_ci_u32_e64 v11, null, 0, v5, vcc_lo
	s_wait_alu 0xf1ff
	v_add_co_ci_u32_e64 v88, null, s11, v9, s3
	v_mul_lo_u32 v13, s7, v12
	v_mul_lo_u32 v14, s6, v8
	v_mad_co_u64_u32 v[8:9], null, s6, v12, 0
	v_mul_lo_u32 v12, s7, v10
	v_mul_lo_u32 v15, s6, v11
	v_mad_co_u64_u32 v[10:11], null, s6, v10, 0
	v_add_co_u32 v89, vcc_lo, s8, v6
	s_wait_alu 0xfffd
	v_add_co_ci_u32_e64 v90, null, s9, v7, vcc_lo
	v_add_co_u32 v91, vcc_lo, s10, v6
	s_wait_alu 0xfffd
	v_add_co_ci_u32_e64 v92, null, s11, v7, vcc_lo
	v_add3_u32 v11, v11, v15, v12
	v_add_co_u32 v12, vcc_lo, v4, 17
	v_add3_u32 v9, v9, v14, v13
	s_wait_alu 0xfffd
	v_add_co_ci_u32_e64 v13, null, 0, v5, vcc_lo
	s_delay_alu instid0(VALU_DEP_3) | instskip(NEXT) | instid1(VALU_DEP_3)
	v_mul_lo_u32 v14, s7, v12
	v_lshlrev_b64_e32 v[6:7], 1, v[8:9]
	v_lshlrev_b64_e32 v[8:9], 1, v[10:11]
	s_delay_alu instid0(VALU_DEP_4) | instskip(SKIP_1) | instid1(VALU_DEP_4)
	;; [unrolled: 45-line block ×4, first 2 shown]
	v_mul_lo_u32 v13, s6, v13
	v_mad_co_u64_u32 v[10:11], null, s6, v12, 0
	v_add_co_u32 v117, vcc_lo, s8, v6
	s_wait_alu 0xfffd
	v_add_co_ci_u32_e64 v118, null, s9, v7, vcc_lo
	v_add_co_u32 v119, vcc_lo, s10, v6
	s_delay_alu instid0(VALU_DEP_4)
	v_add3_u32 v11, v11, v13, v14
	s_wait_alu 0xfffd
	v_add_co_ci_u32_e64 v120, null, s11, v7, vcc_lo
	v_add_co_u32 v121, vcc_lo, s8, v8
	s_wait_alu 0xfffd
	v_add_co_ci_u32_e64 v122, null, s9, v9, vcc_lo
	v_add_co_u32 v12, vcc_lo, v4, 10
	v_add_co_u32 v123, s3, s10, v8
	v_lshlrev_b64_e32 v[6:7], 1, v[10:11]
	s_wait_alu 0xfffd
	v_add_co_ci_u32_e64 v8, null, 0, v5, vcc_lo
	v_add_co_u32 v10, vcc_lo, v4, 9
	s_wait_alu 0xfffd
	v_add_co_ci_u32_e64 v11, null, 0, v5, vcc_lo
	s_wait_alu 0xf1ff
	v_add_co_ci_u32_e64 v124, null, s11, v9, s3
	v_mul_lo_u32 v13, s7, v12
	v_mul_lo_u32 v14, s6, v8
	v_mad_co_u64_u32 v[8:9], null, s6, v12, 0
	v_mul_lo_u32 v12, s7, v10
	v_mul_lo_u32 v15, s6, v11
	v_mad_co_u64_u32 v[10:11], null, s6, v10, 0
	v_add_co_u32 v125, vcc_lo, s8, v6
	s_wait_alu 0xfffd
	v_add_co_ci_u32_e64 v126, null, s9, v7, vcc_lo
	v_add_co_u32 v127, vcc_lo, s10, v6
	v_add3_u32 v9, v9, v14, v13
	s_wait_alu 0xfffd
	v_add_co_ci_u32_e64 v128, null, s11, v7, vcc_lo
	v_add3_u32 v11, v11, v15, v12
	v_add_co_u32 v12, vcc_lo, v4, 8
	s_wait_alu 0xfffd
	v_add_co_ci_u32_e64 v13, null, 0, v5, vcc_lo
	v_lshlrev_b64_e32 v[6:7], 1, v[8:9]
	v_lshlrev_b64_e32 v[8:9], 1, v[10:11]
	v_mul_lo_u32 v14, s7, v12
	s_delay_alu instid0(VALU_DEP_4)
	v_mul_lo_u32 v13, s6, v13
	v_mad_co_u64_u32 v[10:11], null, s6, v12, 0
	v_add_co_u32 v129, vcc_lo, s8, v6
	s_wait_alu 0xfffd
	v_add_co_ci_u32_e64 v130, null, s9, v7, vcc_lo
	v_add_co_u32 v131, vcc_lo, s10, v6
	s_wait_alu 0xfffd
	v_add_co_ci_u32_e64 v132, null, s11, v7, vcc_lo
	v_add_co_u32 v133, vcc_lo, s8, v8
	v_add3_u32 v11, v11, v13, v14
	s_wait_alu 0xfffd
	v_add_co_ci_u32_e64 v134, null, s9, v9, vcc_lo
	v_add_co_u32 v12, vcc_lo, v4, 7
	v_add_co_u32 v135, s3, s10, v8
	s_wait_alu 0xfffd
	v_add_co_ci_u32_e64 v8, null, 0, v5, vcc_lo
	v_lshlrev_b64_e32 v[6:7], 1, v[10:11]
	v_add_co_u32 v10, vcc_lo, v4, 6
	s_wait_alu 0xfffd
	v_add_co_ci_u32_e64 v11, null, 0, v5, vcc_lo
	s_wait_alu 0xf1ff
	v_add_co_ci_u32_e64 v136, null, s11, v9, s3
	v_mul_lo_u32 v13, s7, v12
	v_mul_lo_u32 v14, s6, v8
	v_mad_co_u64_u32 v[8:9], null, s6, v12, 0
	v_mul_lo_u32 v12, s7, v10
	v_mul_lo_u32 v15, s6, v11
	v_mad_co_u64_u32 v[10:11], null, s6, v10, 0
	v_add_co_u32 v137, vcc_lo, s8, v6
	v_add3_u32 v9, v9, v14, v13
	s_wait_alu 0xfffd
	v_add_co_ci_u32_e64 v138, null, s9, v7, vcc_lo
	v_add_co_u32 v139, vcc_lo, s10, v6
	s_wait_alu 0xfffd
	v_add_co_ci_u32_e64 v140, null, s11, v7, vcc_lo
	v_add3_u32 v11, v11, v15, v12
	v_add_co_u32 v12, vcc_lo, v4, 5
	v_lshlrev_b64_e32 v[6:7], 1, v[8:9]
	s_wait_alu 0xfffd
	v_add_co_ci_u32_e64 v13, null, 0, v5, vcc_lo
	v_lshlrev_b64_e32 v[8:9], 1, v[10:11]
	v_mul_lo_u32 v14, s7, v12
	v_mad_co_u64_u32 v[10:11], null, s6, v12, 0
	v_add_co_u32 v141, vcc_lo, s8, v6
	v_mul_lo_u32 v13, s6, v13
	s_wait_alu 0xfffd
	v_add_co_ci_u32_e64 v142, null, s9, v7, vcc_lo
	v_add_co_u32 v143, vcc_lo, s10, v6
	s_wait_alu 0xfffd
	v_add_co_ci_u32_e64 v144, null, s11, v7, vcc_lo
	v_add_co_u32 v145, vcc_lo, s8, v8
	;; [unrolled: 3-line block ×3, first 2 shown]
	v_add3_u32 v11, v11, v13, v14
	v_add_co_u32 v147, s3, s10, v8
	s_wait_alu 0xfffd
	v_add_co_ci_u32_e64 v8, null, 0, v5, vcc_lo
	s_wait_alu 0xf1ff
	v_add_co_ci_u32_e64 v148, null, s11, v9, s3
	v_lshlrev_b64_e32 v[6:7], 1, v[10:11]
	v_mul_lo_u32 v13, s7, v12
	v_add_co_u32 v10, vcc_lo, v4, 3
	v_mul_lo_u32 v14, s6, v8
	v_mad_co_u64_u32 v[8:9], null, s6, v12, 0
	s_wait_alu 0xfffd
	v_add_co_ci_u32_e64 v11, null, 0, v5, vcc_lo
	v_mul_lo_u32 v12, s7, v10
	v_add_co_u32 v149, vcc_lo, s8, v6
	s_delay_alu instid0(VALU_DEP_3)
	v_mul_lo_u32 v15, s6, v11
	v_mad_co_u64_u32 v[10:11], null, s6, v10, 0
	v_add3_u32 v9, v9, v14, v13
	s_wait_alu 0xfffd
	v_add_co_ci_u32_e64 v150, null, s9, v7, vcc_lo
	v_add_co_u32 v151, vcc_lo, s10, v6
	s_wait_alu 0xfffd
	v_add_co_ci_u32_e64 v152, null, s11, v7, vcc_lo
	v_lshlrev_b64_e32 v[6:7], 1, v[8:9]
	v_add_co_u32 v8, vcc_lo, v4, 2
	v_add3_u32 v11, v11, v15, v12
	s_wait_alu 0xfffd
	v_add_co_ci_u32_e64 v9, null, 0, v5, vcc_lo
	s_delay_alu instid0(VALU_DEP_4) | instskip(NEXT) | instid1(VALU_DEP_3)
	v_add_co_u32 v153, vcc_lo, s8, v6
	v_lshlrev_b64_e32 v[4:5], 1, v[10:11]
	v_mul_lo_u32 v10, s7, v8
	s_delay_alu instid0(VALU_DEP_4)
	v_mul_lo_u32 v11, s6, v9
	v_mad_co_u64_u32 v[8:9], null, s6, v8, 0
	s_wait_alu 0xfffd
	v_add_co_ci_u32_e64 v154, null, s9, v7, vcc_lo
	v_add_co_u32 v155, vcc_lo, s10, v6
	s_wait_alu 0xfffd
	v_add_co_ci_u32_e64 v156, null, s11, v7, vcc_lo
	v_add_co_u32 v157, vcc_lo, s8, v4
	s_wait_alu 0xfffd
	v_add_co_ci_u32_e64 v158, null, s9, v5, vcc_lo
	v_add3_u32 v9, v9, v11, v10
	v_add_co_u32 v159, vcc_lo, s10, v4
	s_wait_alu 0xfffd
	v_add_co_ci_u32_e64 v160, null, s11, v5, vcc_lo
	v_add_co_u32 v2, vcc_lo, v2, s6
	s_wait_alu 0xfffd
	v_add_co_ci_u32_e64 v3, null, s7, v3, vcc_lo
	v_lshlrev_b64_e32 v[4:5], 1, v[8:9]
	s_delay_alu instid0(VALU_DEP_2) | instskip(NEXT) | instid1(VALU_DEP_2)
	v_lshlrev_b64_e32 v[2:3], 1, v[2:3]
	v_add_co_u32 v161, vcc_lo, s8, v4
	s_wait_alu 0xfffd
	s_delay_alu instid0(VALU_DEP_3)
	v_add_co_ci_u32_e64 v162, null, s9, v5, vcc_lo
	v_add_co_u32 v163, vcc_lo, s10, v4
	s_wait_alu 0xfffd
	v_add_co_ci_u32_e64 v164, null, s11, v5, vcc_lo
	v_add_co_u32 v165, vcc_lo, s8, v2
	s_wait_alu 0xfffd
	;; [unrolled: 3-line block ×3, first 2 shown]
	v_add_co_ci_u32_e64 v168, null, s11, v3, vcc_lo
.LBB97_3:                               ; =>This Inner Loop Header: Depth=1
	s_add_nc_u64 s[34:35], s[16:17], s[26:27]
	v_add_co_u32 v36, vcc_lo, s16, v39
	s_wait_alu 0xfffe
	v_cmp_ge_i64_e64 s3, s[34:35], s[4:5]
	s_wait_alu 0xfffd
	v_add_co_ci_u32_e64 v37, null, 0, v41, vcc_lo
                                        ; implicit-def: $vgpr2_vgpr3_vgpr4_vgpr5_vgpr6_vgpr7_vgpr8_vgpr9_vgpr10_vgpr11_vgpr12_vgpr13_vgpr14_vgpr15_vgpr16_vgpr17_vgpr18_vgpr19_vgpr20_vgpr21_vgpr22_vgpr23_vgpr24_vgpr25_vgpr26_vgpr27_vgpr28_vgpr29_vgpr30_vgpr31_vgpr32_vgpr33
                                        ; implicit-def: $vgpr171
                                        ; implicit-def: $vgpr188
                                        ; implicit-def: $vgpr2
                                        ; implicit-def: $vgpr203
                                        ; implicit-def: $vgpr3
	s_and_b32 vcc_lo, exec_lo, s3
	s_mov_b32 s3, -1
	s_wait_alu 0xfffe
	s_cbranch_vccz .LBB97_71
; %bb.4:                                ;   in Loop: Header=BB97_3 Depth=1
	s_load_b32 s3, s[20:21], 0xc
	v_mov_b32_e32 v172, 0
	v_dual_mov_b32 v170, 0 :: v_dual_mov_b32 v171, 0
	s_wait_kmcnt 0x0
	s_and_b32 s3, s3, 0xffff
	s_wait_alu 0xfffe
	v_mad_u32_u24 v2, v38, s3, v40
	s_mov_b32 s3, exec_lo
	s_delay_alu instid0(VALU_DEP_1) | instskip(NEXT) | instid1(VALU_DEP_1)
	v_and_b32_e32 v2, 31, v2
	v_add_co_u32 v2, vcc_lo, v36, v2
	s_wait_alu 0xfffd
	v_add_co_ci_u32_e64 v3, null, 0, v37, vcc_lo
	s_delay_alu instid0(VALU_DEP_1)
	v_cmpx_gt_i64_e64 s[4:5], v[2:3]
	s_cbranch_execz .LBB97_6
; %bb.5:                                ;   in Loop: Header=BB97_3 Depth=1
	v_lshlrev_b64_e32 v[2:3], 2, v[2:3]
	s_delay_alu instid0(VALU_DEP_1) | instskip(SKIP_1) | instid1(VALU_DEP_2)
	v_add_co_u32 v4, vcc_lo, s12, v2
	s_wait_alu 0xfffd
	v_add_co_ci_u32_e64 v5, null, s13, v3, vcc_lo
	v_add_co_u32 v2, vcc_lo, s14, v2
	s_wait_alu 0xfffd
	v_add_co_ci_u32_e64 v3, null, s15, v3, vcc_lo
	global_load_b32 v170, v[4:5], off
	global_load_b32 v171, v[2:3], off
.LBB97_6:                               ;   in Loop: Header=BB97_3 Depth=1
	s_wait_alu 0xfffe
	s_or_b32 exec_lo, exec_lo, s3
	v_mov_b32_e32 v32, v1
	v_cmp_gt_i64_e32 vcc_lo, s[4:5], v[36:37]
	v_dual_mov_b32 v2, v1 :: v_dual_mov_b32 v3, v1
	v_dual_mov_b32 v4, v1 :: v_dual_mov_b32 v5, v1
	;; [unrolled: 1-line block ×15, first 2 shown]
	v_mov_b32_e32 v33, v32
	s_delay_alu instid0(VALU_DEP_2) | instskip(NEXT) | instid1(VALU_DEP_3)
	v_mov_b32_e32 v32, v31
	v_mov_b32_e32 v31, v30
	;; [unrolled: 1-line block ×31, first 2 shown]
	s_and_b32 s18, s2, vcc_lo
	s_delay_alu instid0(SALU_CYCLE_1)
	s_and_saveexec_b32 s3, s18
	s_cbranch_execz .LBB97_8
; %bb.7:                                ;   in Loop: Header=BB97_3 Depth=1
	v_add_co_u32 v2, vcc_lo, v42, v34
	s_wait_alu 0xfffd
	v_add_co_ci_u32_e64 v3, null, v43, v35, vcc_lo
	v_add_co_u32 v4, vcc_lo, v44, v34
	s_wait_alu 0xfffd
	v_add_co_ci_u32_e64 v5, null, v45, v35, vcc_lo
	global_load_u16 v2, v[2:3], off
	global_load_u16 v172, v[4:5], off
	v_dual_mov_b32 v3, v1 :: v_dual_mov_b32 v4, v1
	v_dual_mov_b32 v5, v1 :: v_dual_mov_b32 v6, v1
	v_dual_mov_b32 v7, v1 :: v_dual_mov_b32 v8, v1
	v_dual_mov_b32 v9, v1 :: v_dual_mov_b32 v10, v1
	v_dual_mov_b32 v11, v1 :: v_dual_mov_b32 v12, v1
	v_dual_mov_b32 v13, v1 :: v_dual_mov_b32 v14, v1
	v_dual_mov_b32 v15, v1 :: v_dual_mov_b32 v16, v1
	v_dual_mov_b32 v17, v1 :: v_dual_mov_b32 v18, v1
	v_dual_mov_b32 v19, v1 :: v_dual_mov_b32 v20, v1
	v_dual_mov_b32 v21, v1 :: v_dual_mov_b32 v22, v1
	v_dual_mov_b32 v23, v1 :: v_dual_mov_b32 v24, v1
	v_dual_mov_b32 v25, v1 :: v_dual_mov_b32 v26, v1
	v_dual_mov_b32 v27, v1 :: v_dual_mov_b32 v28, v1
	v_dual_mov_b32 v29, v1 :: v_dual_mov_b32 v30, v1
	v_dual_mov_b32 v31, v1 :: v_dual_mov_b32 v32, v1
	s_wait_loadcnt 0x1
	v_dual_mov_b32 v33, v1 :: v_dual_lshlrev_b32 v2, 16, v2
	s_wait_loadcnt 0x0
	v_lshlrev_b32_e32 v172, 16, v172
.LBB97_8:                               ;   in Loop: Header=BB97_3 Depth=1
	s_wait_alu 0xfffe
	s_or_b32 exec_lo, exec_lo, s3
	v_add_co_u32 v173, vcc_lo, v36, 1
	s_wait_alu 0xfffd
	v_add_co_ci_u32_e64 v174, null, 0, v37, vcc_lo
	s_delay_alu instid0(VALU_DEP_1) | instskip(SKIP_2) | instid1(SALU_CYCLE_1)
	v_cmp_gt_i64_e32 vcc_lo, s[4:5], v[173:174]
	v_dual_mov_b32 v173, 0 :: v_dual_mov_b32 v174, 0
	s_and_b32 s18, s2, vcc_lo
	s_and_saveexec_b32 s3, s18
	s_cbranch_execz .LBB97_10
; %bb.9:                                ;   in Loop: Header=BB97_3 Depth=1
	v_add_co_u32 v174, vcc_lo, v165, v34
	s_wait_alu 0xfffd
	v_add_co_ci_u32_e64 v175, null, v166, v35, vcc_lo
	v_add_co_u32 v176, vcc_lo, v167, v34
	s_wait_alu 0xfffd
	v_add_co_ci_u32_e64 v177, null, v168, v35, vcc_lo
	global_load_u16 v3, v[174:175], off
	global_load_u16 v174, v[176:177], off
	s_wait_loadcnt 0x1
	v_lshlrev_b32_e32 v3, 16, v3
	s_wait_loadcnt 0x0
	v_lshlrev_b32_e32 v174, 16, v174
.LBB97_10:                              ;   in Loop: Header=BB97_3 Depth=1
	s_wait_alu 0xfffe
	s_or_b32 exec_lo, exec_lo, s3
	v_add_co_u32 v175, vcc_lo, v36, 2
	s_wait_alu 0xfffd
	v_add_co_ci_u32_e64 v176, null, 0, v37, vcc_lo
	s_delay_alu instid0(VALU_DEP_1) | instskip(SKIP_1) | instid1(SALU_CYCLE_1)
	v_cmp_gt_i64_e32 vcc_lo, s[4:5], v[175:176]
	s_and_b32 s18, s2, vcc_lo
	s_and_saveexec_b32 s3, s18
	s_cbranch_execz .LBB97_12
; %bb.11:                               ;   in Loop: Header=BB97_3 Depth=1
	v_add_co_u32 v175, vcc_lo, v161, v34
	s_wait_alu 0xfffd
	v_add_co_ci_u32_e64 v176, null, v162, v35, vcc_lo
	v_add_co_u32 v177, vcc_lo, v163, v34
	s_wait_alu 0xfffd
	v_add_co_ci_u32_e64 v178, null, v164, v35, vcc_lo
	global_load_u16 v4, v[175:176], off
	global_load_u16 v173, v[177:178], off
	s_wait_loadcnt 0x1
	v_lshlrev_b32_e32 v4, 16, v4
	s_wait_loadcnt 0x0
	v_lshlrev_b32_e32 v173, 16, v173
.LBB97_12:                              ;   in Loop: Header=BB97_3 Depth=1
	s_wait_alu 0xfffe
	s_or_b32 exec_lo, exec_lo, s3
	v_add_co_u32 v175, vcc_lo, v36, 3
	s_wait_alu 0xfffd
	v_add_co_ci_u32_e64 v176, null, 0, v37, vcc_lo
	s_delay_alu instid0(VALU_DEP_1) | instskip(SKIP_2) | instid1(SALU_CYCLE_1)
	v_cmp_gt_i64_e32 vcc_lo, s[4:5], v[175:176]
	v_dual_mov_b32 v175, 0 :: v_dual_mov_b32 v176, 0
	s_and_b32 s18, s2, vcc_lo
	s_and_saveexec_b32 s3, s18
	s_cbranch_execz .LBB97_14
; %bb.13:                               ;   in Loop: Header=BB97_3 Depth=1
	v_add_co_u32 v176, vcc_lo, v157, v34
	s_wait_alu 0xfffd
	v_add_co_ci_u32_e64 v177, null, v158, v35, vcc_lo
	v_add_co_u32 v178, vcc_lo, v159, v34
	s_wait_alu 0xfffd
	v_add_co_ci_u32_e64 v179, null, v160, v35, vcc_lo
	global_load_u16 v5, v[176:177], off
	global_load_u16 v176, v[178:179], off
	s_wait_loadcnt 0x1
	v_lshlrev_b32_e32 v5, 16, v5
	s_wait_loadcnt 0x0
	v_lshlrev_b32_e32 v176, 16, v176
.LBB97_14:                              ;   in Loop: Header=BB97_3 Depth=1
	s_wait_alu 0xfffe
	s_or_b32 exec_lo, exec_lo, s3
	v_add_co_u32 v177, vcc_lo, v36, 4
	s_wait_alu 0xfffd
	v_add_co_ci_u32_e64 v178, null, 0, v37, vcc_lo
	s_delay_alu instid0(VALU_DEP_1) | instskip(SKIP_1) | instid1(SALU_CYCLE_1)
	v_cmp_gt_i64_e32 vcc_lo, s[4:5], v[177:178]
	s_and_b32 s18, s2, vcc_lo
	s_and_saveexec_b32 s3, s18
	s_cbranch_execz .LBB97_16
; %bb.15:                               ;   in Loop: Header=BB97_3 Depth=1
	v_add_co_u32 v177, vcc_lo, v153, v34
	s_wait_alu 0xfffd
	v_add_co_ci_u32_e64 v178, null, v154, v35, vcc_lo
	v_add_co_u32 v179, vcc_lo, v155, v34
	s_wait_alu 0xfffd
	v_add_co_ci_u32_e64 v180, null, v156, v35, vcc_lo
	global_load_u16 v6, v[177:178], off
	global_load_u16 v175, v[179:180], off
	s_wait_loadcnt 0x1
	v_lshlrev_b32_e32 v6, 16, v6
	s_wait_loadcnt 0x0
	v_lshlrev_b32_e32 v175, 16, v175
.LBB97_16:                              ;   in Loop: Header=BB97_3 Depth=1
	s_wait_alu 0xfffe
	s_or_b32 exec_lo, exec_lo, s3
	v_add_co_u32 v177, vcc_lo, v36, 5
	s_wait_alu 0xfffd
	v_add_co_ci_u32_e64 v178, null, 0, v37, vcc_lo
	s_delay_alu instid0(VALU_DEP_1) | instskip(SKIP_2) | instid1(SALU_CYCLE_1)
	v_cmp_gt_i64_e32 vcc_lo, s[4:5], v[177:178]
	v_dual_mov_b32 v177, 0 :: v_dual_mov_b32 v178, 0
	s_and_b32 s18, s2, vcc_lo
	s_and_saveexec_b32 s3, s18
	s_cbranch_execz .LBB97_18
; %bb.17:                               ;   in Loop: Header=BB97_3 Depth=1
	v_add_co_u32 v178, vcc_lo, v149, v34
	s_wait_alu 0xfffd
	v_add_co_ci_u32_e64 v179, null, v150, v35, vcc_lo
	v_add_co_u32 v180, vcc_lo, v151, v34
	s_wait_alu 0xfffd
	v_add_co_ci_u32_e64 v181, null, v152, v35, vcc_lo
	global_load_u16 v7, v[178:179], off
	global_load_u16 v178, v[180:181], off
	s_wait_loadcnt 0x1
	v_lshlrev_b32_e32 v7, 16, v7
	s_wait_loadcnt 0x0
	v_lshlrev_b32_e32 v178, 16, v178
.LBB97_18:                              ;   in Loop: Header=BB97_3 Depth=1
	;; [unrolled: 49-line block ×6, first 2 shown]
	s_wait_alu 0xfffe
	s_or_b32 exec_lo, exec_lo, s3
	v_add_co_u32 v187, vcc_lo, v36, 14
	s_wait_alu 0xfffd
	v_add_co_ci_u32_e64 v188, null, 0, v37, vcc_lo
	s_delay_alu instid0(VALU_DEP_1) | instskip(SKIP_1) | instid1(SALU_CYCLE_1)
	v_cmp_gt_i64_e32 vcc_lo, s[4:5], v[187:188]
	s_and_b32 s18, s2, vcc_lo
	s_and_saveexec_b32 s3, s18
	s_cbranch_execz .LBB97_36
; %bb.35:                               ;   in Loop: Header=BB97_3 Depth=1
	v_add_co_u32 v187, vcc_lo, v113, v34
	s_wait_alu 0xfffd
	v_add_co_ci_u32_e64 v188, null, v114, v35, vcc_lo
	v_add_co_u32 v189, vcc_lo, v115, v34
	s_wait_alu 0xfffd
	v_add_co_ci_u32_e64 v190, null, v116, v35, vcc_lo
	global_load_u16 v16, v[187:188], off
	global_load_u16 v185, v[189:190], off
	s_wait_loadcnt 0x1
	v_lshlrev_b32_e32 v16, 16, v16
	s_wait_loadcnt 0x0
	v_lshlrev_b32_e32 v185, 16, v185
.LBB97_36:                              ;   in Loop: Header=BB97_3 Depth=1
	s_wait_alu 0xfffe
	s_or_b32 exec_lo, exec_lo, s3
	v_add_co_u32 v187, vcc_lo, v36, 15
	s_wait_alu 0xfffd
	v_add_co_ci_u32_e64 v188, null, 0, v37, vcc_lo
	v_mov_b32_e32 v189, 0
	s_delay_alu instid0(VALU_DEP_2) | instskip(SKIP_2) | instid1(SALU_CYCLE_1)
	v_cmp_gt_i64_e32 vcc_lo, s[4:5], v[187:188]
	v_mov_b32_e32 v187, 0
	s_and_b32 s18, s2, vcc_lo
	s_and_saveexec_b32 s3, s18
	s_cbranch_execz .LBB97_38
; %bb.37:                               ;   in Loop: Header=BB97_3 Depth=1
	v_add_co_u32 v188, vcc_lo, v109, v34
	s_wait_alu 0xfffd
	v_add_co_ci_u32_e64 v189, null, v110, v35, vcc_lo
	v_add_co_u32 v190, vcc_lo, v111, v34
	s_wait_alu 0xfffd
	v_add_co_ci_u32_e64 v191, null, v112, v35, vcc_lo
	global_load_u16 v17, v[188:189], off
	global_load_u16 v188, v[190:191], off
	s_wait_loadcnt 0x1
	v_lshlrev_b32_e32 v17, 16, v17
	s_wait_loadcnt 0x0
	v_lshlrev_b32_e32 v189, 16, v188
.LBB97_38:                              ;   in Loop: Header=BB97_3 Depth=1
	s_wait_alu 0xfffe
	s_or_b32 exec_lo, exec_lo, s3
	v_add_co_u32 v190, vcc_lo, v36, 16
	s_wait_alu 0xfffd
	v_add_co_ci_u32_e64 v191, null, 0, v37, vcc_lo
	s_delay_alu instid0(VALU_DEP_1) | instskip(SKIP_1) | instid1(SALU_CYCLE_1)
	v_cmp_gt_i64_e32 vcc_lo, s[4:5], v[190:191]
	s_and_b32 s18, s2, vcc_lo
	s_and_saveexec_b32 s3, s18
	s_cbranch_execz .LBB97_40
; %bb.39:                               ;   in Loop: Header=BB97_3 Depth=1
	v_add_co_u32 v187, vcc_lo, v105, v34
	s_wait_alu 0xfffd
	v_add_co_ci_u32_e64 v188, null, v106, v35, vcc_lo
	v_add_co_u32 v190, vcc_lo, v107, v34
	s_wait_alu 0xfffd
	v_add_co_ci_u32_e64 v191, null, v108, v35, vcc_lo
	global_load_u16 v18, v[187:188], off
	global_load_u16 v187, v[190:191], off
	s_wait_loadcnt 0x1
	v_lshlrev_b32_e32 v18, 16, v18
	s_wait_loadcnt 0x0
	v_lshlrev_b32_e32 v187, 16, v187
.LBB97_40:                              ;   in Loop: Header=BB97_3 Depth=1
	s_wait_alu 0xfffe
	s_or_b32 exec_lo, exec_lo, s3
	v_add_co_u32 v190, vcc_lo, v36, 17
	s_wait_alu 0xfffd
	v_add_co_ci_u32_e64 v191, null, 0, v37, vcc_lo
	s_delay_alu instid0(VALU_DEP_1) | instskip(SKIP_2) | instid1(SALU_CYCLE_1)
	v_cmp_gt_i64_e32 vcc_lo, s[4:5], v[190:191]
	v_dual_mov_b32 v190, 0 :: v_dual_mov_b32 v191, 0
	s_and_b32 s18, s2, vcc_lo
	s_and_saveexec_b32 s3, s18
	s_cbranch_execz .LBB97_42
; %bb.41:                               ;   in Loop: Header=BB97_3 Depth=1
	v_add_co_u32 v191, vcc_lo, v101, v34
	s_wait_alu 0xfffd
	v_add_co_ci_u32_e64 v192, null, v102, v35, vcc_lo
	v_add_co_u32 v193, vcc_lo, v103, v34
	s_wait_alu 0xfffd
	v_add_co_ci_u32_e64 v194, null, v104, v35, vcc_lo
	global_load_u16 v19, v[191:192], off
	global_load_u16 v188, v[193:194], off
	s_wait_loadcnt 0x1
	v_lshlrev_b32_e32 v19, 16, v19
	s_wait_loadcnt 0x0
	v_lshlrev_b32_e32 v191, 16, v188
.LBB97_42:                              ;   in Loop: Header=BB97_3 Depth=1
	s_wait_alu 0xfffe
	s_or_b32 exec_lo, exec_lo, s3
	v_add_co_u32 v192, vcc_lo, v36, 18
	s_wait_alu 0xfffd
	v_add_co_ci_u32_e64 v193, null, 0, v37, vcc_lo
	s_delay_alu instid0(VALU_DEP_1) | instskip(SKIP_1) | instid1(SALU_CYCLE_1)
	v_cmp_gt_i64_e32 vcc_lo, s[4:5], v[192:193]
	s_and_b32 s18, s2, vcc_lo
	s_and_saveexec_b32 s3, s18
	s_cbranch_execz .LBB97_44
; %bb.43:                               ;   in Loop: Header=BB97_3 Depth=1
	v_add_co_u32 v192, vcc_lo, v97, v34
	s_wait_alu 0xfffd
	v_add_co_ci_u32_e64 v193, null, v98, v35, vcc_lo
	v_add_co_u32 v194, vcc_lo, v99, v34
	s_wait_alu 0xfffd
	v_add_co_ci_u32_e64 v195, null, v100, v35, vcc_lo
	global_load_u16 v20, v[192:193], off
	global_load_u16 v188, v[194:195], off
	s_wait_loadcnt 0x1
	v_lshlrev_b32_e32 v20, 16, v20
	s_wait_loadcnt 0x0
	v_lshlrev_b32_e32 v190, 16, v188
.LBB97_44:                              ;   in Loop: Header=BB97_3 Depth=1
	s_wait_alu 0xfffe
	s_or_b32 exec_lo, exec_lo, s3
	v_add_co_u32 v192, vcc_lo, v36, 19
	s_wait_alu 0xfffd
	v_add_co_ci_u32_e64 v193, null, 0, v37, vcc_lo
	s_delay_alu instid0(VALU_DEP_1) | instskip(SKIP_2) | instid1(SALU_CYCLE_1)
	v_cmp_gt_i64_e32 vcc_lo, s[4:5], v[192:193]
	v_dual_mov_b32 v192, 0 :: v_dual_mov_b32 v193, 0
	;; [unrolled: 49-line block ×5, first 2 shown]
	s_and_b32 s18, s2, vcc_lo
	s_and_saveexec_b32 s3, s18
	s_cbranch_execz .LBB97_58
; %bb.57:                               ;   in Loop: Header=BB97_3 Depth=1
	v_add_co_u32 v199, vcc_lo, v69, v34
	s_wait_alu 0xfffd
	v_add_co_ci_u32_e64 v200, null, v70, v35, vcc_lo
	v_add_co_u32 v202, vcc_lo, v71, v34
	s_wait_alu 0xfffd
	v_add_co_ci_u32_e64 v203, null, v72, v35, vcc_lo
	global_load_u16 v27, v[199:200], off
	global_load_u16 v188, v[202:203], off
	s_wait_loadcnt 0x1
	v_lshlrev_b32_e32 v27, 16, v27
	s_wait_loadcnt 0x0
	v_lshlrev_b32_e32 v199, 16, v188
.LBB97_58:                              ;   in Loop: Header=BB97_3 Depth=1
	s_wait_alu 0xfffe
	s_or_b32 exec_lo, exec_lo, s3
	v_add_co_u32 v202, vcc_lo, v36, 26
	s_wait_alu 0xfffd
	v_add_co_ci_u32_e64 v203, null, 0, v37, vcc_lo
	s_delay_alu instid0(VALU_DEP_1) | instskip(SKIP_1) | instid1(SALU_CYCLE_1)
	v_cmp_gt_i64_e32 vcc_lo, s[4:5], v[202:203]
	s_and_b32 s18, s2, vcc_lo
	s_and_saveexec_b32 s3, s18
	s_cbranch_execz .LBB97_60
; %bb.59:                               ;   in Loop: Header=BB97_3 Depth=1
	v_add_co_u32 v202, vcc_lo, v0, v34
	s_wait_alu 0xfffd
	v_add_co_ci_u32_e64 v203, null, v66, v35, vcc_lo
	v_add_co_u32 v204, vcc_lo, v67, v34
	s_wait_alu 0xfffd
	v_add_co_ci_u32_e64 v205, null, v68, v35, vcc_lo
	global_load_u16 v28, v[202:203], off
	global_load_u16 v188, v[204:205], off
	s_wait_loadcnt 0x1
	v_lshlrev_b32_e32 v28, 16, v28
	s_wait_loadcnt 0x0
	v_lshlrev_b32_e32 v198, 16, v188
.LBB97_60:                              ;   in Loop: Header=BB97_3 Depth=1
	s_wait_alu 0xfffe
	s_or_b32 exec_lo, exec_lo, s3
	v_add_co_u32 v202, vcc_lo, v36, 27
	s_wait_alu 0xfffd
	v_add_co_ci_u32_e64 v203, null, 0, v37, vcc_lo
	v_mov_b32_e32 v200, 0
	s_delay_alu instid0(VALU_DEP_2) | instskip(SKIP_2) | instid1(SALU_CYCLE_1)
	v_cmp_gt_i64_e32 vcc_lo, s[4:5], v[202:203]
	v_mov_b32_e32 v202, 0
	s_and_b32 s18, s2, vcc_lo
	s_and_saveexec_b32 s3, s18
	s_cbranch_execz .LBB97_62
; %bb.61:                               ;   in Loop: Header=BB97_3 Depth=1
	v_add_co_u32 v202, vcc_lo, v62, v34
	s_wait_alu 0xfffd
	v_add_co_ci_u32_e64 v203, null, v63, v35, vcc_lo
	v_add_co_u32 v204, vcc_lo, v64, v34
	s_wait_alu 0xfffd
	v_add_co_ci_u32_e64 v205, null, v65, v35, vcc_lo
	global_load_u16 v29, v[202:203], off
	global_load_u16 v188, v[204:205], off
	s_wait_loadcnt 0x1
	v_lshlrev_b32_e32 v29, 16, v29
	s_wait_loadcnt 0x0
	v_lshlrev_b32_e32 v202, 16, v188
.LBB97_62:                              ;   in Loop: Header=BB97_3 Depth=1
	s_wait_alu 0xfffe
	s_or_b32 exec_lo, exec_lo, s3
	v_add_co_u32 v203, vcc_lo, v36, 28
	s_wait_alu 0xfffd
	v_add_co_ci_u32_e64 v204, null, 0, v37, vcc_lo
	s_delay_alu instid0(VALU_DEP_1) | instskip(SKIP_1) | instid1(SALU_CYCLE_1)
	v_cmp_gt_i64_e32 vcc_lo, s[4:5], v[203:204]
	s_and_b32 s18, s2, vcc_lo
	s_and_saveexec_b32 s3, s18
	s_cbranch_execz .LBB97_64
; %bb.63:                               ;   in Loop: Header=BB97_3 Depth=1
	v_add_co_u32 v203, vcc_lo, v58, v34
	s_wait_alu 0xfffd
	v_add_co_ci_u32_e64 v204, null, v59, v35, vcc_lo
	v_add_co_u32 v205, vcc_lo, v60, v34
	s_wait_alu 0xfffd
	v_add_co_ci_u32_e64 v206, null, v61, v35, vcc_lo
	global_load_u16 v30, v[203:204], off
	global_load_u16 v188, v[205:206], off
	s_wait_loadcnt 0x1
	v_lshlrev_b32_e32 v30, 16, v30
	s_wait_loadcnt 0x0
	v_lshlrev_b32_e32 v200, 16, v188
.LBB97_64:                              ;   in Loop: Header=BB97_3 Depth=1
	s_wait_alu 0xfffe
	s_or_b32 exec_lo, exec_lo, s3
	v_add_co_u32 v203, vcc_lo, v36, 29
	s_wait_alu 0xfffd
	v_add_co_ci_u32_e64 v204, null, 0, v37, vcc_lo
	v_mov_b32_e32 v205, 0
	s_delay_alu instid0(VALU_DEP_2) | instskip(SKIP_2) | instid1(SALU_CYCLE_1)
	v_cmp_gt_i64_e32 vcc_lo, s[4:5], v[203:204]
	v_mov_b32_e32 v204, 0
	s_and_b32 s18, s2, vcc_lo
	s_and_saveexec_b32 s3, s18
	s_cbranch_execz .LBB97_66
; %bb.65:                               ;   in Loop: Header=BB97_3 Depth=1
	v_add_co_u32 v205, vcc_lo, v54, v34
	s_wait_alu 0xfffd
	v_add_co_ci_u32_e64 v206, null, v55, v35, vcc_lo
	v_add_co_u32 v207, vcc_lo, v56, v34
	s_wait_alu 0xfffd
	v_add_co_ci_u32_e64 v208, null, v57, v35, vcc_lo
	global_load_u16 v31, v[205:206], off
	global_load_u16 v188, v[207:208], off
	s_wait_loadcnt 0x1
	v_lshlrev_b32_e32 v31, 16, v31
	s_wait_loadcnt 0x0
	v_lshlrev_b32_e32 v205, 16, v188
.LBB97_66:                              ;   in Loop: Header=BB97_3 Depth=1
	s_wait_alu 0xfffe
	s_or_b32 exec_lo, exec_lo, s3
	v_add_co_u32 v206, vcc_lo, v36, 30
	s_wait_alu 0xfffd
	v_add_co_ci_u32_e64 v207, null, 0, v37, vcc_lo
	s_delay_alu instid0(VALU_DEP_1) | instskip(SKIP_1) | instid1(SALU_CYCLE_1)
	v_cmp_gt_i64_e32 vcc_lo, s[4:5], v[206:207]
	s_and_b32 s18, s2, vcc_lo
	s_and_saveexec_b32 s3, s18
	s_cbranch_execz .LBB97_68
; %bb.67:                               ;   in Loop: Header=BB97_3 Depth=1
	v_add_co_u32 v203, vcc_lo, v50, v34
	s_wait_alu 0xfffd
	v_add_co_ci_u32_e64 v204, null, v51, v35, vcc_lo
	v_add_co_u32 v206, vcc_lo, v52, v34
	s_wait_alu 0xfffd
	v_add_co_ci_u32_e64 v207, null, v53, v35, vcc_lo
	global_load_u16 v32, v[203:204], off
	global_load_u16 v188, v[206:207], off
	s_wait_loadcnt 0x1
	v_lshlrev_b32_e32 v32, 16, v32
	s_wait_loadcnt 0x0
	v_lshlrev_b32_e32 v204, 16, v188
.LBB97_68:                              ;   in Loop: Header=BB97_3 Depth=1
	s_wait_alu 0xfffe
	s_or_b32 exec_lo, exec_lo, s3
	v_add_co_u32 v206, vcc_lo, v36, 31
	s_wait_alu 0xfffd
	v_add_co_ci_u32_e64 v207, null, 0, v37, vcc_lo
	v_mov_b32_e32 v188, 0
	s_delay_alu instid0(VALU_DEP_2) | instskip(SKIP_1) | instid1(SALU_CYCLE_1)
	v_cmp_gt_i64_e32 vcc_lo, s[4:5], v[206:207]
	s_and_b32 s18, s2, vcc_lo
	s_and_saveexec_b32 s3, s18
	s_cbranch_execz .LBB97_70
; %bb.69:                               ;   in Loop: Header=BB97_3 Depth=1
	v_add_co_u32 v206, vcc_lo, v46, v34
	s_wait_alu 0xfffd
	v_add_co_ci_u32_e64 v207, null, v47, v35, vcc_lo
	v_add_co_u32 v208, vcc_lo, v48, v34
	s_wait_alu 0xfffd
	v_add_co_ci_u32_e64 v209, null, v49, v35, vcc_lo
	global_load_u16 v33, v[206:207], off
	global_load_u16 v188, v[208:209], off
	s_wait_loadcnt 0x1
	v_lshlrev_b32_e32 v33, 16, v33
	s_wait_loadcnt 0x0
	v_lshlrev_b32_e32 v188, 16, v188
.LBB97_70:                              ;   in Loop: Header=BB97_3 Depth=1
	s_wait_alu 0xfffe
	s_or_b32 exec_lo, exec_lo, s3
	s_wait_loadcnt 0x1
	ds_bpermute_b32 v203, v1, v170
	ds_bpermute_b32 v209, v1, v170 offset:4
	s_wait_loadcnt 0x0
	ds_bpermute_b32 v206, v1, v171
	ds_bpermute_b32 v211, v1, v170 offset:8
	ds_bpermute_b32 v208, v1, v171 offset:4
	;; [unrolled: 1-line block ×4, first 2 shown]
	v_add_f32_e32 v207, v201, v2
	ds_bpermute_b32 v210, v1, v171 offset:8
	ds_bpermute_b32 v221, v1, v170 offset:28
	;; [unrolled: 1-line block ×12, first 2 shown]
	s_wait_dscnt 0x12
	v_sub_f32_e32 v172, v172, v203
	s_wait_dscnt 0x11
	v_sub_f32_e32 v174, v174, v209
	ds_bpermute_b32 v209, v1, v170 offset:44
	s_wait_dscnt 0x10
	v_sub_f32_e32 v173, v173, v211
	ds_bpermute_b32 v222, v1, v171 offset:32
	v_mul_f32_e32 v2, v2, v172
	v_mul_f32_e32 v174, v3, v174
	v_add_f32_e32 v3, v3, v207
	v_mul_f32_e32 v173, v4, v173
	ds_bpermute_b32 v224, v1, v171 offset:36
	v_fma_f32 v203, v2, v206, v169
	s_wait_dscnt 0x10
	v_sub_f32_e32 v176, v176, v213
	v_add_f32_e32 v3, v4, v3
	ds_bpermute_b32 v226, v1, v171 offset:40
	ds_bpermute_b32 v172, v1, v171 offset:44
	s_wait_dscnt 0x11
	v_dual_fmac_f32 v203, v174, v208 :: v_dual_sub_f32 v4, v175, v215
	v_mul_f32_e32 v175, v5, v176
	ds_bpermute_b32 v174, v1, v170 offset:48
	ds_bpermute_b32 v2, v1, v171 offset:48
	s_wait_dscnt 0x11
	v_dual_fmac_f32 v203, v173, v210 :: v_dual_sub_f32 v176, v180, v221
	v_dual_mul_f32 v4, v6, v4 :: v_dual_add_f32 v3, v5, v3
	s_wait_dscnt 0xf
	v_sub_f32_e32 v5, v178, v217
	s_delay_alu instid0(VALU_DEP_3)
	v_fmac_f32_e32 v203, v175, v212
	ds_bpermute_b32 v175, v1, v170 offset:52
	v_dual_mul_f32 v176, v9, v176 :: v_dual_add_f32 v3, v6, v3
	s_wait_dscnt 0xf
	v_dual_sub_f32 v6, v177, v219 :: v_dual_mul_f32 v5, v7, v5
	ds_bpermute_b32 v173, v1, v171 offset:52
	s_mov_b32 s3, 0
	v_dual_add_f32 v3, v7, v3 :: v_dual_mul_f32 v6, v8, v6
	s_wait_dscnt 0xe
	s_delay_alu instid0(VALU_DEP_1)
	v_dual_add_f32 v3, v8, v3 :: v_dual_sub_f32 v8, v182, v225
	v_fmac_f32_e32 v203, v4, v214
	ds_bpermute_b32 v4, v1, v171 offset:56
	v_dual_add_f32 v3, v9, v3 :: v_dual_mul_f32 v8, v11, v8
	s_wait_dscnt 0xe
	v_fmac_f32_e32 v203, v5, v216
	ds_bpermute_b32 v5, v1, v170 offset:56
	ds_bpermute_b32 v9, v1, v170 offset:60
	v_add_f32_e32 v3, v10, v3
	s_delay_alu instid0(VALU_DEP_1)
	v_add_f32_e32 v3, v11, v3
	s_wait_dscnt 0x4
	v_dual_sub_f32 v11, v183, v174 :: v_dual_sub_f32 v174, v186, v175
	v_fmac_f32_e32 v203, v6, v218
	ds_bpermute_b32 v6, v1, v171 offset:60
	v_add_f32_e32 v3, v12, v3
	v_mul_f32_e32 v11, v14, v11
	v_dual_fmac_f32 v203, v176, v220 :: v_dual_sub_f32 v176, v181, v227
	v_sub_f32_e32 v7, v179, v223
	s_delay_alu instid0(VALU_DEP_4) | instskip(SKIP_1) | instid1(VALU_DEP_3)
	v_add_f32_e32 v3, v13, v3
	s_wait_dscnt 0x2
	v_dual_sub_f32 v5, v185, v5 :: v_dual_mul_f32 v176, v12, v176
	ds_bpermute_b32 v12, v1, v170 offset:68
	v_dual_mul_f32 v7, v10, v7 :: v_dual_sub_f32 v10, v184, v209
	s_wait_dscnt 0x2
	v_sub_f32_e32 v9, v189, v9
	v_mul_f32_e32 v5, v16, v5
	s_delay_alu instid0(VALU_DEP_3)
	v_fmac_f32_e32 v203, v7, v222
	v_mul_f32_e32 v10, v13, v10
	ds_bpermute_b32 v7, v1, v171 offset:64
	v_mul_f32_e32 v13, v15, v174
	v_mul_f32_e32 v9, v17, v9
	v_fmac_f32_e32 v203, v8, v224
	ds_bpermute_b32 v8, v1, v170 offset:64
	v_fmac_f32_e32 v203, v176, v226
	s_delay_alu instid0(VALU_DEP_1)
	v_fmac_f32_e32 v203, v10, v172
	ds_bpermute_b32 v10, v1, v170 offset:72
	v_fmac_f32_e32 v203, v11, v2
	ds_bpermute_b32 v2, v1, v171 offset:68
	ds_bpermute_b32 v11, v1, v171 offset:72
	v_fmac_f32_e32 v203, v13, v173
	ds_bpermute_b32 v13, v1, v170 offset:76
	v_fmac_f32_e32 v203, v5, v4
	s_wait_dscnt 0x4
	v_sub_f32_e32 v4, v187, v8
	ds_bpermute_b32 v5, v1, v170 offset:80
	v_dual_sub_f32 v8, v191, v12 :: v_dual_fmac_f32 v203, v9, v6
	v_mul_f32_e32 v4, v18, v4
	ds_bpermute_b32 v6, v1, v171 offset:76
	s_wait_dscnt 0x5
	v_dual_mul_f32 v8, v19, v8 :: v_dual_sub_f32 v9, v190, v10
	ds_bpermute_b32 v10, v1, v170 offset:84
	v_fmac_f32_e32 v203, v4, v7
	ds_bpermute_b32 v4, v1, v171 offset:80
	v_mul_f32_e32 v7, v20, v9
	ds_bpermute_b32 v9, v1, v171 offset:84
	s_wait_dscnt 0x7
	v_fmac_f32_e32 v203, v8, v2
	ds_bpermute_b32 v8, v1, v170 offset:88
	s_wait_dscnt 0x6
	v_dual_sub_f32 v2, v193, v13 :: v_dual_fmac_f32 v203, v7, v11
	ds_bpermute_b32 v7, v1, v170 offset:92
	s_wait_dscnt 0x6
	v_dual_mul_f32 v2, v21, v2 :: v_dual_sub_f32 v5, v192, v5
	ds_bpermute_b32 v11, v1, v171 offset:116
	s_wait_dscnt 0x6
	v_fmac_f32_e32 v203, v2, v6
	ds_bpermute_b32 v2, v1, v171 offset:88
	s_wait_dscnt 0x6
	v_dual_mul_f32 v5, v22, v5 :: v_dual_sub_f32 v6, v195, v10
	ds_bpermute_b32 v10, v1, v170 offset:96
	s_wait_dscnt 0x6
	v_fmac_f32_e32 v203, v5, v4
	ds_bpermute_b32 v4, v1, v171 offset:92
	s_wait_dscnt 0x5
	v_dual_mul_f32 v5, v23, v6 :: v_dual_sub_f32 v6, v194, v8
	ds_bpermute_b32 v8, v1, v170 offset:100
	v_fmac_f32_e32 v203, v5, v9
	ds_bpermute_b32 v5, v1, v171 offset:96
	s_wait_dscnt 0x6
	v_dual_mul_f32 v6, v24, v6 :: v_dual_sub_f32 v7, v197, v7
	ds_bpermute_b32 v9, v1, v170 offset:104
	s_wait_dscnt 0x5
	v_fmac_f32_e32 v203, v6, v2
	ds_bpermute_b32 v2, v1, v171 offset:100
	s_wait_dscnt 0x5
	v_dual_mul_f32 v6, v25, v7 :: v_dual_sub_f32 v7, v196, v10
	ds_bpermute_b32 v10, v1, v170 offset:108
	s_wait_dscnt 0x5
	v_fmac_f32_e32 v203, v6, v4
	v_mul_f32_e32 v4, v26, v7
	ds_bpermute_b32 v6, v1, v171 offset:104
	s_wait_dscnt 0x5
	v_sub_f32_e32 v7, v199, v8
	ds_bpermute_b32 v8, v1, v170 offset:112
	s_wait_dscnt 0x5
	v_fmac_f32_e32 v203, v4, v5
	v_mul_f32_e32 v5, v27, v7
	ds_bpermute_b32 v4, v1, v171 offset:108
	s_wait_dscnt 0x5
	v_sub_f32_e32 v7, v198, v9
	ds_bpermute_b32 v9, v1, v170 offset:116
	s_wait_dscnt 0x5
	v_dual_fmac_f32 v203, v5, v2 :: v_dual_mul_f32 v2, v28, v7
	ds_bpermute_b32 v5, v1, v171 offset:112
	s_wait_dscnt 0x5
	v_sub_f32_e32 v10, v202, v10
	ds_bpermute_b32 v7, v1, v170 offset:120
	s_wait_dscnt 0x5
	v_fmac_f32_e32 v203, v2, v6
	v_mul_f32_e32 v2, v29, v10
	s_wait_dscnt 0x4
	v_dual_sub_f32 v6, v200, v8 :: v_dual_add_f32 v3, v14, v3
	ds_bpermute_b32 v8, v1, v171 offset:120
	ds_bpermute_b32 v171, v1, v171 offset:124
	s_wait_dscnt 0x5
	v_fmac_f32_e32 v203, v2, v4
	v_dual_add_f32 v3, v15, v3 :: v_dual_mul_f32 v4, v30, v6
	s_wait_dscnt 0x4
	v_sub_f32_e32 v6, v205, v9
	ds_bpermute_b32 v2, v1, v170 offset:124
	v_add_f32_e32 v3, v16, v3
	s_wait_dscnt 0x4
	v_dual_fmac_f32 v203, v4, v5 :: v_dual_mul_f32 v4, v31, v6
	s_wait_dscnt 0x3
	v_sub_f32_e32 v5, v204, v7
	v_add_f32_e32 v3, v17, v3
	s_delay_alu instid0(VALU_DEP_3) | instskip(NEXT) | instid1(VALU_DEP_2)
	v_fmac_f32_e32 v203, v4, v11
	v_dual_mul_f32 v4, v32, v5 :: v_dual_add_f32 v3, v18, v3
	s_wait_dscnt 0x2
	s_delay_alu instid0(VALU_DEP_1) | instskip(NEXT) | instid1(VALU_DEP_2)
	v_fmac_f32_e32 v203, v4, v8
	v_add_f32_e32 v3, v19, v3
	s_delay_alu instid0(VALU_DEP_1) | instskip(NEXT) | instid1(VALU_DEP_1)
	v_add_f32_e32 v3, v20, v3
	v_add_f32_e32 v3, v21, v3
	s_delay_alu instid0(VALU_DEP_1) | instskip(NEXT) | instid1(VALU_DEP_1)
	v_add_f32_e32 v3, v22, v3
	v_add_f32_e32 v3, v23, v3
	s_delay_alu instid0(VALU_DEP_1) | instskip(NEXT) | instid1(VALU_DEP_1)
	v_add_f32_e32 v3, v24, v3
	v_add_f32_e32 v3, v25, v3
	s_delay_alu instid0(VALU_DEP_1) | instskip(NEXT) | instid1(VALU_DEP_1)
	v_add_f32_e32 v3, v26, v3
	v_add_f32_e32 v3, v27, v3
	s_delay_alu instid0(VALU_DEP_1) | instskip(NEXT) | instid1(VALU_DEP_1)
	v_add_f32_e32 v3, v28, v3
	v_add_f32_e32 v3, v29, v3
	s_delay_alu instid0(VALU_DEP_1) | instskip(NEXT) | instid1(VALU_DEP_1)
	v_add_f32_e32 v3, v30, v3
	v_add_f32_e32 v3, v31, v3
	s_delay_alu instid0(VALU_DEP_1)
	v_add_f32_e32 v3, v32, v3
.LBB97_71:                              ;   in Loop: Header=BB97_3 Depth=1
	s_wait_alu 0xfffe
	s_and_b32 vcc_lo, exec_lo, s3
	s_wait_alu 0xfffe
	s_cbranch_vccz .LBB97_137
; %bb.72:                               ;   in Loop: Header=BB97_3 Depth=1
	s_load_b32 s3, s[20:21], 0x0
	v_mov_b32_e32 v170, 0
	s_wait_kmcnt 0x0
	s_cmp_lt_u32 ttmp9, s3
	s_cselect_b32 s18, 12, 18
	s_delay_alu instid0(SALU_CYCLE_1)
	s_add_nc_u64 s[34:35], s[20:21], s[18:19]
	s_load_u16 s3, s[34:35], 0x0
	s_wait_dscnt 0x0
	s_wait_kmcnt 0x0
	v_mad_u32_u24 v2, v38, s3, v40
	s_mov_b32 s3, exec_lo
	s_delay_alu instid0(VALU_DEP_1) | instskip(NEXT) | instid1(VALU_DEP_1)
	v_and_b32_e32 v2, 31, v2
	v_add_co_u32 v2, vcc_lo, v36, v2
	s_wait_alu 0xfffd
	v_add_co_ci_u32_e64 v3, null, 0, v37, vcc_lo
	v_dual_mov_b32 v37, 0 :: v_dual_mov_b32 v36, 0
	s_delay_alu instid0(VALU_DEP_2)
	v_cmpx_gt_i64_e64 s[4:5], v[2:3]
	s_cbranch_execz .LBB97_74
; %bb.73:                               ;   in Loop: Header=BB97_3 Depth=1
	v_lshlrev_b64_e32 v[2:3], 2, v[2:3]
	s_delay_alu instid0(VALU_DEP_1) | instskip(SKIP_1) | instid1(VALU_DEP_2)
	v_add_co_u32 v4, vcc_lo, s12, v2
	s_wait_alu 0xfffd
	v_add_co_ci_u32_e64 v5, null, s13, v3, vcc_lo
	v_add_co_u32 v2, vcc_lo, s14, v2
	s_wait_alu 0xfffd
	v_add_co_ci_u32_e64 v3, null, s15, v3, vcc_lo
	global_load_b32 v36, v[4:5], off
	global_load_b32 v37, v[2:3], off
.LBB97_74:                              ;   in Loop: Header=BB97_3 Depth=1
	s_wait_alu 0xfffe
	s_or_b32 exec_lo, exec_lo, s3
	v_mov_b32_e32 v32, v1
	v_dual_mov_b32 v2, v1 :: v_dual_mov_b32 v3, v1
	v_dual_mov_b32 v4, v1 :: v_dual_mov_b32 v5, v1
	v_dual_mov_b32 v6, v1 :: v_dual_mov_b32 v7, v1
	v_dual_mov_b32 v8, v1 :: v_dual_mov_b32 v9, v1
	v_dual_mov_b32 v10, v1 :: v_dual_mov_b32 v11, v1
	v_dual_mov_b32 v12, v1 :: v_dual_mov_b32 v13, v1
	v_dual_mov_b32 v14, v1 :: v_dual_mov_b32 v15, v1
	v_dual_mov_b32 v16, v1 :: v_dual_mov_b32 v17, v1
	v_dual_mov_b32 v18, v1 :: v_dual_mov_b32 v19, v1
	v_dual_mov_b32 v20, v1 :: v_dual_mov_b32 v21, v1
	v_dual_mov_b32 v22, v1 :: v_dual_mov_b32 v23, v1
	v_dual_mov_b32 v24, v1 :: v_dual_mov_b32 v25, v1
	v_dual_mov_b32 v26, v1 :: v_dual_mov_b32 v27, v1
	v_dual_mov_b32 v28, v1 :: v_dual_mov_b32 v29, v1
	v_dual_mov_b32 v30, v1 :: v_dual_mov_b32 v31, v1
	v_mov_b32_e32 v33, v32
	s_delay_alu instid0(VALU_DEP_2) | instskip(NEXT) | instid1(VALU_DEP_3)
	v_mov_b32_e32 v32, v31
	v_mov_b32_e32 v31, v30
	v_mov_b32_e32 v30, v29
	v_mov_b32_e32 v29, v28
	v_mov_b32_e32 v28, v27
	v_mov_b32_e32 v27, v26
	v_mov_b32_e32 v26, v25
	v_mov_b32_e32 v25, v24
	v_mov_b32_e32 v24, v23
	v_mov_b32_e32 v23, v22
	v_mov_b32_e32 v22, v21
	v_mov_b32_e32 v21, v20
	v_mov_b32_e32 v20, v19
	v_mov_b32_e32 v19, v18
	v_mov_b32_e32 v18, v17
	v_mov_b32_e32 v17, v16
	v_mov_b32_e32 v16, v15
	v_mov_b32_e32 v15, v14
	v_mov_b32_e32 v14, v13
	v_mov_b32_e32 v13, v12
	v_mov_b32_e32 v12, v11
	v_mov_b32_e32 v11, v10
	v_mov_b32_e32 v10, v9
	v_mov_b32_e32 v9, v8
	v_mov_b32_e32 v8, v7
	v_mov_b32_e32 v7, v6
	v_mov_b32_e32 v6, v5
	v_mov_b32_e32 v5, v4
	v_mov_b32_e32 v4, v3
	v_mov_b32_e32 v3, v2
	v_mov_b32_e32 v2, v1
	s_and_saveexec_b32 s3, s2
	s_cbranch_execz .LBB97_76
; %bb.75:                               ;   in Loop: Header=BB97_3 Depth=1
	v_add_co_u32 v2, vcc_lo, v42, v34
	s_wait_alu 0xfffd
	v_add_co_ci_u32_e64 v3, null, v43, v35, vcc_lo
	v_add_co_u32 v4, vcc_lo, v44, v34
	s_wait_alu 0xfffd
	v_add_co_ci_u32_e64 v5, null, v45, v35, vcc_lo
	global_load_u16 v2, v[2:3], off
	global_load_u16 v170, v[4:5], off
	v_dual_mov_b32 v3, v1 :: v_dual_mov_b32 v4, v1
	v_dual_mov_b32 v5, v1 :: v_dual_mov_b32 v6, v1
	v_dual_mov_b32 v7, v1 :: v_dual_mov_b32 v8, v1
	v_dual_mov_b32 v9, v1 :: v_dual_mov_b32 v10, v1
	v_dual_mov_b32 v11, v1 :: v_dual_mov_b32 v12, v1
	v_dual_mov_b32 v13, v1 :: v_dual_mov_b32 v14, v1
	v_dual_mov_b32 v15, v1 :: v_dual_mov_b32 v16, v1
	v_dual_mov_b32 v17, v1 :: v_dual_mov_b32 v18, v1
	v_dual_mov_b32 v19, v1 :: v_dual_mov_b32 v20, v1
	v_dual_mov_b32 v21, v1 :: v_dual_mov_b32 v22, v1
	v_dual_mov_b32 v23, v1 :: v_dual_mov_b32 v24, v1
	v_dual_mov_b32 v25, v1 :: v_dual_mov_b32 v26, v1
	v_dual_mov_b32 v27, v1 :: v_dual_mov_b32 v28, v1
	v_dual_mov_b32 v29, v1 :: v_dual_mov_b32 v30, v1
	v_dual_mov_b32 v31, v1 :: v_dual_mov_b32 v32, v1
	s_wait_loadcnt 0x1
	v_dual_mov_b32 v33, v1 :: v_dual_lshlrev_b32 v2, 16, v2
	s_wait_loadcnt 0x0
	v_lshlrev_b32_e32 v170, 16, v170
.LBB97_76:                              ;   in Loop: Header=BB97_3 Depth=1
	s_wait_alu 0xfffe
	s_or_b32 exec_lo, exec_lo, s3
	v_dual_mov_b32 v171, 0 :: v_dual_mov_b32 v172, 0
	s_and_saveexec_b32 s3, s2
	s_cbranch_execz .LBB97_78
; %bb.77:                               ;   in Loop: Header=BB97_3 Depth=1
	v_add_co_u32 v172, vcc_lo, v165, v34
	s_wait_alu 0xfffd
	v_add_co_ci_u32_e64 v173, null, v166, v35, vcc_lo
	v_add_co_u32 v174, vcc_lo, v167, v34
	s_wait_alu 0xfffd
	v_add_co_ci_u32_e64 v175, null, v168, v35, vcc_lo
	global_load_u16 v3, v[172:173], off
	global_load_u16 v172, v[174:175], off
	s_wait_loadcnt 0x1
	v_lshlrev_b32_e32 v3, 16, v3
	s_wait_loadcnt 0x0
	v_lshlrev_b32_e32 v172, 16, v172
.LBB97_78:                              ;   in Loop: Header=BB97_3 Depth=1
	s_wait_alu 0xfffe
	s_or_b32 exec_lo, exec_lo, s3
	s_and_saveexec_b32 s3, s2
	s_cbranch_execz .LBB97_80
; %bb.79:                               ;   in Loop: Header=BB97_3 Depth=1
	v_add_co_u32 v173, vcc_lo, v161, v34
	s_wait_alu 0xfffd
	v_add_co_ci_u32_e64 v174, null, v162, v35, vcc_lo
	v_add_co_u32 v175, vcc_lo, v163, v34
	s_wait_alu 0xfffd
	v_add_co_ci_u32_e64 v176, null, v164, v35, vcc_lo
	global_load_u16 v4, v[173:174], off
	global_load_u16 v171, v[175:176], off
	s_wait_loadcnt 0x1
	v_lshlrev_b32_e32 v4, 16, v4
	s_wait_loadcnt 0x0
	v_lshlrev_b32_e32 v171, 16, v171
.LBB97_80:                              ;   in Loop: Header=BB97_3 Depth=1
	s_wait_alu 0xfffe
	s_or_b32 exec_lo, exec_lo, s3
	v_dual_mov_b32 v173, 0 :: v_dual_mov_b32 v174, 0
	s_and_saveexec_b32 s3, s2
	s_cbranch_execz .LBB97_82
; %bb.81:                               ;   in Loop: Header=BB97_3 Depth=1
	v_add_co_u32 v174, vcc_lo, v157, v34
	s_wait_alu 0xfffd
	v_add_co_ci_u32_e64 v175, null, v158, v35, vcc_lo
	v_add_co_u32 v176, vcc_lo, v159, v34
	s_wait_alu 0xfffd
	v_add_co_ci_u32_e64 v177, null, v160, v35, vcc_lo
	global_load_u16 v5, v[174:175], off
	global_load_u16 v174, v[176:177], off
	s_wait_loadcnt 0x1
	v_lshlrev_b32_e32 v5, 16, v5
	s_wait_loadcnt 0x0
	v_lshlrev_b32_e32 v174, 16, v174
.LBB97_82:                              ;   in Loop: Header=BB97_3 Depth=1
	s_wait_alu 0xfffe
	s_or_b32 exec_lo, exec_lo, s3
	s_and_saveexec_b32 s3, s2
	s_cbranch_execz .LBB97_84
; %bb.83:                               ;   in Loop: Header=BB97_3 Depth=1
	v_add_co_u32 v175, vcc_lo, v153, v34
	s_wait_alu 0xfffd
	v_add_co_ci_u32_e64 v176, null, v154, v35, vcc_lo
	v_add_co_u32 v177, vcc_lo, v155, v34
	s_wait_alu 0xfffd
	v_add_co_ci_u32_e64 v178, null, v156, v35, vcc_lo
	global_load_u16 v6, v[175:176], off
	global_load_u16 v173, v[177:178], off
	s_wait_loadcnt 0x1
	v_lshlrev_b32_e32 v6, 16, v6
	s_wait_loadcnt 0x0
	v_lshlrev_b32_e32 v173, 16, v173
.LBB97_84:                              ;   in Loop: Header=BB97_3 Depth=1
	;; [unrolled: 37-line block ×5, first 2 shown]
	s_wait_alu 0xfffe
	s_or_b32 exec_lo, exec_lo, s3
	v_dual_mov_b32 v181, 0 :: v_dual_mov_b32 v182, 0
	s_and_saveexec_b32 s3, s2
	s_cbranch_execz .LBB97_98
; %bb.97:                               ;   in Loop: Header=BB97_3 Depth=1
	v_add_co_u32 v182, vcc_lo, v125, v34
	s_wait_alu 0xfffd
	v_add_co_ci_u32_e64 v183, null, v126, v35, vcc_lo
	v_add_co_u32 v184, vcc_lo, v127, v34
	s_wait_alu 0xfffd
	v_add_co_ci_u32_e64 v185, null, v128, v35, vcc_lo
	global_load_u16 v13, v[182:183], off
	global_load_u16 v182, v[184:185], off
	s_wait_loadcnt 0x1
	v_lshlrev_b32_e32 v13, 16, v13
	s_wait_loadcnt 0x0
	v_lshlrev_b32_e32 v182, 16, v182
.LBB97_98:                              ;   in Loop: Header=BB97_3 Depth=1
	s_wait_alu 0xfffe
	s_or_b32 exec_lo, exec_lo, s3
	s_and_saveexec_b32 s3, s2
	s_cbranch_execz .LBB97_100
; %bb.99:                               ;   in Loop: Header=BB97_3 Depth=1
	v_add_co_u32 v183, vcc_lo, v121, v34
	s_wait_alu 0xfffd
	v_add_co_ci_u32_e64 v184, null, v122, v35, vcc_lo
	v_add_co_u32 v185, vcc_lo, v123, v34
	s_wait_alu 0xfffd
	v_add_co_ci_u32_e64 v186, null, v124, v35, vcc_lo
	global_load_u16 v14, v[183:184], off
	global_load_u16 v181, v[185:186], off
	s_wait_loadcnt 0x1
	v_lshlrev_b32_e32 v14, 16, v14
	s_wait_loadcnt 0x0
	v_lshlrev_b32_e32 v181, 16, v181
.LBB97_100:                             ;   in Loop: Header=BB97_3 Depth=1
	s_wait_alu 0xfffe
	s_or_b32 exec_lo, exec_lo, s3
	v_dual_mov_b32 v183, 0 :: v_dual_mov_b32 v184, 0
	s_and_saveexec_b32 s3, s2
	s_cbranch_execz .LBB97_102
; %bb.101:                              ;   in Loop: Header=BB97_3 Depth=1
	v_add_co_u32 v184, vcc_lo, v117, v34
	s_wait_alu 0xfffd
	v_add_co_ci_u32_e64 v185, null, v118, v35, vcc_lo
	v_add_co_u32 v186, vcc_lo, v119, v34
	s_wait_alu 0xfffd
	v_add_co_ci_u32_e64 v187, null, v120, v35, vcc_lo
	global_load_u16 v15, v[184:185], off
	global_load_u16 v184, v[186:187], off
	s_wait_loadcnt 0x1
	v_lshlrev_b32_e32 v15, 16, v15
	s_wait_loadcnt 0x0
	v_lshlrev_b32_e32 v184, 16, v184
.LBB97_102:                             ;   in Loop: Header=BB97_3 Depth=1
	s_wait_alu 0xfffe
	s_or_b32 exec_lo, exec_lo, s3
	s_and_saveexec_b32 s3, s2
	s_cbranch_execz .LBB97_104
; %bb.103:                              ;   in Loop: Header=BB97_3 Depth=1
	v_add_co_u32 v185, vcc_lo, v113, v34
	s_wait_alu 0xfffd
	v_add_co_ci_u32_e64 v186, null, v114, v35, vcc_lo
	v_add_co_u32 v187, vcc_lo, v115, v34
	s_wait_alu 0xfffd
	v_add_co_ci_u32_e64 v188, null, v116, v35, vcc_lo
	global_load_u16 v16, v[185:186], off
	global_load_u16 v183, v[187:188], off
	s_wait_loadcnt 0x1
	v_lshlrev_b32_e32 v16, 16, v16
	s_wait_loadcnt 0x0
	v_lshlrev_b32_e32 v183, 16, v183
.LBB97_104:                             ;   in Loop: Header=BB97_3 Depth=1
	s_wait_alu 0xfffe
	s_or_b32 exec_lo, exec_lo, s3
	v_dual_mov_b32 v185, 0 :: v_dual_mov_b32 v186, 0
	s_and_saveexec_b32 s3, s2
	s_cbranch_execz .LBB97_106
; %bb.105:                              ;   in Loop: Header=BB97_3 Depth=1
	v_add_co_u32 v186, vcc_lo, v109, v34
	s_wait_alu 0xfffd
	v_add_co_ci_u32_e64 v187, null, v110, v35, vcc_lo
	v_add_co_u32 v188, vcc_lo, v111, v34
	s_wait_alu 0xfffd
	v_add_co_ci_u32_e64 v189, null, v112, v35, vcc_lo
	global_load_u16 v17, v[186:187], off
	global_load_u16 v186, v[188:189], off
	s_wait_loadcnt 0x1
	v_lshlrev_b32_e32 v17, 16, v17
	s_wait_loadcnt 0x0
	v_lshlrev_b32_e32 v186, 16, v186
.LBB97_106:                             ;   in Loop: Header=BB97_3 Depth=1
	s_wait_alu 0xfffe
	s_or_b32 exec_lo, exec_lo, s3
	s_and_saveexec_b32 s3, s2
	s_cbranch_execz .LBB97_108
; %bb.107:                              ;   in Loop: Header=BB97_3 Depth=1
	v_add_co_u32 v187, vcc_lo, v105, v34
	s_wait_alu 0xfffd
	v_add_co_ci_u32_e64 v188, null, v106, v35, vcc_lo
	v_add_co_u32 v189, vcc_lo, v107, v34
	s_wait_alu 0xfffd
	v_add_co_ci_u32_e64 v190, null, v108, v35, vcc_lo
	global_load_u16 v18, v[187:188], off
	global_load_u16 v185, v[189:190], off
	s_wait_loadcnt 0x1
	v_lshlrev_b32_e32 v18, 16, v18
	s_wait_loadcnt 0x0
	v_lshlrev_b32_e32 v185, 16, v185
.LBB97_108:                             ;   in Loop: Header=BB97_3 Depth=1
	s_wait_alu 0xfffe
	s_or_b32 exec_lo, exec_lo, s3
	v_mov_b32_e32 v187, 0
	v_mov_b32_e32 v189, 0
	s_and_saveexec_b32 s3, s2
	s_cbranch_execz .LBB97_110
; %bb.109:                              ;   in Loop: Header=BB97_3 Depth=1
	v_add_co_u32 v188, vcc_lo, v101, v34
	s_wait_alu 0xfffd
	v_add_co_ci_u32_e64 v189, null, v102, v35, vcc_lo
	v_add_co_u32 v190, vcc_lo, v103, v34
	s_wait_alu 0xfffd
	v_add_co_ci_u32_e64 v191, null, v104, v35, vcc_lo
	global_load_u16 v19, v[188:189], off
	global_load_u16 v188, v[190:191], off
	s_wait_loadcnt 0x1
	v_lshlrev_b32_e32 v19, 16, v19
	s_wait_loadcnt 0x0
	v_lshlrev_b32_e32 v189, 16, v188
.LBB97_110:                             ;   in Loop: Header=BB97_3 Depth=1
	s_wait_alu 0xfffe
	s_or_b32 exec_lo, exec_lo, s3
	s_and_saveexec_b32 s3, s2
	s_cbranch_execz .LBB97_112
; %bb.111:                              ;   in Loop: Header=BB97_3 Depth=1
	v_add_co_u32 v187, vcc_lo, v97, v34
	s_wait_alu 0xfffd
	v_add_co_ci_u32_e64 v188, null, v98, v35, vcc_lo
	v_add_co_u32 v190, vcc_lo, v99, v34
	s_wait_alu 0xfffd
	v_add_co_ci_u32_e64 v191, null, v100, v35, vcc_lo
	global_load_u16 v20, v[187:188], off
	global_load_u16 v187, v[190:191], off
	s_wait_loadcnt 0x1
	v_lshlrev_b32_e32 v20, 16, v20
	s_wait_loadcnt 0x0
	v_lshlrev_b32_e32 v187, 16, v187
.LBB97_112:                             ;   in Loop: Header=BB97_3 Depth=1
	s_wait_alu 0xfffe
	s_or_b32 exec_lo, exec_lo, s3
	v_dual_mov_b32 v190, 0 :: v_dual_mov_b32 v191, 0
	s_and_saveexec_b32 s3, s2
	s_cbranch_execz .LBB97_114
; %bb.113:                              ;   in Loop: Header=BB97_3 Depth=1
	v_add_co_u32 v191, vcc_lo, v93, v34
	s_wait_alu 0xfffd
	v_add_co_ci_u32_e64 v192, null, v94, v35, vcc_lo
	v_add_co_u32 v193, vcc_lo, v95, v34
	s_wait_alu 0xfffd
	v_add_co_ci_u32_e64 v194, null, v96, v35, vcc_lo
	global_load_u16 v21, v[191:192], off
	global_load_u16 v188, v[193:194], off
	s_wait_loadcnt 0x1
	v_lshlrev_b32_e32 v21, 16, v21
	s_wait_loadcnt 0x0
	v_lshlrev_b32_e32 v191, 16, v188
.LBB97_114:                             ;   in Loop: Header=BB97_3 Depth=1
	s_wait_alu 0xfffe
	s_or_b32 exec_lo, exec_lo, s3
	s_and_saveexec_b32 s3, s2
	s_cbranch_execz .LBB97_116
; %bb.115:                              ;   in Loop: Header=BB97_3 Depth=1
	v_add_co_u32 v192, vcc_lo, v89, v34
	s_wait_alu 0xfffd
	v_add_co_ci_u32_e64 v193, null, v90, v35, vcc_lo
	v_add_co_u32 v194, vcc_lo, v91, v34
	s_wait_alu 0xfffd
	v_add_co_ci_u32_e64 v195, null, v92, v35, vcc_lo
	global_load_u16 v22, v[192:193], off
	global_load_u16 v188, v[194:195], off
	s_wait_loadcnt 0x1
	v_lshlrev_b32_e32 v22, 16, v22
	s_wait_loadcnt 0x0
	v_lshlrev_b32_e32 v190, 16, v188
.LBB97_116:                             ;   in Loop: Header=BB97_3 Depth=1
	s_wait_alu 0xfffe
	s_or_b32 exec_lo, exec_lo, s3
	v_dual_mov_b32 v192, 0 :: v_dual_mov_b32 v193, 0
	;; [unrolled: 37-line block ×5, first 2 shown]
	s_and_saveexec_b32 s3, s2
	s_cbranch_execz .LBB97_130
; %bb.129:                              ;   in Loop: Header=BB97_3 Depth=1
	v_add_co_u32 v199, vcc_lo, v62, v34
	s_wait_alu 0xfffd
	v_add_co_ci_u32_e64 v200, null, v63, v35, vcc_lo
	v_add_co_u32 v202, vcc_lo, v64, v34
	s_wait_alu 0xfffd
	v_add_co_ci_u32_e64 v203, null, v65, v35, vcc_lo
	global_load_u16 v29, v[199:200], off
	global_load_u16 v188, v[202:203], off
	s_wait_loadcnt 0x1
	v_lshlrev_b32_e32 v29, 16, v29
	s_wait_loadcnt 0x0
	v_lshlrev_b32_e32 v199, 16, v188
.LBB97_130:                             ;   in Loop: Header=BB97_3 Depth=1
	s_wait_alu 0xfffe
	s_or_b32 exec_lo, exec_lo, s3
	s_and_saveexec_b32 s3, s2
	s_cbranch_execz .LBB97_132
; %bb.131:                              ;   in Loop: Header=BB97_3 Depth=1
	v_add_co_u32 v202, vcc_lo, v58, v34
	s_wait_alu 0xfffd
	v_add_co_ci_u32_e64 v203, null, v59, v35, vcc_lo
	v_add_co_u32 v204, vcc_lo, v60, v34
	s_wait_alu 0xfffd
	v_add_co_ci_u32_e64 v205, null, v61, v35, vcc_lo
	global_load_u16 v30, v[202:203], off
	global_load_u16 v188, v[204:205], off
	s_wait_loadcnt 0x1
	v_lshlrev_b32_e32 v30, 16, v30
	s_wait_loadcnt 0x0
	v_lshlrev_b32_e32 v198, 16, v188
.LBB97_132:                             ;   in Loop: Header=BB97_3 Depth=1
	s_wait_alu 0xfffe
	s_or_b32 exec_lo, exec_lo, s3
	v_mov_b32_e32 v200, 0
	v_mov_b32_e32 v202, 0
	s_and_saveexec_b32 s3, s2
	s_cbranch_execnz .LBB97_139
; %bb.133:                              ;   in Loop: Header=BB97_3 Depth=1
	s_wait_alu 0xfffe
	s_or_b32 exec_lo, exec_lo, s3
	s_and_saveexec_b32 s3, s2
	s_cbranch_execnz .LBB97_140
.LBB97_134:                             ;   in Loop: Header=BB97_3 Depth=1
	s_wait_alu 0xfffe
	s_or_b32 exec_lo, exec_lo, s3
	v_mov_b32_e32 v188, 0
	s_and_saveexec_b32 s3, s2
	s_cbranch_execz .LBB97_136
.LBB97_135:                             ;   in Loop: Header=BB97_3 Depth=1
	v_add_co_u32 v203, vcc_lo, v46, v34
	s_wait_alu 0xfffd
	v_add_co_ci_u32_e64 v204, null, v47, v35, vcc_lo
	v_add_co_u32 v205, vcc_lo, v48, v34
	s_wait_alu 0xfffd
	v_add_co_ci_u32_e64 v206, null, v49, v35, vcc_lo
	global_load_u16 v33, v[203:204], off
	global_load_u16 v188, v[205:206], off
	s_wait_loadcnt 0x1
	v_lshlrev_b32_e32 v33, 16, v33
	s_wait_loadcnt 0x0
	v_lshlrev_b32_e32 v188, 16, v188
.LBB97_136:                             ;   in Loop: Header=BB97_3 Depth=1
	s_wait_alu 0xfffe
	s_or_b32 exec_lo, exec_lo, s3
	s_wait_loadcnt 0x1
	ds_bpermute_b32 v203, v1, v36
	ds_bpermute_b32 v206, v1, v36 offset:4
	ds_bpermute_b32 v208, v1, v36 offset:8
	;; [unrolled: 1-line block ×3, first 2 shown]
	s_wait_loadcnt 0x0
	ds_bpermute_b32 v204, v1, v37
	v_add_f32_e32 v201, v201, v2
	ds_bpermute_b32 v216, v1, v36 offset:24
	ds_bpermute_b32 v205, v1, v37 offset:4
	;; [unrolled: 1-line block ×14, first 2 shown]
	s_wait_dscnt 0x12
	v_sub_f32_e32 v170, v170, v203
	s_wait_dscnt 0x10
	v_dual_sub_f32 v172, v172, v206 :: v_dual_sub_f32 v171, v171, v208
	ds_bpermute_b32 v203, v1, v36 offset:36
	ds_bpermute_b32 v206, v1, v36 offset:44
	v_mul_f32_e32 v2, v2, v170
	v_dual_mul_f32 v172, v3, v172 :: v_dual_mul_f32 v171, v4, v171
	v_add_f32_e32 v3, v3, v201
	ds_bpermute_b32 v221, v1, v37 offset:36
	ds_bpermute_b32 v222, v1, v37 offset:40
	;; [unrolled: 1-line block ×3, first 2 shown]
	s_wait_dscnt 0x14
	v_dual_add_f32 v3, v4, v3 :: v_dual_sub_f32 v4, v173, v212
	s_delay_alu instid0(VALU_DEP_1) | instskip(SKIP_1) | instid1(VALU_DEP_1)
	v_dual_add_f32 v3, v5, v3 :: v_dual_mul_f32 v4, v6, v4
	s_wait_dscnt 0x12
	v_dual_add_f32 v3, v6, v3 :: v_dual_sub_f32 v6, v175, v216
	v_fmac_f32_e32 v169, v2, v204
	ds_bpermute_b32 v2, v1, v37 offset:48
	v_dual_add_f32 v3, v7, v3 :: v_dual_mul_f32 v6, v8, v6
	s_wait_dscnt 0x11
	v_dual_sub_f32 v174, v174, v210 :: v_dual_fmac_f32 v169, v172, v205
	ds_bpermute_b32 v172, v1, v36 offset:48
	v_add_f32_e32 v3, v8, v3
	s_wait_dscnt 0x6
	v_dual_sub_f32 v8, v180, v203 :: v_dual_mul_f32 v173, v5, v174
	v_dual_fmac_f32 v169, v171, v207 :: v_dual_sub_f32 v174, v178, v218
	v_sub_f32_e32 v5, v176, v214
	s_delay_alu instid0(VALU_DEP_3) | instskip(NEXT) | instid1(VALU_DEP_3)
	v_dual_add_f32 v3, v9, v3 :: v_dual_mul_f32 v8, v11, v8
	v_fmac_f32_e32 v169, v173, v209
	ds_bpermute_b32 v173, v1, v36 offset:52
	v_dual_mul_f32 v5, v7, v5 :: v_dual_mul_f32 v174, v9, v174
	v_sub_f32_e32 v7, v177, v220
	v_fmac_f32_e32 v169, v4, v211
	v_add_f32_e32 v3, v10, v3
	ds_bpermute_b32 v171, v1, v37 offset:52
	ds_bpermute_b32 v9, v1, v36 offset:60
	;; [unrolled: 1-line block ×3, first 2 shown]
	v_add_f32_e32 v3, v11, v3
	s_wait_dscnt 0x4
	v_sub_f32_e32 v11, v181, v172
	s_delay_alu instid0(VALU_DEP_2) | instskip(SKIP_1) | instid1(VALU_DEP_2)
	v_add_f32_e32 v3, v12, v3
	s_wait_dscnt 0x3
	v_dual_mul_f32 v11, v14, v11 :: v_dual_sub_f32 v172, v184, v173
	v_mul_f32_e32 v7, v10, v7
	v_dual_sub_f32 v10, v182, v206 :: v_dual_fmac_f32 v169, v5, v213
	ds_bpermute_b32 v5, v1, v36 offset:56
	v_add_f32_e32 v3, v13, v3
	v_dual_mul_f32 v10, v13, v10 :: v_dual_fmac_f32 v169, v6, v215
	ds_bpermute_b32 v6, v1, v37 offset:60
	v_mul_f32_e32 v13, v15, v172
	s_wait_dscnt 0x3
	v_sub_f32_e32 v9, v186, v9
	v_add_f32_e32 v3, v14, v3
	v_dual_fmac_f32 v169, v174, v217 :: v_dual_sub_f32 v174, v179, v223
	s_delay_alu instid0(VALU_DEP_3) | instskip(NEXT) | instid1(VALU_DEP_3)
	v_mul_f32_e32 v9, v17, v9
	v_add_f32_e32 v3, v15, v3
	s_delay_alu instid0(VALU_DEP_3)
	v_dual_fmac_f32 v169, v7, v219 :: v_dual_mul_f32 v174, v12, v174
	ds_bpermute_b32 v12, v1, v36 offset:68
	ds_bpermute_b32 v7, v1, v37 offset:64
	v_add_f32_e32 v3, v16, v3
	v_fmac_f32_e32 v169, v8, v221
	ds_bpermute_b32 v8, v1, v36 offset:64
	s_wait_dscnt 0x4
	v_sub_f32_e32 v5, v183, v5
	v_add_f32_e32 v3, v17, v3
	v_fmac_f32_e32 v169, v174, v222
	s_delay_alu instid0(VALU_DEP_3) | instskip(NEXT) | instid1(VALU_DEP_3)
	v_mul_f32_e32 v5, v16, v5
	v_add_f32_e32 v3, v18, v3
	s_delay_alu instid0(VALU_DEP_3)
	v_fmac_f32_e32 v169, v10, v170
	ds_bpermute_b32 v10, v1, v36 offset:72
	v_add_f32_e32 v3, v19, v3
	v_fmac_f32_e32 v169, v11, v2
	ds_bpermute_b32 v2, v1, v37 offset:68
	ds_bpermute_b32 v11, v1, v37 offset:72
	v_add_f32_e32 v3, v20, v3
	v_fmac_f32_e32 v169, v13, v171
	ds_bpermute_b32 v13, v1, v36 offset:76
	ds_bpermute_b32 v171, v1, v37 offset:124
	v_add_f32_e32 v3, v21, v3
	v_fmac_f32_e32 v169, v5, v4
	s_wait_dscnt 0x5
	v_sub_f32_e32 v4, v185, v8
	ds_bpermute_b32 v8, v1, v36 offset:80
	v_sub_f32_e32 v5, v189, v12
	v_add_f32_e32 v3, v22, v3
	v_dual_fmac_f32 v169, v9, v6 :: v_dual_mul_f32 v4, v18, v4
	ds_bpermute_b32 v6, v1, v37 offset:76
	s_wait_dscnt 0x6
	v_sub_f32_e32 v9, v187, v10
	ds_bpermute_b32 v10, v1, v36 offset:84
	v_mul_f32_e32 v5, v19, v5
	v_fmac_f32_e32 v169, v4, v7
	ds_bpermute_b32 v4, v1, v37 offset:80
	v_mul_f32_e32 v7, v20, v9
	ds_bpermute_b32 v9, v1, v37 offset:84
	v_add_f32_e32 v3, v23, v3
	s_wait_dscnt 0x8
	v_fmac_f32_e32 v169, v5, v2
	ds_bpermute_b32 v2, v1, v36 offset:88
	s_wait_dscnt 0x7
	v_sub_f32_e32 v5, v191, v13
	v_add_f32_e32 v3, v24, v3
	v_fmac_f32_e32 v169, v7, v11
	ds_bpermute_b32 v7, v1, v36 offset:92
	s_wait_dscnt 0x6
	v_dual_mul_f32 v5, v21, v5 :: v_dual_sub_f32 v8, v190, v8
	v_add_f32_e32 v3, v25, v3
	s_wait_dscnt 0x5
	s_delay_alu instid0(VALU_DEP_2)
	v_fmac_f32_e32 v169, v5, v6
	ds_bpermute_b32 v5, v1, v37 offset:88
	v_mul_f32_e32 v6, v22, v8
	s_wait_dscnt 0x5
	v_sub_f32_e32 v8, v193, v10
	ds_bpermute_b32 v10, v1, v36 offset:96
	v_add_f32_e32 v3, v26, v3
	s_wait_dscnt 0x5
	v_fmac_f32_e32 v169, v6, v4
	ds_bpermute_b32 v4, v1, v37 offset:92
	v_mul_f32_e32 v6, v23, v8
	s_wait_dscnt 0x4
	v_sub_f32_e32 v2, v192, v2
	ds_bpermute_b32 v8, v1, v36 offset:100
	v_add_f32_e32 v3, v27, v3
	v_fmac_f32_e32 v169, v6, v9
	ds_bpermute_b32 v6, v1, v37 offset:96
	s_wait_dscnt 0x5
	v_dual_mul_f32 v2, v24, v2 :: v_dual_sub_f32 v7, v195, v7
	ds_bpermute_b32 v9, v1, v36 offset:104
	v_add_f32_e32 v3, v28, v3
	s_wait_dscnt 0x5
	v_fmac_f32_e32 v169, v2, v5
	ds_bpermute_b32 v2, v1, v37 offset:100
	v_mul_f32_e32 v5, v25, v7
	s_wait_dscnt 0x5
	v_sub_f32_e32 v7, v194, v10
	ds_bpermute_b32 v10, v1, v36 offset:108
	v_add_f32_e32 v3, v29, v3
	s_wait_dscnt 0x5
	v_dual_fmac_f32 v169, v5, v4 :: v_dual_mul_f32 v4, v26, v7
	ds_bpermute_b32 v5, v1, v37 offset:104
	s_wait_dscnt 0x5
	v_sub_f32_e32 v7, v197, v8
	ds_bpermute_b32 v8, v1, v36 offset:112
	v_add_f32_e32 v3, v30, v3
	s_wait_dscnt 0x5
	v_fmac_f32_e32 v169, v4, v6
	ds_bpermute_b32 v6, v1, v37 offset:108
	s_wait_dscnt 0x5
	v_dual_mul_f32 v4, v27, v7 :: v_dual_sub_f32 v7, v196, v9
	ds_bpermute_b32 v9, v1, v36 offset:116
	v_add_f32_e32 v3, v31, v3
	s_wait_dscnt 0x5
	v_fmac_f32_e32 v169, v4, v2
	v_mul_f32_e32 v2, v28, v7
	ds_bpermute_b32 v4, v1, v37 offset:112
	s_wait_dscnt 0x5
	v_sub_f32_e32 v7, v199, v10
	ds_bpermute_b32 v10, v1, v36 offset:120
	v_add_f32_e32 v3, v32, v3
	s_wait_dscnt 0x5
	v_dual_fmac_f32 v169, v2, v5 :: v_dual_mul_f32 v2, v29, v7
	ds_bpermute_b32 v5, v1, v37 offset:116
	s_wait_dscnt 0x5
	v_sub_f32_e32 v7, v198, v8
	s_wait_dscnt 0x4
	v_fmac_f32_e32 v169, v2, v6
	ds_bpermute_b32 v6, v1, v37 offset:120
	v_mul_f32_e32 v2, v30, v7
	s_wait_dscnt 0x4
	v_sub_f32_e32 v7, v202, v9
	s_wait_dscnt 0x3
	s_delay_alu instid0(VALU_DEP_1)
	v_dual_fmac_f32 v169, v2, v4 :: v_dual_mul_f32 v4, v31, v7
	s_wait_dscnt 0x2
	v_sub_f32_e32 v7, v200, v10
	ds_bpermute_b32 v2, v1, v36 offset:124
	s_wait_dscnt 0x2
	v_fmac_f32_e32 v169, v4, v5
	v_mul_f32_e32 v4, v32, v7
	s_wait_dscnt 0x1
	s_delay_alu instid0(VALU_DEP_1) | instskip(NEXT) | instid1(VALU_DEP_1)
	v_fmac_f32_e32 v169, v4, v6
	v_mov_b32_e32 v203, v169
.LBB97_137:                             ;   in Loop: Header=BB97_3 Depth=1
	v_add_co_u32 v42, vcc_lo, v42, s24
	s_wait_alu 0xfffd
	v_add_co_ci_u32_e64 v43, null, s25, v43, vcc_lo
	v_add_co_u32 v44, vcc_lo, v44, s24
	s_wait_alu 0xfffd
	v_add_co_ci_u32_e64 v45, null, s25, v45, vcc_lo
	;; [unrolled: 3-line block ×59, first 2 shown]
	v_add_co_u32 v159, vcc_lo, v159, s24
	s_wait_dscnt 0x0
	v_dual_sub_f32 v2, v188, v2 :: v_dual_add_f32 v201, v3, v33
	s_wait_alu 0xfffd
	v_add_co_ci_u32_e64 v160, null, s25, v160, vcc_lo
	v_add_co_u32 v161, vcc_lo, v161, s24
	s_wait_alu 0xfffd
	v_add_co_ci_u32_e64 v162, null, s25, v162, vcc_lo
	v_add_co_u32 v163, vcc_lo, v163, s24
	;; [unrolled: 3-line block ×3, first 2 shown]
	s_add_nc_u64 s[28:29], s[28:29], s[22:23]
	v_mul_f32_e32 v2, v33, v2
	s_wait_alu 0xfffd
	v_add_co_ci_u32_e64 v166, null, s25, v166, vcc_lo
	v_add_co_u32 v167, vcc_lo, v167, s24
	s_wait_alu 0xfffe
	v_cmp_lt_i64_e64 s3, s[28:29], s[4:5]
	s_wait_alu 0xfffd
	v_add_co_ci_u32_e64 v168, null, s25, v168, vcc_lo
	v_add_co_u32 v39, vcc_lo, v39, s22
	v_fmac_f32_e32 v203, v2, v171
	s_wait_alu 0xfffd
	v_add_co_ci_u32_e64 v41, null, 0, v41, vcc_lo
	s_and_b32 vcc_lo, exec_lo, s3
	s_add_nc_u64 s[26:27], s[26:27], s[22:23]
	s_wait_alu 0xfffe
	s_cbranch_vccz .LBB97_142
; %bb.138:                              ;   in Loop: Header=BB97_3 Depth=1
	v_mov_b32_e32 v169, v203
	s_branch .LBB97_3
.LBB97_139:                             ;   in Loop: Header=BB97_3 Depth=1
	v_add_co_u32 v202, vcc_lo, v54, v34
	s_wait_alu 0xfffd
	v_add_co_ci_u32_e64 v203, null, v55, v35, vcc_lo
	v_add_co_u32 v204, vcc_lo, v56, v34
	s_wait_alu 0xfffd
	v_add_co_ci_u32_e64 v205, null, v57, v35, vcc_lo
	global_load_u16 v31, v[202:203], off
	global_load_u16 v188, v[204:205], off
	s_wait_loadcnt 0x1
	v_lshlrev_b32_e32 v31, 16, v31
	s_wait_loadcnt 0x0
	v_lshlrev_b32_e32 v202, 16, v188
	s_wait_alu 0xfffe
	s_or_b32 exec_lo, exec_lo, s3
	s_and_saveexec_b32 s3, s2
	s_cbranch_execz .LBB97_134
.LBB97_140:                             ;   in Loop: Header=BB97_3 Depth=1
	v_add_co_u32 v203, vcc_lo, v50, v34
	s_wait_alu 0xfffd
	v_add_co_ci_u32_e64 v204, null, v51, v35, vcc_lo
	v_add_co_u32 v205, vcc_lo, v52, v34
	s_wait_alu 0xfffd
	v_add_co_ci_u32_e64 v206, null, v53, v35, vcc_lo
	global_load_u16 v32, v[203:204], off
	global_load_u16 v188, v[205:206], off
	s_wait_loadcnt 0x1
	v_lshlrev_b32_e32 v32, 16, v32
	s_wait_loadcnt 0x0
	v_lshlrev_b32_e32 v200, 16, v188
	s_wait_alu 0xfffe
	s_or_b32 exec_lo, exec_lo, s3
	v_mov_b32_e32 v188, 0
	s_and_saveexec_b32 s3, s2
	s_cbranch_execnz .LBB97_135
	s_branch .LBB97_136
.LBB97_141:
                                        ; implicit-def: $vgpr203
                                        ; implicit-def: $vgpr201
	s_branch .LBB97_143
.LBB97_142:
	s_cbranch_execnz .LBB97_220
.LBB97_143:
	v_mov_b32_e32 v203, 0
	v_mov_b32_e32 v201, 0
	s_and_not1_b32 vcc_lo, exec_lo, s31
	s_wait_alu 0xfffe
	s_cbranch_vccnz .LBB97_220
; %bb.144:
	v_bfe_u32 v0, v228, 10, 10
	s_lshl_b64 s[2:3], s[16:17], 1
	s_mov_b64 s[20:21], 31
	s_mov_b64 s[22:23], s[16:17]
	s_delay_alu instid0(VALU_DEP_1)
	v_dual_mov_b32 v238, 0 :: v_dual_lshlrev_b32 v1, 6, v0
	v_lshlrev_b32_e32 v2, 5, v0
	s_clause 0x1
	scratch_store_b32 off, v0, off offset:296
	scratch_store_b32 off, v228, off offset:304
	v_mov_b32_e32 v205, 0
	s_wait_alu 0xfffe
	v_add_co_u32 v3, s2, v1, s2
	v_add_co_u32 v0, s18, v2, s16
	s_delay_alu instid0(VALU_DEP_1)
	v_add_co_ci_u32_e64 v9, null, 0, 0, s18
	scratch_store_b32 off, v2, off          ; 4-byte Folded Spill
	v_mul_lo_u32 v5, s7, v0
	v_mad_co_u64_u32 v[1:2], null, s6, v0, 0
	v_mul_lo_u32 v6, s6, v9
	s_wait_alu 0xf1ff
	v_add_co_ci_u32_e64 v4, null, 0, s3, s2
	v_add_co_u32 v7, vcc_lo, v3, 2
	s_load_b32 s2, s[0:1], 0x44
	v_add_co_ci_u32_e64 v8, null, 0, v4, vcc_lo
	v_add_co_u32 v11, vcc_lo, v3, 4
	s_wait_alu 0xfffd
	v_add_co_ci_u32_e64 v12, null, 0, v4, vcc_lo
	v_add3_u32 v2, v2, v6, v5
	v_add_co_u32 v5, vcc_lo, v3, 6
	s_wait_alu 0xfffd
	v_add_co_ci_u32_e64 v6, null, 0, v4, vcc_lo
	v_add_co_u32 v14, vcc_lo, v3, 8
	s_wait_alu 0xfffd
	v_add_co_ci_u32_e64 v16, null, 0, v4, vcc_lo
	v_mad_co_u64_u32 v[34:35], null, s6, v7, s[8:9]
	v_mul_lo_u32 v10, s7, v7
	v_mul_lo_u32 v8, s6, v8
	v_mad_co_u64_u32 v[42:43], null, s6, v7, s[10:11]
	v_mad_co_u64_u32 v[40:41], null, s6, v14, s[8:9]
	v_mul_lo_u32 v16, s6, v16
	v_mul_lo_u32 v7, s7, v14
	v_mad_co_u64_u32 v[50:51], null, s6, v14, s[10:11]
	v_add_co_u32 v17, vcc_lo, v3, 10
	v_mad_co_u64_u32 v[38:39], null, s6, v5, s[8:9]
	v_mul_lo_u32 v15, s7, v5
	s_wait_alu 0xfffd
	v_add_co_ci_u32_e64 v18, null, 0, v4, vcc_lo
	v_mad_co_u64_u32 v[48:49], null, s6, v5, s[10:11]
	v_add_co_u32 v5, vcc_lo, v3, 12
	v_mul_lo_u32 v6, s6, v6
	v_add3_u32 v35, v10, v35, v8
	v_add3_u32 v43, v10, v43, v8
	s_wait_alu 0xfffd
	v_add_co_ci_u32_e64 v8, null, 0, v4, vcc_lo
	v_mad_co_u64_u32 v[52:53], null, s6, v5, s[8:9]
	v_add3_u32 v41, v7, v41, v16
	v_add3_u32 v51, v7, v51, v16
	v_mul_lo_u32 v7, s7, v5
	v_mad_co_u64_u32 v[56:57], null, s6, v5, s[10:11]
	v_add_co_u32 v5, vcc_lo, v3, 14
	v_add3_u32 v39, v15, v39, v6
	v_add3_u32 v49, v15, v49, v6
	v_mul_lo_u32 v6, s6, v8
	s_wait_alu 0xfffd
	v_add_co_ci_u32_e64 v8, null, 0, v4, vcc_lo
	v_mad_co_u64_u32 v[58:59], null, s6, v5, s[8:9]
	v_mul_lo_u32 v10, s7, v5
	v_mad_co_u64_u32 v[60:61], null, s6, v5, s[10:11]
	v_add_co_u32 v5, vcc_lo, v3, 16
	v_mad_co_u64_u32 v[36:37], null, s6, v11, s[8:9]
	v_mul_lo_u32 v13, s7, v11
	v_mad_co_u64_u32 v[46:47], null, s6, v11, s[10:11]
	s_wait_alu 0xfffd
	v_add_co_ci_u32_e64 v11, null, 0, v4, vcc_lo
	v_add3_u32 v53, v7, v53, v6
	v_add3_u32 v57, v7, v57, v6
	v_mul_lo_u32 v7, s7, v5
	s_delay_alu instid0(VALU_DEP_4)
	v_mul_lo_u32 v6, s6, v11
	v_mad_co_u64_u32 v[62:63], null, s6, v5, s[8:9]
	v_mad_co_u64_u32 v[64:65], null, s6, v5, s[10:11]
	v_add_co_u32 v5, vcc_lo, v3, 18
	v_mul_lo_u32 v8, s6, v8
	v_mul_lo_u32 v12, s6, v12
	v_add3_u32 v63, v7, v63, v6
	s_delay_alu instid0(VALU_DEP_4)
	v_mad_co_u64_u32 v[66:67], null, s6, v5, s[8:9]
	v_add3_u32 v65, v7, v65, v6
	s_wait_alu 0xfffd
	v_add_co_ci_u32_e64 v6, null, 0, v4, vcc_lo
	v_mul_lo_u32 v7, s7, v5
	v_mad_co_u64_u32 v[68:69], null, s6, v5, s[10:11]
	s_delay_alu instid0(VALU_DEP_3) | instskip(SKIP_4) | instid1(VALU_DEP_4)
	v_mul_lo_u32 v6, s6, v6
	v_add_co_u32 v5, vcc_lo, v3, 20
	v_add3_u32 v59, v10, v59, v8
	v_add3_u32 v61, v10, v61, v8
	;; [unrolled: 1-line block ×3, first 2 shown]
	v_mad_co_u64_u32 v[70:71], null, s6, v5, s[8:9]
	v_add3_u32 v67, v7, v67, v6
	v_add3_u32 v69, v7, v69, v6
	s_wait_alu 0xfffd
	v_add_co_ci_u32_e64 v6, null, 0, v4, vcc_lo
	v_mul_lo_u32 v7, s7, v5
	v_mad_co_u64_u32 v[72:73], null, s6, v5, s[10:11]
	s_delay_alu instid0(VALU_DEP_3) | instskip(SKIP_3) | instid1(VALU_DEP_3)
	v_mul_lo_u32 v6, s6, v6
	v_add_co_u32 v5, vcc_lo, v3, 22
	v_add3_u32 v47, v13, v47, v12
	v_mad_co_u64_u32 v[44:45], null, s6, v17, s[8:9]
	v_mad_co_u64_u32 v[74:75], null, s6, v5, s[8:9]
	v_add3_u32 v71, v7, v71, v6
	v_add3_u32 v73, v7, v73, v6
	s_wait_alu 0xfffd
	v_add_co_ci_u32_e64 v6, null, 0, v4, vcc_lo
	v_mul_lo_u32 v7, s7, v5
	v_mad_co_u64_u32 v[76:77], null, s6, v5, s[10:11]
	s_delay_alu instid0(VALU_DEP_3) | instskip(SKIP_3) | instid1(VALU_DEP_3)
	v_mul_lo_u32 v6, s6, v6
	v_add_co_u32 v5, vcc_lo, v3, 24
	v_mul_lo_u32 v19, s7, v17
	v_mad_co_u64_u32 v[54:55], null, s6, v17, s[10:11]
	v_mad_co_u64_u32 v[78:79], null, s6, v5, s[8:9]
	v_add3_u32 v75, v7, v75, v6
	v_add3_u32 v77, v7, v77, v6
	s_wait_alu 0xfffd
	v_add_co_ci_u32_e64 v6, null, 0, v4, vcc_lo
	v_mul_lo_u32 v7, s7, v5
	v_mad_co_u64_u32 v[80:81], null, s6, v5, s[10:11]
	s_delay_alu instid0(VALU_DEP_3) | instskip(SKIP_3) | instid1(VALU_DEP_2)
	v_mul_lo_u32 v6, s6, v6
	v_add_co_u32 v5, vcc_lo, v3, 26
	v_mul_lo_u32 v18, s6, v18
	s_mov_b32 s3, 0
	v_mad_co_u64_u32 v[82:83], null, s6, v5, s[8:9]
	s_delay_alu instid0(VALU_DEP_4)
	v_add3_u32 v79, v7, v79, v6
	v_add3_u32 v81, v7, v81, v6
	s_wait_alu 0xfffd
	v_add_co_ci_u32_e64 v6, null, 0, v4, vcc_lo
	v_mul_lo_u32 v7, s7, v5
	v_mad_co_u64_u32 v[84:85], null, s6, v5, s[10:11]
	s_delay_alu instid0(VALU_DEP_3) | instskip(SKIP_3) | instid1(VALU_DEP_3)
	v_mul_lo_u32 v6, s6, v6
	v_add_co_u32 v5, vcc_lo, v3, 28
	v_add3_u32 v45, v19, v45, v18
	v_add3_u32 v55, v19, v55, v18
	v_mad_co_u64_u32 v[86:87], null, s6, v5, s[8:9]
	v_add3_u32 v83, v7, v83, v6
	v_add3_u32 v85, v7, v85, v6
	s_wait_alu 0xfffd
	v_add_co_ci_u32_e64 v6, null, 0, v4, vcc_lo
	v_mul_lo_u32 v7, s7, v5
	v_mad_co_u64_u32 v[88:89], null, s6, v5, s[10:11]
	s_delay_alu instid0(VALU_DEP_3) | instskip(SKIP_1) | instid1(VALU_DEP_1)
	v_mul_lo_u32 v6, s6, v6
	v_add_co_u32 v5, vcc_lo, v3, 30
	v_mad_co_u64_u32 v[90:91], null, s6, v5, s[8:9]
	s_delay_alu instid0(VALU_DEP_3)
	v_add3_u32 v87, v7, v87, v6
	v_add3_u32 v89, v7, v89, v6
	s_wait_alu 0xfffd
	v_add_co_ci_u32_e64 v6, null, 0, v4, vcc_lo
	v_mul_lo_u32 v7, s7, v5
	v_mad_co_u64_u32 v[92:93], null, s6, v5, s[10:11]
	s_delay_alu instid0(VALU_DEP_3) | instskip(SKIP_1) | instid1(VALU_DEP_1)
	v_mul_lo_u32 v6, s6, v6
	v_add_co_u32 v5, vcc_lo, v3, 32
	v_mad_co_u64_u32 v[94:95], null, s6, v5, s[8:9]
	s_delay_alu instid0(VALU_DEP_3)
	;; [unrolled: 11-line block ×16, first 2 shown]
	v_add3_u32 v147, v7, v147, v6
	v_add3_u32 v149, v7, v149, v6
	s_wait_alu 0xfffd
	v_add_co_ci_u32_e64 v6, null, 0, v4, vcc_lo
	v_add_co_u32 v3, vcc_lo, v3, 62
	s_wait_alu 0xfffd
	v_add_co_ci_u32_e64 v4, null, 0, v4, vcc_lo
	v_mul_lo_u32 v7, s7, v5
	v_mad_co_u64_u32 v[152:153], null, s6, v5, s[10:11]
	s_delay_alu instid0(VALU_DEP_3)
	v_mul_lo_u32 v4, s6, v4
	v_mul_lo_u32 v5, s7, v3
	v_mad_co_u64_u32 v[154:155], null, s6, v3, s[8:9]
	v_mad_co_u64_u32 v[156:157], null, s6, v3, s[10:11]
	v_mul_lo_u32 v6, s6, v6
	v_add_co_u32 v3, vcc_lo, v0, 31
	s_delay_alu instid0(VALU_DEP_4) | instskip(NEXT) | instid1(VALU_DEP_4)
	v_add3_u32 v155, v5, v155, v4
	v_add3_u32 v157, v5, v157, v4
	s_wait_alu 0xfffd
	v_add_co_ci_u32_e64 v4, null, 0, v9, vcc_lo
	v_add3_u32 v151, v7, v151, v6
	v_add3_u32 v153, v7, v153, v6
	v_mul_lo_u32 v6, s7, v3
	s_delay_alu instid0(VALU_DEP_4) | instskip(SKIP_1) | instid1(VALU_DEP_1)
	v_mul_lo_u32 v5, s6, v4
	v_mad_co_u64_u32 v[3:4], null, s6, v3, 0
	v_add3_u32 v4, v4, v5, v6
	v_add_co_u32 v5, vcc_lo, v0, 30
	s_wait_alu 0xfffd
	v_add_co_ci_u32_e64 v6, null, 0, v9, vcc_lo
	s_delay_alu instid0(VALU_DEP_2) | instskip(NEXT) | instid1(VALU_DEP_2)
	v_mul_lo_u32 v8, s7, v5
	v_mul_lo_u32 v7, s6, v6
	v_mad_co_u64_u32 v[5:6], null, s6, v5, 0
	s_delay_alu instid0(VALU_DEP_1) | instskip(SKIP_3) | instid1(VALU_DEP_2)
	v_add3_u32 v6, v6, v7, v8
	v_add_co_u32 v7, vcc_lo, v0, 29
	s_wait_alu 0xfffd
	v_add_co_ci_u32_e64 v8, null, 0, v9, vcc_lo
	v_mul_lo_u32 v11, s7, v7
	s_delay_alu instid0(VALU_DEP_2) | instskip(SKIP_1) | instid1(VALU_DEP_1)
	v_mul_lo_u32 v10, s6, v8
	v_mad_co_u64_u32 v[7:8], null, s6, v7, 0
	v_add3_u32 v8, v8, v10, v11
	v_add_co_u32 v10, vcc_lo, v0, 28
	s_wait_alu 0xfffd
	v_add_co_ci_u32_e64 v11, null, 0, v9, vcc_lo
	s_delay_alu instid0(VALU_DEP_2) | instskip(NEXT) | instid1(VALU_DEP_2)
	v_mul_lo_u32 v13, s7, v10
	v_mul_lo_u32 v12, s6, v11
	v_mad_co_u64_u32 v[10:11], null, s6, v10, 0
	s_delay_alu instid0(VALU_DEP_1) | instskip(SKIP_3) | instid1(VALU_DEP_2)
	v_add3_u32 v11, v11, v12, v13
	v_add_co_u32 v12, vcc_lo, v0, 27
	s_wait_alu 0xfffd
	v_add_co_ci_u32_e64 v13, null, 0, v9, vcc_lo
	v_mul_lo_u32 v15, s7, v12
	s_delay_alu instid0(VALU_DEP_2) | instskip(SKIP_1) | instid1(VALU_DEP_1)
	;; [unrolled: 17-line block ×8, first 2 shown]
	v_mul_lo_u32 v162, s6, v161
	v_mad_co_u64_u32 v[160:161], null, s6, v160, 0
	v_add3_u32 v161, v161, v162, v163
	v_add_co_u32 v162, vcc_lo, v0, 14
	s_wait_alu 0xfffd
	v_add_co_ci_u32_e64 v163, null, 0, v9, vcc_lo
	s_delay_alu instid0(VALU_DEP_2) | instskip(NEXT) | instid1(VALU_DEP_2)
	v_mul_lo_u32 v165, s7, v162
	v_mul_lo_u32 v164, s6, v163
	v_mad_co_u64_u32 v[162:163], null, s6, v162, 0
	s_delay_alu instid0(VALU_DEP_1) | instskip(SKIP_3) | instid1(VALU_DEP_2)
	v_add3_u32 v163, v163, v164, v165
	v_add_co_u32 v164, vcc_lo, v0, 13
	s_wait_alu 0xfffd
	v_add_co_ci_u32_e64 v165, null, 0, v9, vcc_lo
	v_mul_lo_u32 v166, s7, v164
	v_mad_co_u64_u32 v[168:169], null, s6, v164, 0
	s_delay_alu instid0(VALU_DEP_3) | instskip(SKIP_1) | instid1(VALU_DEP_1)
	v_mul_lo_u32 v165, s6, v165
	v_add_co_u32 v164, vcc_lo, v0, 12
	v_mad_co_u64_u32 v[170:171], null, s6, v164, 0
	s_delay_alu instid0(VALU_DEP_3) | instskip(SKIP_4) | instid1(VALU_DEP_3)
	v_add3_u32 v169, v169, v165, v166
	s_wait_alu 0xfffd
	v_add_co_ci_u32_e64 v165, null, 0, v9, vcc_lo
	v_mul_lo_u32 v166, s7, v164
	v_add_co_u32 v164, vcc_lo, v0, 11
	v_mul_lo_u32 v165, s6, v165
	s_delay_alu instid0(VALU_DEP_2) | instskip(NEXT) | instid1(VALU_DEP_2)
	v_mad_co_u64_u32 v[172:173], null, s6, v164, 0
	v_add3_u32 v171, v171, v165, v166
	s_wait_alu 0xfffd
	v_add_co_ci_u32_e64 v165, null, 0, v9, vcc_lo
	v_mul_lo_u32 v166, s7, v164
	v_add_co_u32 v164, vcc_lo, v0, 10
	s_delay_alu instid0(VALU_DEP_3) | instskip(NEXT) | instid1(VALU_DEP_2)
	v_mul_lo_u32 v165, s6, v165
	v_mad_co_u64_u32 v[174:175], null, s6, v164, 0
	s_delay_alu instid0(VALU_DEP_2) | instskip(SKIP_4) | instid1(VALU_DEP_3)
	v_add3_u32 v173, v173, v165, v166
	s_wait_alu 0xfffd
	v_add_co_ci_u32_e64 v165, null, 0, v9, vcc_lo
	v_mul_lo_u32 v166, s7, v164
	v_add_co_u32 v164, vcc_lo, v0, 9
	v_mul_lo_u32 v165, s6, v165
	s_delay_alu instid0(VALU_DEP_2) | instskip(NEXT) | instid1(VALU_DEP_2)
	v_mad_co_u64_u32 v[176:177], null, s6, v164, 0
	v_add3_u32 v175, v175, v165, v166
	s_wait_alu 0xfffd
	v_add_co_ci_u32_e64 v165, null, 0, v9, vcc_lo
	v_mul_lo_u32 v166, s7, v164
	v_add_co_u32 v164, vcc_lo, v0, 8
	s_delay_alu instid0(VALU_DEP_3) | instskip(NEXT) | instid1(VALU_DEP_2)
	v_mul_lo_u32 v165, s6, v165
	v_mad_co_u64_u32 v[178:179], null, s6, v164, 0
	s_delay_alu instid0(VALU_DEP_2) | instskip(SKIP_4) | instid1(VALU_DEP_3)
	;; [unrolled: 17-line block ×4, first 2 shown]
	v_add3_u32 v185, v185, v165, v166
	s_wait_alu 0xfffd
	v_add_co_ci_u32_e64 v165, null, 0, v9, vcc_lo
	v_mul_lo_u32 v166, s7, v164
	v_add_co_u32 v164, vcc_lo, v0, 3
	v_mul_lo_u32 v165, s6, v165
	s_delay_alu instid0(VALU_DEP_2) | instskip(NEXT) | instid1(VALU_DEP_2)
	v_mad_co_u64_u32 v[189:190], null, s6, v164, 0
	v_add3_u32 v187, v187, v165, v166
	s_wait_alu 0xfffd
	v_add_co_ci_u32_e64 v165, null, 0, v9, vcc_lo
	v_add_co_u32 v0, vcc_lo, v0, 2
	s_wait_alu 0xfffd
	v_add_co_ci_u32_e64 v9, null, 0, v9, vcc_lo
	v_mul_lo_u32 v166, s7, v164
	s_delay_alu instid0(VALU_DEP_3) | instskip(SKIP_1) | instid1(VALU_DEP_4)
	v_mul_lo_u32 v164, s7, v0
	v_mad_co_u64_u32 v[193:194], null, s6, v0, 0
	v_mul_lo_u32 v9, s6, v9
	v_mul_lo_u32 v165, s6, v165
	v_add_co_u32 v197, vcc_lo, v1, s6
	v_lshlrev_b64_e32 v[0:1], 1, v[1:2]
	s_wait_alu 0xfffd
	v_add_co_ci_u32_e64 v198, null, s7, v2, vcc_lo
	v_add3_u32 v194, v194, v9, v164
	v_add3_u32 v190, v190, v165, v166
	s_delay_alu instid0(VALU_DEP_4)
	v_add_co_u32 v164, vcc_lo, s8, v0
	s_wait_alu 0xfffd
	v_add_co_ci_u32_e64 v165, null, s9, v1, vcc_lo
	v_add_co_u32 v166, vcc_lo, s10, v0
	s_wait_alu 0xfffd
	v_add_co_ci_u32_e64 v167, null, s11, v1, vcc_lo
	v_lshlrev_b64_e32 v[0:1], 1, v[3:4]
	s_delay_alu instid0(VALU_DEP_1)
	v_add_co_u32 v2, vcc_lo, s8, v0
	scratch_store_b32 off, v2, off offset:4 ; 4-byte Folded Spill
	s_wait_alu 0xfffd
	v_add_co_ci_u32_e64 v2, null, s9, v1, vcc_lo
	v_add_co_u32 v0, vcc_lo, s10, v0
	s_clause 0x1
	scratch_store_b32 off, v2, off offset:8
	scratch_store_b32 off, v0, off offset:12
	s_wait_alu 0xfffd
	v_add_co_ci_u32_e64 v0, null, s11, v1, vcc_lo
	scratch_store_b32 off, v0, off offset:16 ; 4-byte Folded Spill
	v_lshlrev_b64_e32 v[0:1], 1, v[5:6]
	s_delay_alu instid0(VALU_DEP_1)
	v_add_co_u32 v2, vcc_lo, s8, v0
	scratch_store_b32 off, v2, off offset:20 ; 4-byte Folded Spill
	s_wait_alu 0xfffd
	v_add_co_ci_u32_e64 v2, null, s9, v1, vcc_lo
	v_add_co_u32 v0, vcc_lo, s10, v0
	s_clause 0x1
	scratch_store_b32 off, v2, off offset:24
	scratch_store_b32 off, v0, off offset:28
	s_wait_alu 0xfffd
	v_add_co_ci_u32_e64 v0, null, s11, v1, vcc_lo
	scratch_store_b32 off, v0, off offset:32 ; 4-byte Folded Spill
	;; [unrolled: 13-line block ×18, first 2 shown]
	v_lshlrev_b64_e32 v[0:1], 1, v[168:169]
	s_delay_alu instid0(VALU_DEP_1) | instskip(SKIP_1) | instid1(VALU_DEP_2)
	v_add_co_u32 v240, vcc_lo, s8, v0
	s_wait_alu 0xfffd
	v_add_co_ci_u32_e64 v241, null, s9, v1, vcc_lo
	v_add_co_u32 v242, vcc_lo, s10, v0
	s_wait_alu 0xfffd
	v_add_co_ci_u32_e64 v243, null, s11, v1, vcc_lo
	v_lshlrev_b64_e32 v[0:1], 1, v[170:171]
	s_delay_alu instid0(VALU_DEP_1) | instskip(SKIP_1) | instid1(VALU_DEP_2)
	v_add_co_u32 v244, vcc_lo, s8, v0
	s_wait_alu 0xfffd
	v_add_co_ci_u32_e64 v245, null, s9, v1, vcc_lo
	v_add_co_u32 v246, vcc_lo, s10, v0
	s_wait_alu 0xfffd
	v_add_co_ci_u32_e64 v247, null, s11, v1, vcc_lo
	;; [unrolled: 8-line block ×12, first 2 shown]
	v_lshlrev_b64_e32 v[1:2], 1, v[197:198]
	s_delay_alu instid0(VALU_DEP_1) | instskip(SKIP_1) | instid1(VALU_DEP_2)
	v_add_co_u32 v197, vcc_lo, s8, v1
	s_wait_alu 0xfffd
	v_add_co_ci_u32_e64 v198, null, s9, v2, vcc_lo
	v_add_co_u32 v199, vcc_lo, s10, v1
	v_and_b32_e32 v1, 0x3ff, v228
	s_wait_alu 0xfffd
	v_add_co_ci_u32_e64 v200, null, s11, v2, vcc_lo
	s_wait_kmcnt 0x0
	s_lshl_b32 s8, s2, 5
	s_wait_alu 0xfffe
	s_mov_b32 s9, s3
	scratch_store_b32 off, v1, off offset:300 ; 4-byte Folded Spill
	v_dual_mov_b32 v1, 0 :: v_dual_add_nc_u32 v2, s30, v1
	s_wait_alu 0xfffe
	s_mul_u64 s[18:19], s[6:7], s[8:9]
	s_add_nc_u64 s[10:11], s[0:1], 64
	s_wait_alu 0xfffe
	s_lshl_b64 s[18:19], s[18:19], 1
	v_dual_mov_b32 v3, v1 :: v_dual_mov_b32 v202, v1
	s_delay_alu instid0(VALU_DEP_1)
	v_lshlrev_b64_e32 v[158:159], 1, v[2:3]
.LBB97_145:                             ; =>This Inner Loop Header: Depth=1
	scratch_load_b32 v2, off, off           ; 4-byte Folded Reload
	s_add_nc_u64 s[24:25], s[16:17], s[20:21]
                                        ; implicit-def: $vgpr201
                                        ; implicit-def: $vgpr203
	s_wait_alu 0xfffe
	v_cmp_ge_i64_e64 s2, s[24:25], s[4:5]
	s_wait_loadcnt 0x0
	v_add_co_u32 v160, vcc_lo, s16, v2
	s_wait_alu 0xfffd
	v_add_co_ci_u32_e64 v161, null, 0, v202, vcc_lo
	s_and_b32 vcc_lo, exec_lo, s2
	s_mov_b32 s2, -1
	s_wait_alu 0xfffe
	s_cbranch_vccz .LBB97_213
; %bb.146:                              ;   in Loop: Header=BB97_145 Depth=1
	s_load_b32 s2, s[10:11], 0xc
	s_clause 0x1
	scratch_load_b32 v2, off, off offset:296
	scratch_load_b32 v3, off, off offset:300
	v_dual_mov_b32 v204, 0 :: v_dual_mov_b32 v201, 0
	v_mov_b32_e32 v223, 0
	s_wait_kmcnt 0x0
	s_and_b32 s2, s2, 0xffff
	s_wait_loadcnt 0x0
	s_wait_alu 0xfffe
	v_mad_u32_u24 v2, v2, s2, v3
	s_mov_b32 s2, exec_lo
	s_delay_alu instid0(VALU_DEP_1) | instskip(NEXT) | instid1(VALU_DEP_1)
	v_and_b32_e32 v2, 31, v2
	v_add_co_u32 v2, vcc_lo, v160, v2
	s_wait_alu 0xfffd
	v_add_co_ci_u32_e64 v3, null, 0, v161, vcc_lo
	s_delay_alu instid0(VALU_DEP_1)
	v_cmpx_gt_i64_e64 s[4:5], v[2:3]
	s_cbranch_execz .LBB97_148
; %bb.147:                              ;   in Loop: Header=BB97_145 Depth=1
	v_lshlrev_b64_e32 v[2:3], 2, v[2:3]
	s_delay_alu instid0(VALU_DEP_1) | instskip(SKIP_1) | instid1(VALU_DEP_2)
	v_add_co_u32 v4, vcc_lo, s12, v2
	s_wait_alu 0xfffd
	v_add_co_ci_u32_e64 v5, null, s13, v3, vcc_lo
	v_add_co_u32 v2, vcc_lo, s14, v2
	s_wait_alu 0xfffd
	v_add_co_ci_u32_e64 v3, null, s15, v3, vcc_lo
	global_load_b32 v201, v[4:5], off
	global_load_b32 v204, v[2:3], off
.LBB97_148:                             ;   in Loop: Header=BB97_145 Depth=1
	s_wait_alu 0xfffe
	s_or_b32 exec_lo, exec_lo, s2
	v_mov_b32_e32 v32, v1
	v_dual_mov_b32 v2, v1 :: v_dual_mov_b32 v3, v1
	v_dual_mov_b32 v4, v1 :: v_dual_mov_b32 v5, v1
	;; [unrolled: 1-line block ×15, first 2 shown]
	v_mov_b32_e32 v33, v32
	s_delay_alu instid0(VALU_DEP_2) | instskip(NEXT) | instid1(VALU_DEP_3)
	v_mov_b32_e32 v32, v31
	v_mov_b32_e32 v31, v30
	;; [unrolled: 1-line block ×31, first 2 shown]
	s_mov_b32 s2, exec_lo
	v_cmpx_gt_i64_e64 s[4:5], v[160:161]
	s_cbranch_execz .LBB97_150
; %bb.149:                              ;   in Loop: Header=BB97_145 Depth=1
	v_add_co_u32 v2, vcc_lo, v164, v158
	s_wait_alu 0xfffd
	v_add_co_ci_u32_e64 v3, null, v165, v159, vcc_lo
	v_dual_mov_b32 v6, v1 :: v_dual_mov_b32 v7, v1
	v_dual_mov_b32 v8, v1 :: v_dual_mov_b32 v9, v1
	global_load_u16 v4, v[2:3], off
	v_add_co_u32 v2, vcc_lo, v166, v158
	s_wait_alu 0xfffd
	v_add_co_ci_u32_e64 v3, null, v167, v159, vcc_lo
	v_dual_mov_b32 v10, v1 :: v_dual_mov_b32 v11, v1
	v_dual_mov_b32 v12, v1 :: v_dual_mov_b32 v13, v1
	global_load_u16 v203, v[2:3], off
	v_dual_mov_b32 v14, v1 :: v_dual_mov_b32 v15, v1
	v_dual_mov_b32 v16, v1 :: v_dual_mov_b32 v17, v1
	;; [unrolled: 1-line block ×10, first 2 shown]
	v_mov_b32_e32 v3, v1
	s_wait_loadcnt 0x1
	v_dual_mov_b32 v5, v1 :: v_dual_lshlrev_b32 v2, 16, v4
	s_wait_loadcnt 0x0
	v_dual_mov_b32 v4, v1 :: v_dual_lshlrev_b32 v223, 16, v203
.LBB97_150:                             ;   in Loop: Header=BB97_145 Depth=1
	s_wait_alu 0xfffe
	s_or_b32 exec_lo, exec_lo, s2
	v_add_co_u32 v206, vcc_lo, v160, 1
	s_wait_alu 0xfffd
	v_add_co_ci_u32_e64 v207, null, 0, v161, vcc_lo
	v_dual_mov_b32 v224, 0 :: v_dual_mov_b32 v225, 0
	s_mov_b32 s2, exec_lo
	s_delay_alu instid0(VALU_DEP_2)
	v_cmpx_gt_i64_e64 s[4:5], v[206:207]
	s_cbranch_execz .LBB97_152
; %bb.151:                              ;   in Loop: Header=BB97_145 Depth=1
	v_add_co_u32 v206, vcc_lo, v199, v158
	s_wait_alu 0xfffd
	v_add_co_ci_u32_e64 v207, null, v200, v159, vcc_lo
	v_add_co_u32 v208, vcc_lo, v197, v158
	s_wait_alu 0xfffd
	v_add_co_ci_u32_e64 v209, null, v198, v159, vcc_lo
	global_load_u16 v3, v[206:207], off
	global_load_u16 v203, v[208:209], off
	s_wait_loadcnt 0x1
	v_lshlrev_b32_e32 v225, 16, v3
	s_wait_loadcnt 0x0
	v_lshlrev_b32_e32 v3, 16, v203
.LBB97_152:                             ;   in Loop: Header=BB97_145 Depth=1
	s_wait_alu 0xfffe
	s_or_b32 exec_lo, exec_lo, s2
	v_add_co_u32 v206, vcc_lo, v160, 2
	s_wait_alu 0xfffd
	v_add_co_ci_u32_e64 v207, null, 0, v161, vcc_lo
	s_mov_b32 s2, exec_lo
	v_cmpx_gt_i64_e64 s[4:5], v[206:207]
	s_cbranch_execz .LBB97_154
; %bb.153:                              ;   in Loop: Header=BB97_145 Depth=1
	v_add_co_u32 v206, vcc_lo, v195, v158
	s_wait_alu 0xfffd
	v_add_co_ci_u32_e64 v207, null, v196, v159, vcc_lo
	v_add_co_u32 v208, vcc_lo, v193, v158
	s_wait_alu 0xfffd
	v_add_co_ci_u32_e64 v209, null, v194, v159, vcc_lo
	global_load_u16 v4, v[206:207], off
	global_load_u16 v203, v[208:209], off
	s_wait_loadcnt 0x1
	v_lshlrev_b32_e32 v224, 16, v4
	s_wait_loadcnt 0x0
	v_lshlrev_b32_e32 v4, 16, v203
.LBB97_154:                             ;   in Loop: Header=BB97_145 Depth=1
	s_wait_alu 0xfffe
	s_or_b32 exec_lo, exec_lo, s2
	v_add_co_u32 v206, vcc_lo, v160, 3
	s_wait_alu 0xfffd
	v_add_co_ci_u32_e64 v207, null, 0, v161, vcc_lo
	v_dual_mov_b32 v226, 0 :: v_dual_mov_b32 v227, 0
	s_mov_b32 s2, exec_lo
	s_delay_alu instid0(VALU_DEP_2)
	v_cmpx_gt_i64_e64 s[4:5], v[206:207]
	s_cbranch_execz .LBB97_156
; %bb.155:                              ;   in Loop: Header=BB97_145 Depth=1
	v_add_co_u32 v206, vcc_lo, v191, v158
	s_wait_alu 0xfffd
	v_add_co_ci_u32_e64 v207, null, v192, v159, vcc_lo
	v_add_co_u32 v208, vcc_lo, v189, v158
	s_wait_alu 0xfffd
	v_add_co_ci_u32_e64 v209, null, v190, v159, vcc_lo
	global_load_u16 v5, v[206:207], off
	global_load_u16 v203, v[208:209], off
	s_wait_loadcnt 0x1
	v_lshlrev_b32_e32 v227, 16, v5
	s_wait_loadcnt 0x0
	v_lshlrev_b32_e32 v5, 16, v203
.LBB97_156:                             ;   in Loop: Header=BB97_145 Depth=1
	s_wait_alu 0xfffe
	s_or_b32 exec_lo, exec_lo, s2
	v_add_co_u32 v206, vcc_lo, v160, 4
	s_wait_alu 0xfffd
	v_add_co_ci_u32_e64 v207, null, 0, v161, vcc_lo
	s_mov_b32 s2, exec_lo
	v_cmpx_gt_i64_e64 s[4:5], v[206:207]
	s_cbranch_execz .LBB97_158
; %bb.157:                              ;   in Loop: Header=BB97_145 Depth=1
	v_add_co_u32 v206, vcc_lo, v187, v158
	s_wait_alu 0xfffd
	v_add_co_ci_u32_e64 v207, null, v188, v159, vcc_lo
	v_add_co_u32 v208, vcc_lo, v185, v158
	s_wait_alu 0xfffd
	v_add_co_ci_u32_e64 v209, null, v186, v159, vcc_lo
	global_load_u16 v6, v[206:207], off
	global_load_u16 v203, v[208:209], off
	s_wait_loadcnt 0x1
	v_lshlrev_b32_e32 v226, 16, v6
	s_wait_loadcnt 0x0
	v_lshlrev_b32_e32 v6, 16, v203
.LBB97_158:                             ;   in Loop: Header=BB97_145 Depth=1
	;; [unrolled: 46-line block ×6, first 2 shown]
	s_wait_alu 0xfffe
	s_or_b32 exec_lo, exec_lo, s2
	v_add_co_u32 v206, vcc_lo, v160, 13
	s_wait_alu 0xfffd
	v_add_co_ci_u32_e64 v207, null, 0, v161, vcc_lo
	v_dual_mov_b32 v236, 0 :: v_dual_mov_b32 v237, 0
	s_mov_b32 s2, exec_lo
	s_delay_alu instid0(VALU_DEP_2)
	v_cmpx_gt_i64_e64 s[4:5], v[206:207]
	s_cbranch_execz .LBB97_176
; %bb.175:                              ;   in Loop: Header=BB97_145 Depth=1
	v_add_co_u32 v206, vcc_lo, v242, v158
	s_wait_alu 0xfffd
	v_add_co_ci_u32_e64 v207, null, v243, v159, vcc_lo
	v_add_co_u32 v208, vcc_lo, v240, v158
	s_wait_alu 0xfffd
	v_add_co_ci_u32_e64 v209, null, v241, v159, vcc_lo
	global_load_u16 v15, v[206:207], off
	global_load_u16 v203, v[208:209], off
	s_wait_loadcnt 0x1
	v_lshlrev_b32_e32 v237, 16, v15
	s_wait_loadcnt 0x0
	v_lshlrev_b32_e32 v15, 16, v203
.LBB97_176:                             ;   in Loop: Header=BB97_145 Depth=1
	s_wait_alu 0xfffe
	s_or_b32 exec_lo, exec_lo, s2
	v_add_co_u32 v206, vcc_lo, v160, 14
	s_wait_alu 0xfffd
	v_add_co_ci_u32_e64 v207, null, 0, v161, vcc_lo
	s_mov_b32 s2, exec_lo
	v_cmpx_gt_i64_e64 s[4:5], v[206:207]
	s_cbranch_execz .LBB97_178
; %bb.177:                              ;   in Loop: Header=BB97_145 Depth=1
	scratch_load_b32 v16, off, off offset:284 ; 4-byte Folded Reload
	s_wait_loadcnt 0x0
	v_add_co_u32 v206, vcc_lo, v16, v158
	scratch_load_b32 v16, off, off offset:288 ; 4-byte Folded Reload
	s_wait_loadcnt 0x0
	s_wait_alu 0xfffd
	v_add_co_ci_u32_e64 v207, null, v16, v159, vcc_lo
	scratch_load_b32 v16, off, off offset:276 ; 4-byte Folded Reload
	s_wait_loadcnt 0x0
	v_add_co_u32 v208, vcc_lo, v16, v158
	scratch_load_b32 v16, off, off offset:280 ; 4-byte Folded Reload
	s_wait_loadcnt 0x0
	s_wait_alu 0xfffd
	v_add_co_ci_u32_e64 v209, null, v16, v159, vcc_lo
	global_load_u16 v16, v[206:207], off
	global_load_u16 v203, v[208:209], off
	s_wait_loadcnt 0x1
	v_lshlrev_b32_e32 v236, 16, v16
	s_wait_loadcnt 0x0
	v_lshlrev_b32_e32 v16, 16, v203
.LBB97_178:                             ;   in Loop: Header=BB97_145 Depth=1
	s_wait_alu 0xfffe
	s_or_b32 exec_lo, exec_lo, s2
	v_add_co_u32 v206, vcc_lo, v160, 15
	s_wait_alu 0xfffd
	v_add_co_ci_u32_e64 v207, null, 0, v161, vcc_lo
	v_mov_b32_e32 v239, 0
	v_mov_b32_e32 v203, 0
	s_mov_b32 s2, exec_lo
	scratch_store_b32 off, v203, off offset:292 ; 4-byte Folded Spill
	v_cmpx_gt_i64_e64 s[4:5], v[206:207]
	s_cbranch_execz .LBB97_180
; %bb.179:                              ;   in Loop: Header=BB97_145 Depth=1
	scratch_load_b32 v17, off, off offset:268 ; 4-byte Folded Reload
	s_wait_loadcnt 0x0
	v_add_co_u32 v206, vcc_lo, v17, v158
	scratch_load_b32 v17, off, off offset:272 ; 4-byte Folded Reload
	s_wait_loadcnt 0x0
	s_wait_alu 0xfffd
	v_add_co_ci_u32_e64 v207, null, v17, v159, vcc_lo
	scratch_load_b32 v17, off, off offset:260 ; 4-byte Folded Reload
	s_wait_loadcnt 0x0
	v_add_co_u32 v208, vcc_lo, v17, v158
	scratch_load_b32 v17, off, off offset:264 ; 4-byte Folded Reload
	s_wait_loadcnt 0x0
	s_wait_alu 0xfffd
	v_add_co_ci_u32_e64 v209, null, v17, v159, vcc_lo
	global_load_u16 v17, v[206:207], off
	global_load_u16 v203, v[208:209], off
	s_wait_loadcnt 0x1
	v_lshlrev_b32_e32 v17, 16, v17
	scratch_store_b32 off, v17, off offset:292 ; 4-byte Folded Spill
	s_wait_loadcnt 0x0
	v_lshlrev_b32_e32 v17, 16, v203
.LBB97_180:                             ;   in Loop: Header=BB97_145 Depth=1
	s_wait_alu 0xfffe
	s_or_b32 exec_lo, exec_lo, s2
	v_add_co_u32 v206, vcc_lo, v160, 16
	s_wait_alu 0xfffd
	v_add_co_ci_u32_e64 v207, null, 0, v161, vcc_lo
	s_mov_b32 s2, exec_lo
	v_cmpx_gt_i64_e64 s[4:5], v[206:207]
	s_cbranch_execz .LBB97_182
; %bb.181:                              ;   in Loop: Header=BB97_145 Depth=1
	scratch_load_b32 v18, off, off offset:252 ; 4-byte Folded Reload
	s_wait_loadcnt 0x0
	v_add_co_u32 v206, vcc_lo, v18, v158
	scratch_load_b32 v18, off, off offset:256 ; 4-byte Folded Reload
	s_wait_loadcnt 0x0
	s_wait_alu 0xfffd
	v_add_co_ci_u32_e64 v207, null, v18, v159, vcc_lo
	scratch_load_b32 v18, off, off offset:244 ; 4-byte Folded Reload
	s_wait_loadcnt 0x0
	v_add_co_u32 v208, vcc_lo, v18, v158
	scratch_load_b32 v18, off, off offset:248 ; 4-byte Folded Reload
	s_wait_loadcnt 0x0
	s_wait_alu 0xfffd
	v_add_co_ci_u32_e64 v209, null, v18, v159, vcc_lo
	global_load_u16 v18, v[206:207], off
	global_load_u16 v203, v[208:209], off
	s_wait_loadcnt 0x1
	v_lshlrev_b32_e32 v239, 16, v18
	s_wait_loadcnt 0x0
	v_lshlrev_b32_e32 v18, 16, v203
.LBB97_182:                             ;   in Loop: Header=BB97_145 Depth=1
	s_wait_alu 0xfffe
	s_or_b32 exec_lo, exec_lo, s2
	v_add_co_u32 v206, vcc_lo, v160, 17
	s_wait_alu 0xfffd
	v_add_co_ci_u32_e64 v207, null, 0, v161, vcc_lo
	v_mov_b32_e32 v203, 0
	s_delay_alu instid0(VALU_DEP_2)
	v_cmp_gt_i64_e32 vcc_lo, s[4:5], v[206:207]
	v_mov_b32_e32 v206, 0
	s_and_saveexec_b32 s2, vcc_lo
	s_cbranch_execz .LBB97_184
; %bb.183:                              ;   in Loop: Header=BB97_145 Depth=1
	scratch_load_b32 v19, off, off offset:236 ; 4-byte Folded Reload
	s_wait_loadcnt 0x0
	v_add_co_u32 v206, vcc_lo, v19, v158
	scratch_load_b32 v19, off, off offset:240 ; 4-byte Folded Reload
	s_wait_loadcnt 0x0
	s_wait_alu 0xfffd
	v_add_co_ci_u32_e64 v207, null, v19, v159, vcc_lo
	scratch_load_b32 v19, off, off offset:228 ; 4-byte Folded Reload
	s_wait_loadcnt 0x0
	v_add_co_u32 v208, vcc_lo, v19, v158
	scratch_load_b32 v19, off, off offset:232 ; 4-byte Folded Reload
	s_wait_loadcnt 0x0
	s_wait_alu 0xfffd
	v_add_co_ci_u32_e64 v209, null, v19, v159, vcc_lo
	global_load_u16 v19, v[206:207], off
	global_load_u16 v207, v[208:209], off
	s_wait_loadcnt 0x1
	v_lshlrev_b32_e32 v206, 16, v19
	s_wait_loadcnt 0x0
	v_lshlrev_b32_e32 v19, 16, v207
.LBB97_184:                             ;   in Loop: Header=BB97_145 Depth=1
	s_wait_alu 0xfffe
	s_or_b32 exec_lo, exec_lo, s2
	v_add_co_u32 v207, vcc_lo, v160, 18
	s_wait_alu 0xfffd
	v_add_co_ci_u32_e64 v208, null, 0, v161, vcc_lo
	s_mov_b32 s2, exec_lo
	v_cmpx_gt_i64_e64 s[4:5], v[207:208]
	s_cbranch_execz .LBB97_186
; %bb.185:                              ;   in Loop: Header=BB97_145 Depth=1
	scratch_load_b32 v20, off, off offset:220 ; 4-byte Folded Reload
	s_wait_loadcnt 0x0
	v_add_co_u32 v207, vcc_lo, v20, v158
	scratch_load_b32 v20, off, off offset:224 ; 4-byte Folded Reload
	s_wait_loadcnt 0x0
	s_wait_alu 0xfffd
	v_add_co_ci_u32_e64 v208, null, v20, v159, vcc_lo
	scratch_load_b32 v20, off, off offset:212 ; 4-byte Folded Reload
	s_wait_loadcnt 0x0
	v_add_co_u32 v209, vcc_lo, v20, v158
	scratch_load_b32 v20, off, off offset:216 ; 4-byte Folded Reload
	s_wait_loadcnt 0x0
	s_wait_alu 0xfffd
	v_add_co_ci_u32_e64 v210, null, v20, v159, vcc_lo
	global_load_u16 v20, v[207:208], off
	global_load_u16 v207, v[209:210], off
	s_wait_loadcnt 0x1
	v_lshlrev_b32_e32 v203, 16, v20
	s_wait_loadcnt 0x0
	v_lshlrev_b32_e32 v20, 16, v207
.LBB97_186:                             ;   in Loop: Header=BB97_145 Depth=1
	s_wait_alu 0xfffe
	s_or_b32 exec_lo, exec_lo, s2
	v_add_co_u32 v207, vcc_lo, v160, 19
	s_wait_alu 0xfffd
	v_add_co_ci_u32_e64 v208, null, 0, v161, vcc_lo
	s_delay_alu instid0(VALU_DEP_1)
	v_cmp_gt_i64_e32 vcc_lo, s[4:5], v[207:208]
	v_dual_mov_b32 v207, 0 :: v_dual_mov_b32 v208, 0
	s_and_saveexec_b32 s2, vcc_lo
	s_cbranch_execz .LBB97_188
; %bb.187:                              ;   in Loop: Header=BB97_145 Depth=1
	scratch_load_b32 v21, off, off offset:204 ; 4-byte Folded Reload
	s_wait_loadcnt 0x0
	v_add_co_u32 v208, vcc_lo, v21, v158
	scratch_load_b32 v21, off, off offset:208 ; 4-byte Folded Reload
	s_wait_loadcnt 0x0
	s_wait_alu 0xfffd
	v_add_co_ci_u32_e64 v209, null, v21, v159, vcc_lo
	scratch_load_b32 v21, off, off offset:196 ; 4-byte Folded Reload
	s_wait_loadcnt 0x0
	v_add_co_u32 v210, vcc_lo, v21, v158
	scratch_load_b32 v21, off, off offset:200 ; 4-byte Folded Reload
	s_wait_loadcnt 0x0
	s_wait_alu 0xfffd
	v_add_co_ci_u32_e64 v211, null, v21, v159, vcc_lo
	global_load_u16 v21, v[208:209], off
	global_load_u16 v209, v[210:211], off
	s_wait_loadcnt 0x1
	v_lshlrev_b32_e32 v208, 16, v21
	s_wait_loadcnt 0x0
	v_lshlrev_b32_e32 v21, 16, v209
.LBB97_188:                             ;   in Loop: Header=BB97_145 Depth=1
	s_wait_alu 0xfffe
	s_or_b32 exec_lo, exec_lo, s2
	v_add_co_u32 v209, vcc_lo, v160, 20
	s_wait_alu 0xfffd
	v_add_co_ci_u32_e64 v210, null, 0, v161, vcc_lo
	s_mov_b32 s2, exec_lo
	v_cmpx_gt_i64_e64 s[4:5], v[209:210]
	s_cbranch_execz .LBB97_190
; %bb.189:                              ;   in Loop: Header=BB97_145 Depth=1
	scratch_load_b32 v22, off, off offset:188 ; 4-byte Folded Reload
	s_wait_loadcnt 0x0
	v_add_co_u32 v209, vcc_lo, v22, v158
	scratch_load_b32 v22, off, off offset:192 ; 4-byte Folded Reload
	s_wait_loadcnt 0x0
	s_wait_alu 0xfffd
	v_add_co_ci_u32_e64 v210, null, v22, v159, vcc_lo
	scratch_load_b32 v22, off, off offset:180 ; 4-byte Folded Reload
	s_wait_loadcnt 0x0
	v_add_co_u32 v211, vcc_lo, v22, v158
	scratch_load_b32 v22, off, off offset:184 ; 4-byte Folded Reload
	s_wait_loadcnt 0x0
	s_wait_alu 0xfffd
	v_add_co_ci_u32_e64 v212, null, v22, v159, vcc_lo
	global_load_u16 v22, v[209:210], off
	global_load_u16 v209, v[211:212], off
	s_wait_loadcnt 0x1
	v_lshlrev_b32_e32 v207, 16, v22
	s_wait_loadcnt 0x0
	v_lshlrev_b32_e32 v22, 16, v209
.LBB97_190:                             ;   in Loop: Header=BB97_145 Depth=1
	s_wait_alu 0xfffe
	s_or_b32 exec_lo, exec_lo, s2
	v_add_co_u32 v209, vcc_lo, v160, 21
	s_wait_alu 0xfffd
	v_add_co_ci_u32_e64 v210, null, 0, v161, vcc_lo
	s_delay_alu instid0(VALU_DEP_1)
	v_cmp_gt_i64_e32 vcc_lo, s[4:5], v[209:210]
	v_dual_mov_b32 v209, 0 :: v_dual_mov_b32 v210, 0
	s_and_saveexec_b32 s2, vcc_lo
	s_cbranch_execz .LBB97_192
; %bb.191:                              ;   in Loop: Header=BB97_145 Depth=1
	scratch_load_b32 v23, off, off offset:172 ; 4-byte Folded Reload
	s_wait_loadcnt 0x0
	v_add_co_u32 v210, vcc_lo, v23, v158
	scratch_load_b32 v23, off, off offset:176 ; 4-byte Folded Reload
	s_wait_loadcnt 0x0
	s_wait_alu 0xfffd
	v_add_co_ci_u32_e64 v211, null, v23, v159, vcc_lo
	scratch_load_b32 v23, off, off offset:164 ; 4-byte Folded Reload
	s_wait_loadcnt 0x0
	v_add_co_u32 v212, vcc_lo, v23, v158
	scratch_load_b32 v23, off, off offset:168 ; 4-byte Folded Reload
	s_wait_loadcnt 0x0
	s_wait_alu 0xfffd
	v_add_co_ci_u32_e64 v213, null, v23, v159, vcc_lo
	global_load_u16 v23, v[210:211], off
	global_load_u16 v211, v[212:213], off
	s_wait_loadcnt 0x1
	v_lshlrev_b32_e32 v210, 16, v23
	s_wait_loadcnt 0x0
	v_lshlrev_b32_e32 v23, 16, v211
.LBB97_192:                             ;   in Loop: Header=BB97_145 Depth=1
	s_wait_alu 0xfffe
	s_or_b32 exec_lo, exec_lo, s2
	v_add_co_u32 v211, vcc_lo, v160, 22
	s_wait_alu 0xfffd
	v_add_co_ci_u32_e64 v212, null, 0, v161, vcc_lo
	s_mov_b32 s2, exec_lo
	v_cmpx_gt_i64_e64 s[4:5], v[211:212]
	s_cbranch_execz .LBB97_194
; %bb.193:                              ;   in Loop: Header=BB97_145 Depth=1
	scratch_load_b32 v24, off, off offset:156 ; 4-byte Folded Reload
	s_wait_loadcnt 0x0
	v_add_co_u32 v211, vcc_lo, v24, v158
	scratch_load_b32 v24, off, off offset:160 ; 4-byte Folded Reload
	s_wait_loadcnt 0x0
	s_wait_alu 0xfffd
	v_add_co_ci_u32_e64 v212, null, v24, v159, vcc_lo
	scratch_load_b32 v24, off, off offset:148 ; 4-byte Folded Reload
	s_wait_loadcnt 0x0
	v_add_co_u32 v213, vcc_lo, v24, v158
	scratch_load_b32 v24, off, off offset:152 ; 4-byte Folded Reload
	s_wait_loadcnt 0x0
	s_wait_alu 0xfffd
	v_add_co_ci_u32_e64 v214, null, v24, v159, vcc_lo
	global_load_u16 v24, v[211:212], off
	global_load_u16 v211, v[213:214], off
	s_wait_loadcnt 0x1
	v_lshlrev_b32_e32 v209, 16, v24
	s_wait_loadcnt 0x0
	v_lshlrev_b32_e32 v24, 16, v211
.LBB97_194:                             ;   in Loop: Header=BB97_145 Depth=1
	s_wait_alu 0xfffe
	s_or_b32 exec_lo, exec_lo, s2
	v_add_co_u32 v211, vcc_lo, v160, 23
	s_wait_alu 0xfffd
	v_add_co_ci_u32_e64 v212, null, 0, v161, vcc_lo
	s_delay_alu instid0(VALU_DEP_1)
	v_cmp_gt_i64_e32 vcc_lo, s[4:5], v[211:212]
	v_dual_mov_b32 v211, 0 :: v_dual_mov_b32 v212, 0
	s_and_saveexec_b32 s2, vcc_lo
	s_cbranch_execz .LBB97_196
; %bb.195:                              ;   in Loop: Header=BB97_145 Depth=1
	scratch_load_b32 v25, off, off offset:140 ; 4-byte Folded Reload
	s_wait_loadcnt 0x0
	v_add_co_u32 v212, vcc_lo, v25, v158
	scratch_load_b32 v25, off, off offset:144 ; 4-byte Folded Reload
	s_wait_loadcnt 0x0
	s_wait_alu 0xfffd
	v_add_co_ci_u32_e64 v213, null, v25, v159, vcc_lo
	scratch_load_b32 v25, off, off offset:132 ; 4-byte Folded Reload
	s_wait_loadcnt 0x0
	v_add_co_u32 v214, vcc_lo, v25, v158
	scratch_load_b32 v25, off, off offset:136 ; 4-byte Folded Reload
	s_wait_loadcnt 0x0
	s_wait_alu 0xfffd
	v_add_co_ci_u32_e64 v215, null, v25, v159, vcc_lo
	global_load_u16 v25, v[212:213], off
	global_load_u16 v213, v[214:215], off
	s_wait_loadcnt 0x1
	v_lshlrev_b32_e32 v212, 16, v25
	s_wait_loadcnt 0x0
	v_lshlrev_b32_e32 v25, 16, v213
.LBB97_196:                             ;   in Loop: Header=BB97_145 Depth=1
	s_wait_alu 0xfffe
	s_or_b32 exec_lo, exec_lo, s2
	v_add_co_u32 v213, vcc_lo, v160, 24
	s_wait_alu 0xfffd
	v_add_co_ci_u32_e64 v214, null, 0, v161, vcc_lo
	s_mov_b32 s2, exec_lo
	v_cmpx_gt_i64_e64 s[4:5], v[213:214]
	s_cbranch_execz .LBB97_198
; %bb.197:                              ;   in Loop: Header=BB97_145 Depth=1
	scratch_load_b32 v26, off, off offset:124 ; 4-byte Folded Reload
	s_wait_loadcnt 0x0
	v_add_co_u32 v213, vcc_lo, v26, v158
	scratch_load_b32 v26, off, off offset:128 ; 4-byte Folded Reload
	s_wait_loadcnt 0x0
	s_wait_alu 0xfffd
	v_add_co_ci_u32_e64 v214, null, v26, v159, vcc_lo
	scratch_load_b32 v26, off, off offset:116 ; 4-byte Folded Reload
	s_wait_loadcnt 0x0
	v_add_co_u32 v215, vcc_lo, v26, v158
	scratch_load_b32 v26, off, off offset:120 ; 4-byte Folded Reload
	s_wait_loadcnt 0x0
	s_wait_alu 0xfffd
	v_add_co_ci_u32_e64 v216, null, v26, v159, vcc_lo
	global_load_u16 v26, v[213:214], off
	global_load_u16 v213, v[215:216], off
	s_wait_loadcnt 0x1
	v_lshlrev_b32_e32 v211, 16, v26
	s_wait_loadcnt 0x0
	v_lshlrev_b32_e32 v26, 16, v213
.LBB97_198:                             ;   in Loop: Header=BB97_145 Depth=1
	s_wait_alu 0xfffe
	s_or_b32 exec_lo, exec_lo, s2
	v_add_co_u32 v213, vcc_lo, v160, 25
	s_wait_alu 0xfffd
	v_add_co_ci_u32_e64 v214, null, 0, v161, vcc_lo
	s_delay_alu instid0(VALU_DEP_1)
	v_cmp_gt_i64_e32 vcc_lo, s[4:5], v[213:214]
	v_dual_mov_b32 v213, 0 :: v_dual_mov_b32 v214, 0
	s_and_saveexec_b32 s2, vcc_lo
	s_cbranch_execz .LBB97_200
; %bb.199:                              ;   in Loop: Header=BB97_145 Depth=1
	scratch_load_b32 v27, off, off offset:108 ; 4-byte Folded Reload
	s_wait_loadcnt 0x0
	v_add_co_u32 v214, vcc_lo, v27, v158
	scratch_load_b32 v27, off, off offset:112 ; 4-byte Folded Reload
	s_wait_loadcnt 0x0
	s_wait_alu 0xfffd
	v_add_co_ci_u32_e64 v215, null, v27, v159, vcc_lo
	scratch_load_b32 v27, off, off offset:100 ; 4-byte Folded Reload
	s_wait_loadcnt 0x0
	v_add_co_u32 v216, vcc_lo, v27, v158
	scratch_load_b32 v27, off, off offset:104 ; 4-byte Folded Reload
	s_wait_loadcnt 0x0
	s_wait_alu 0xfffd
	v_add_co_ci_u32_e64 v217, null, v27, v159, vcc_lo
	global_load_u16 v27, v[214:215], off
	global_load_u16 v215, v[216:217], off
	s_wait_loadcnt 0x1
	v_lshlrev_b32_e32 v214, 16, v27
	s_wait_loadcnt 0x0
	v_lshlrev_b32_e32 v27, 16, v215
.LBB97_200:                             ;   in Loop: Header=BB97_145 Depth=1
	s_wait_alu 0xfffe
	s_or_b32 exec_lo, exec_lo, s2
	v_add_co_u32 v215, vcc_lo, v160, 26
	s_wait_alu 0xfffd
	v_add_co_ci_u32_e64 v216, null, 0, v161, vcc_lo
	s_mov_b32 s2, exec_lo
	v_cmpx_gt_i64_e64 s[4:5], v[215:216]
	s_cbranch_execz .LBB97_202
; %bb.201:                              ;   in Loop: Header=BB97_145 Depth=1
	scratch_load_b32 v28, off, off offset:92 ; 4-byte Folded Reload
	s_wait_loadcnt 0x0
	v_add_co_u32 v215, vcc_lo, v28, v158
	scratch_load_b32 v28, off, off offset:96 ; 4-byte Folded Reload
	s_wait_loadcnt 0x0
	s_wait_alu 0xfffd
	v_add_co_ci_u32_e64 v216, null, v28, v159, vcc_lo
	scratch_load_b32 v28, off, off offset:84 ; 4-byte Folded Reload
	s_wait_loadcnt 0x0
	v_add_co_u32 v217, vcc_lo, v28, v158
	scratch_load_b32 v28, off, off offset:88 ; 4-byte Folded Reload
	s_wait_loadcnt 0x0
	s_wait_alu 0xfffd
	v_add_co_ci_u32_e64 v218, null, v28, v159, vcc_lo
	global_load_u16 v28, v[215:216], off
	global_load_u16 v215, v[217:218], off
	s_wait_loadcnt 0x1
	v_lshlrev_b32_e32 v213, 16, v28
	s_wait_loadcnt 0x0
	v_lshlrev_b32_e32 v28, 16, v215
.LBB97_202:                             ;   in Loop: Header=BB97_145 Depth=1
	s_wait_alu 0xfffe
	s_or_b32 exec_lo, exec_lo, s2
	v_add_co_u32 v215, vcc_lo, v160, 27
	s_wait_alu 0xfffd
	v_add_co_ci_u32_e64 v216, null, 0, v161, vcc_lo
	s_delay_alu instid0(VALU_DEP_1)
	v_cmp_gt_i64_e32 vcc_lo, s[4:5], v[215:216]
	v_dual_mov_b32 v215, 0 :: v_dual_mov_b32 v216, 0
	s_and_saveexec_b32 s2, vcc_lo
	s_cbranch_execz .LBB97_204
; %bb.203:                              ;   in Loop: Header=BB97_145 Depth=1
	scratch_load_b32 v29, off, off offset:76 ; 4-byte Folded Reload
	s_wait_loadcnt 0x0
	v_add_co_u32 v216, vcc_lo, v29, v158
	scratch_load_b32 v29, off, off offset:80 ; 4-byte Folded Reload
	s_wait_loadcnt 0x0
	s_wait_alu 0xfffd
	v_add_co_ci_u32_e64 v217, null, v29, v159, vcc_lo
	scratch_load_b32 v29, off, off offset:68 ; 4-byte Folded Reload
	s_wait_loadcnt 0x0
	v_add_co_u32 v218, vcc_lo, v29, v158
	scratch_load_b32 v29, off, off offset:72 ; 4-byte Folded Reload
	s_wait_loadcnt 0x0
	s_wait_alu 0xfffd
	v_add_co_ci_u32_e64 v219, null, v29, v159, vcc_lo
	global_load_u16 v29, v[216:217], off
	global_load_u16 v217, v[218:219], off
	s_wait_loadcnt 0x1
	v_lshlrev_b32_e32 v216, 16, v29
	s_wait_loadcnt 0x0
	v_lshlrev_b32_e32 v29, 16, v217
.LBB97_204:                             ;   in Loop: Header=BB97_145 Depth=1
	s_wait_alu 0xfffe
	s_or_b32 exec_lo, exec_lo, s2
	v_add_co_u32 v217, vcc_lo, v160, 28
	s_wait_alu 0xfffd
	v_add_co_ci_u32_e64 v218, null, 0, v161, vcc_lo
	s_mov_b32 s2, exec_lo
	v_cmpx_gt_i64_e64 s[4:5], v[217:218]
	s_cbranch_execz .LBB97_206
; %bb.205:                              ;   in Loop: Header=BB97_145 Depth=1
	scratch_load_b32 v30, off, off offset:60 ; 4-byte Folded Reload
	s_wait_loadcnt 0x0
	v_add_co_u32 v217, vcc_lo, v30, v158
	scratch_load_b32 v30, off, off offset:64 ; 4-byte Folded Reload
	s_wait_loadcnt 0x0
	s_wait_alu 0xfffd
	v_add_co_ci_u32_e64 v218, null, v30, v159, vcc_lo
	scratch_load_b32 v30, off, off offset:52 ; 4-byte Folded Reload
	s_wait_loadcnt 0x0
	v_add_co_u32 v219, vcc_lo, v30, v158
	scratch_load_b32 v30, off, off offset:56 ; 4-byte Folded Reload
	s_wait_loadcnt 0x0
	s_wait_alu 0xfffd
	v_add_co_ci_u32_e64 v220, null, v30, v159, vcc_lo
	global_load_u16 v30, v[217:218], off
	global_load_u16 v217, v[219:220], off
	s_wait_loadcnt 0x1
	v_lshlrev_b32_e32 v215, 16, v30
	s_wait_loadcnt 0x0
	v_lshlrev_b32_e32 v30, 16, v217
.LBB97_206:                             ;   in Loop: Header=BB97_145 Depth=1
	s_wait_alu 0xfffe
	s_or_b32 exec_lo, exec_lo, s2
	v_add_co_u32 v217, vcc_lo, v160, 29
	s_wait_alu 0xfffd
	v_add_co_ci_u32_e64 v218, null, 0, v161, vcc_lo
	s_delay_alu instid0(VALU_DEP_1)
	v_cmp_gt_i64_e32 vcc_lo, s[4:5], v[217:218]
	v_dual_mov_b32 v217, 0 :: v_dual_mov_b32 v218, 0
	s_and_saveexec_b32 s2, vcc_lo
	s_cbranch_execz .LBB97_208
; %bb.207:                              ;   in Loop: Header=BB97_145 Depth=1
	scratch_load_b32 v31, off, off offset:44 ; 4-byte Folded Reload
	s_wait_loadcnt 0x0
	v_add_co_u32 v218, vcc_lo, v31, v158
	scratch_load_b32 v31, off, off offset:48 ; 4-byte Folded Reload
	s_wait_loadcnt 0x0
	s_wait_alu 0xfffd
	v_add_co_ci_u32_e64 v219, null, v31, v159, vcc_lo
	scratch_load_b32 v31, off, off offset:36 ; 4-byte Folded Reload
	s_wait_loadcnt 0x0
	v_add_co_u32 v220, vcc_lo, v31, v158
	scratch_load_b32 v31, off, off offset:40 ; 4-byte Folded Reload
	s_wait_loadcnt 0x0
	s_wait_alu 0xfffd
	v_add_co_ci_u32_e64 v221, null, v31, v159, vcc_lo
	global_load_u16 v31, v[218:219], off
	global_load_u16 v219, v[220:221], off
	s_wait_loadcnt 0x1
	v_lshlrev_b32_e32 v218, 16, v31
	s_wait_loadcnt 0x0
	v_lshlrev_b32_e32 v31, 16, v219
.LBB97_208:                             ;   in Loop: Header=BB97_145 Depth=1
	s_wait_alu 0xfffe
	s_or_b32 exec_lo, exec_lo, s2
	v_add_co_u32 v219, vcc_lo, v160, 30
	s_wait_alu 0xfffd
	v_add_co_ci_u32_e64 v220, null, 0, v161, vcc_lo
	s_mov_b32 s2, exec_lo
	v_cmpx_gt_i64_e64 s[4:5], v[219:220]
	s_cbranch_execz .LBB97_210
; %bb.209:                              ;   in Loop: Header=BB97_145 Depth=1
	scratch_load_b32 v32, off, off offset:28 ; 4-byte Folded Reload
	s_wait_loadcnt 0x0
	v_add_co_u32 v219, vcc_lo, v32, v158
	scratch_load_b32 v32, off, off offset:32 ; 4-byte Folded Reload
	s_wait_loadcnt 0x0
	s_wait_alu 0xfffd
	v_add_co_ci_u32_e64 v220, null, v32, v159, vcc_lo
	scratch_load_b32 v32, off, off offset:20 ; 4-byte Folded Reload
	s_wait_loadcnt 0x0
	v_add_co_u32 v221, vcc_lo, v32, v158
	scratch_load_b32 v32, off, off offset:24 ; 4-byte Folded Reload
	s_wait_loadcnt 0x0
	s_wait_alu 0xfffd
	v_add_co_ci_u32_e64 v222, null, v32, v159, vcc_lo
	global_load_u16 v32, v[219:220], off
	global_load_u16 v219, v[221:222], off
	s_wait_loadcnt 0x1
	v_lshlrev_b32_e32 v217, 16, v32
	s_wait_loadcnt 0x0
	v_lshlrev_b32_e32 v32, 16, v219
.LBB97_210:                             ;   in Loop: Header=BB97_145 Depth=1
	s_wait_alu 0xfffe
	s_or_b32 exec_lo, exec_lo, s2
	v_add_co_u32 v219, vcc_lo, v160, 31
	s_wait_alu 0xfffd
	v_add_co_ci_u32_e64 v220, null, 0, v161, vcc_lo
	s_delay_alu instid0(VALU_DEP_1)
	v_cmp_gt_i64_e32 vcc_lo, s[4:5], v[219:220]
	v_mov_b32_e32 v219, 0
	s_and_saveexec_b32 s2, vcc_lo
	s_cbranch_execz .LBB97_212
; %bb.211:                              ;   in Loop: Header=BB97_145 Depth=1
	scratch_load_b32 v33, off, off offset:12 ; 4-byte Folded Reload
	s_wait_loadcnt 0x0
	v_add_co_u32 v219, vcc_lo, v33, v158
	scratch_load_b32 v33, off, off offset:16 ; 4-byte Folded Reload
	s_wait_loadcnt 0x0
	s_wait_alu 0xfffd
	v_add_co_ci_u32_e64 v220, null, v33, v159, vcc_lo
	scratch_load_b32 v33, off, off offset:4 ; 4-byte Folded Reload
	s_wait_loadcnt 0x0
	v_add_co_u32 v221, vcc_lo, v33, v158
	scratch_load_b32 v33, off, off offset:8 ; 4-byte Folded Reload
	s_wait_loadcnt 0x0
	s_wait_alu 0xfffd
	v_add_co_ci_u32_e64 v222, null, v33, v159, vcc_lo
	global_load_u16 v33, v[219:220], off
	global_load_u16 v220, v[221:222], off
	s_wait_loadcnt 0x1
	v_lshlrev_b32_e32 v219, 16, v33
	s_wait_loadcnt 0x0
	v_lshlrev_b32_e32 v33, 16, v220
.LBB97_212:                             ;   in Loop: Header=BB97_145 Depth=1
	s_wait_alu 0xfffe
	s_or_b32 exec_lo, exec_lo, s2
	s_wait_loadcnt 0x1
	ds_bpermute_b32 v220, v1, v201
	ds_bpermute_b32 v222, v1, v201 offset:8
	ds_bpermute_b32 v221, v1, v201 offset:4
	s_mov_b32 s2, 0
	s_wait_dscnt 0x2
	v_sub_f32_e32 v220, v223, v220
	ds_bpermute_b32 v223, v1, v201 offset:12
	s_wait_dscnt 0x2
	v_sub_f32_e32 v222, v224, v222
	ds_bpermute_b32 v224, v1, v201 offset:16
	;; [unrolled: 3-line block ×16, first 2 shown]
	s_wait_dscnt 0x1
	v_sub_f32_e32 v234, v236, v234
	scratch_load_b32 v236, off, off offset:292 th:TH_LOAD_LU ; 4-byte Folded Reload
	s_wait_dscnt 0x0
	v_sub_f32_e32 v208, v208, v237
	ds_bpermute_b32 v237, v1, v201 offset:80
	s_wait_dscnt 0x0
	v_sub_f32_e32 v207, v207, v237
	ds_bpermute_b32 v237, v1, v201 offset:84
	;; [unrolled: 3-line block ×11, first 2 shown]
	s_wait_dscnt 0x0
	v_sub_f32_e32 v217, v217, v237
	s_wait_loadcnt 0x0
	v_sub_f32_e32 v235, v236, v235
	ds_bpermute_b32 v236, v1, v201 offset:64
	ds_bpermute_b32 v201, v1, v201 offset:124
	s_wait_dscnt 0x1
	v_sub_f32_e32 v236, v239, v236
	s_wait_dscnt 0x0
	v_sub_f32_e32 v201, v219, v201
	v_add_f32_e32 v219, v238, v2
	s_delay_alu instid0(VALU_DEP_1) | instskip(SKIP_1) | instid1(VALU_DEP_2)
	v_dual_mul_f32 v2, v2, v220 :: v_dual_add_f32 v219, v3, v219
	v_mul_f32_e32 v3, v3, v221
	v_add_f32_e32 v219, v4, v219
	s_delay_alu instid0(VALU_DEP_1) | instskip(SKIP_1) | instid1(VALU_DEP_2)
	v_dual_mul_f32 v4, v4, v222 :: v_dual_add_f32 v219, v5, v219
	v_mul_f32_e32 v5, v5, v223
	;; [unrolled: 4-line block ×8, first 2 shown]
	v_add_f32_e32 v219, v18, v219
	s_delay_alu instid0(VALU_DEP_1) | instskip(SKIP_1) | instid1(VALU_DEP_2)
	v_dual_mul_f32 v18, v18, v236 :: v_dual_add_f32 v219, v19, v219
	v_dual_mul_f32 v19, v19, v206 :: v_dual_mul_f32 v206, v33, v201
	v_add_f32_e32 v219, v20, v219
	v_mul_f32_e32 v20, v20, v203
	s_delay_alu instid0(VALU_DEP_2) | instskip(SKIP_1) | instid1(VALU_DEP_2)
	v_add_f32_e32 v219, v21, v219
	v_mul_f32_e32 v21, v21, v208
	v_add_f32_e32 v219, v22, v219
	v_mul_f32_e32 v22, v22, v207
	s_delay_alu instid0(VALU_DEP_2) | instskip(SKIP_1) | instid1(VALU_DEP_2)
	v_add_f32_e32 v219, v23, v219
	v_mul_f32_e32 v23, v23, v210
	v_add_f32_e32 v219, v24, v219
	s_delay_alu instid0(VALU_DEP_1) | instskip(SKIP_1) | instid1(VALU_DEP_2)
	v_dual_mul_f32 v24, v24, v209 :: v_dual_add_f32 v219, v25, v219
	v_mul_f32_e32 v25, v25, v212
	v_add_f32_e32 v219, v26, v219
	v_mul_f32_e32 v26, v26, v211
	s_delay_alu instid0(VALU_DEP_2) | instskip(SKIP_1) | instid1(VALU_DEP_2)
	v_add_f32_e32 v219, v27, v219
	v_mul_f32_e32 v27, v27, v214
	v_add_f32_e32 v219, v28, v219
	s_delay_alu instid0(VALU_DEP_1) | instskip(SKIP_1) | instid1(VALU_DEP_2)
	v_dual_mul_f32 v28, v28, v213 :: v_dual_add_f32 v219, v29, v219
	v_mul_f32_e32 v29, v29, v216
	v_add_f32_e32 v203, v30, v219
	v_mul_f32_e32 v30, v30, v215
	s_delay_alu instid0(VALU_DEP_2) | instskip(SKIP_1) | instid1(VALU_DEP_2)
	v_add_f32_e32 v203, v31, v203
	v_mul_f32_e32 v31, v31, v218
	v_add_f32_e32 v203, v32, v203
	s_delay_alu instid0(VALU_DEP_1)
	v_dual_mul_f32 v32, v32, v217 :: v_dual_add_f32 v201, v33, v203
	ds_bpermute_b32 v33, v1, v204
	s_wait_dscnt 0x0
	v_fma_f32 v203, v2, v33, v205
	ds_bpermute_b32 v2, v1, v204 offset:4
	s_wait_dscnt 0x0
	v_fmac_f32_e32 v203, v3, v2
	ds_bpermute_b32 v2, v1, v204 offset:8
	ds_bpermute_b32 v3, v1, v204 offset:112
	s_wait_dscnt 0x1
	v_fmac_f32_e32 v203, v4, v2
	ds_bpermute_b32 v2, v1, v204 offset:12
	;; [unrolled: 4-line block ×4, first 2 shown]
	s_wait_dscnt 0x0
	v_fmac_f32_e32 v203, v7, v2
	ds_bpermute_b32 v2, v1, v204 offset:24
	s_wait_dscnt 0x0
	v_fmac_f32_e32 v203, v8, v2
	ds_bpermute_b32 v2, v1, v204 offset:28
	;; [unrolled: 3-line block ×23, first 2 shown]
	v_fmac_f32_e32 v203, v30, v3
	s_wait_dscnt 0x0
	s_delay_alu instid0(VALU_DEP_1) | instskip(NEXT) | instid1(VALU_DEP_1)
	v_fmac_f32_e32 v203, v31, v2
	v_fmac_f32_e32 v203, v32, v4
	s_delay_alu instid0(VALU_DEP_1)
	v_fmac_f32_e32 v203, v206, v5
.LBB97_213:                             ;   in Loop: Header=BB97_145 Depth=1
	s_wait_alu 0xfffe
	s_and_b32 vcc_lo, exec_lo, s2
	s_wait_alu 0xfffe
	s_cbranch_vccz .LBB97_217
; %bb.214:                              ;   in Loop: Header=BB97_145 Depth=1
	s_load_b32 s2, s[10:11], 0x0
	v_dual_mov_b32 v4, 0 :: v_dual_mov_b32 v5, 0
	s_wait_kmcnt 0x0
	s_cmp_lt_u32 ttmp9, s2
	s_cselect_b32 s2, 12, 18
	s_wait_alu 0xfffe
	s_add_nc_u64 s[24:25], s[10:11], s[2:3]
	s_load_u16 s2, s[24:25], 0x0
	s_clause 0x1
	scratch_load_b32 v2, off, off offset:296
	scratch_load_b32 v3, off, off offset:300
	s_wait_loadcnt 0x0
	s_wait_kmcnt 0x0
	v_mad_u32_u24 v2, v2, s2, v3
	s_mov_b32 s2, exec_lo
	s_delay_alu instid0(VALU_DEP_1) | instskip(NEXT) | instid1(VALU_DEP_1)
	v_and_b32_e32 v2, 31, v2
	v_add_co_u32 v2, vcc_lo, v160, v2
	s_wait_alu 0xfffd
	v_add_co_ci_u32_e64 v3, null, 0, v161, vcc_lo
	s_delay_alu instid0(VALU_DEP_1)
	v_cmpx_gt_i64_e64 s[4:5], v[2:3]
	s_cbranch_execz .LBB97_216
; %bb.215:                              ;   in Loop: Header=BB97_145 Depth=1
	v_lshlrev_b64_e32 v[2:3], 2, v[2:3]
	s_delay_alu instid0(VALU_DEP_1) | instskip(SKIP_1) | instid1(VALU_DEP_2)
	v_add_co_u32 v4, vcc_lo, s12, v2
	s_wait_alu 0xfffd
	v_add_co_ci_u32_e64 v5, null, s13, v3, vcc_lo
	v_add_co_u32 v2, vcc_lo, s14, v2
	s_wait_alu 0xfffd
	v_add_co_ci_u32_e64 v3, null, s15, v3, vcc_lo
	global_load_b32 v5, v[4:5], off
	global_load_b32 v4, v[2:3], off
.LBB97_216:                             ;   in Loop: Header=BB97_145 Depth=1
	s_wait_alu 0xfffe
	s_or_b32 exec_lo, exec_lo, s2
	v_add_co_u32 v2, vcc_lo, v166, v158
	s_wait_alu 0xfffd
	v_add_co_ci_u32_e64 v3, null, v167, v159, vcc_lo
	global_load_u16 v6, v[2:3], off
	v_add_co_u32 v2, vcc_lo, v164, v158
	s_wait_alu 0xfffd
	v_add_co_ci_u32_e64 v3, null, v165, v159, vcc_lo
	global_load_u16 v2, v[2:3], off
	s_wait_loadcnt 0x1
	v_lshlrev_b32_e32 v3, 16, v6
	ds_bpermute_b32 v6, v1, v5
	s_wait_loadcnt 0x0
	v_lshlrev_b32_e32 v2, 16, v2
	s_wait_dscnt 0x0
	v_sub_f32_e32 v3, v3, v6
	ds_bpermute_b32 v6, v1, v4
	v_mul_f32_e32 v3, v3, v2
	s_wait_dscnt 0x0
	s_delay_alu instid0(VALU_DEP_1)
	v_fmac_f32_e32 v205, v3, v6
	v_add_co_u32 v6, vcc_lo, v42, v158
	s_wait_alu 0xfffd
	v_add_co_ci_u32_e64 v7, null, v43, v159, vcc_lo
	global_load_u16 v3, v[6:7], off
	v_add_co_u32 v6, vcc_lo, v34, v158
	s_wait_alu 0xfffd
	v_add_co_ci_u32_e64 v7, null, v35, v159, vcc_lo
	global_load_u16 v6, v[6:7], off
	ds_bpermute_b32 v7, v1, v5 offset:4
	s_wait_loadcnt 0x1
	v_lshlrev_b32_e32 v3, 16, v3
	s_wait_dscnt 0x0
	s_delay_alu instid0(VALU_DEP_1) | instskip(SKIP_2) | instid1(VALU_DEP_1)
	v_dual_sub_f32 v7, v3, v7 :: v_dual_add_f32 v2, v238, v2
	s_wait_loadcnt 0x0
	v_lshlrev_b32_e32 v3, 16, v6
	v_mul_f32_e32 v6, v7, v3
	ds_bpermute_b32 v7, v1, v4 offset:4
	s_wait_dscnt 0x0
	v_fmac_f32_e32 v205, v6, v7
	v_add_co_u32 v6, vcc_lo, v46, v158
	s_wait_alu 0xfffd
	v_add_co_ci_u32_e64 v7, null, v47, v159, vcc_lo
	global_load_u16 v8, v[6:7], off
	v_add_co_u32 v6, vcc_lo, v36, v158
	s_wait_alu 0xfffd
	v_add_co_ci_u32_e64 v7, null, v37, v159, vcc_lo
	global_load_u16 v6, v[6:7], off
	s_wait_loadcnt 0x1
	v_lshlrev_b32_e32 v7, 16, v8
	ds_bpermute_b32 v8, v1, v5 offset:8
	s_wait_loadcnt_dscnt 0x0
	v_dual_sub_f32 v7, v7, v8 :: v_dual_lshlrev_b32 v6, 16, v6
	ds_bpermute_b32 v8, v1, v4 offset:8
	v_mul_f32_e32 v7, v7, v6
	s_wait_dscnt 0x0
	s_delay_alu instid0(VALU_DEP_1)
	v_fmac_f32_e32 v205, v7, v8
	v_add_co_u32 v7, vcc_lo, v48, v158
	s_wait_alu 0xfffd
	v_add_co_ci_u32_e64 v8, null, v49, v159, vcc_lo
	global_load_u16 v9, v[7:8], off
	v_add_co_u32 v7, vcc_lo, v38, v158
	s_wait_alu 0xfffd
	v_add_co_ci_u32_e64 v8, null, v39, v159, vcc_lo
	global_load_u16 v7, v[7:8], off
	s_wait_loadcnt 0x1
	v_lshlrev_b32_e32 v8, 16, v9
	ds_bpermute_b32 v9, v1, v5 offset:12
	s_wait_loadcnt_dscnt 0x0
	v_dual_sub_f32 v8, v8, v9 :: v_dual_lshlrev_b32 v7, 16, v7
	ds_bpermute_b32 v9, v1, v4 offset:12
	v_mul_f32_e32 v8, v8, v7
	s_wait_dscnt 0x0
	s_delay_alu instid0(VALU_DEP_1)
	;; [unrolled: 18-line block ×3, first 2 shown]
	v_fmac_f32_e32 v205, v9, v10
	v_add_co_u32 v9, vcc_lo, v54, v158
	s_wait_alu 0xfffd
	v_add_co_ci_u32_e64 v10, null, v55, v159, vcc_lo
	global_load_u16 v11, v[9:10], off
	v_add_co_u32 v9, vcc_lo, v44, v158
	s_wait_alu 0xfffd
	v_add_co_ci_u32_e64 v10, null, v45, v159, vcc_lo
	global_load_u16 v9, v[9:10], off
	s_wait_loadcnt 0x1
	v_lshlrev_b32_e32 v10, 16, v11
	ds_bpermute_b32 v11, v1, v5 offset:20
	s_wait_loadcnt_dscnt 0x0
	v_dual_sub_f32 v10, v10, v11 :: v_dual_lshlrev_b32 v9, 16, v9
	ds_bpermute_b32 v11, v1, v4 offset:20
	v_add_f32_e32 v2, v2, v3
	v_mul_f32_e32 v10, v10, v9
	s_delay_alu instid0(VALU_DEP_2) | instskip(SKIP_1) | instid1(VALU_DEP_2)
	v_add_f32_e32 v2, v2, v6
	s_wait_dscnt 0x0
	v_fmac_f32_e32 v205, v10, v11
	v_add_co_u32 v10, vcc_lo, v56, v158
	s_wait_alu 0xfffd
	v_add_co_ci_u32_e64 v11, null, v57, v159, vcc_lo
	global_load_u16 v12, v[10:11], off
	v_add_co_u32 v10, vcc_lo, v52, v158
	s_wait_alu 0xfffd
	v_add_co_ci_u32_e64 v11, null, v53, v159, vcc_lo
	global_load_u16 v10, v[10:11], off
	s_wait_loadcnt 0x1
	v_lshlrev_b32_e32 v11, 16, v12
	ds_bpermute_b32 v12, v1, v5 offset:24
	s_wait_loadcnt_dscnt 0x0
	v_dual_sub_f32 v11, v11, v12 :: v_dual_lshlrev_b32 v10, 16, v10
	ds_bpermute_b32 v12, v1, v4 offset:24
	v_mul_f32_e32 v11, v11, v10
	s_wait_dscnt 0x0
	s_delay_alu instid0(VALU_DEP_1)
	v_fmac_f32_e32 v205, v11, v12
	v_add_co_u32 v11, vcc_lo, v60, v158
	s_wait_alu 0xfffd
	v_add_co_ci_u32_e64 v12, null, v61, v159, vcc_lo
	global_load_u16 v13, v[11:12], off
	v_add_co_u32 v11, vcc_lo, v58, v158
	s_wait_alu 0xfffd
	v_add_co_ci_u32_e64 v12, null, v59, v159, vcc_lo
	global_load_u16 v11, v[11:12], off
	s_wait_loadcnt 0x1
	v_lshlrev_b32_e32 v12, 16, v13
	ds_bpermute_b32 v13, v1, v5 offset:28
	s_wait_loadcnt_dscnt 0x0
	v_dual_sub_f32 v12, v12, v13 :: v_dual_lshlrev_b32 v11, 16, v11
	ds_bpermute_b32 v13, v1, v4 offset:28
	v_add_f32_e32 v2, v2, v7
	v_mul_f32_e32 v12, v12, v11
	s_wait_dscnt 0x0
	s_delay_alu instid0(VALU_DEP_1)
	v_dual_add_f32 v2, v2, v8 :: v_dual_fmac_f32 v205, v12, v13
	v_add_co_u32 v12, vcc_lo, v64, v158
	s_wait_alu 0xfffd
	v_add_co_ci_u32_e64 v13, null, v65, v159, vcc_lo
	global_load_u16 v14, v[12:13], off
	v_add_co_u32 v12, vcc_lo, v62, v158
	s_wait_alu 0xfffd
	v_add_co_ci_u32_e64 v13, null, v63, v159, vcc_lo
	global_load_u16 v12, v[12:13], off
	s_wait_loadcnt 0x1
	v_lshlrev_b32_e32 v13, 16, v14
	ds_bpermute_b32 v14, v1, v5 offset:32
	s_wait_loadcnt_dscnt 0x0
	v_dual_sub_f32 v13, v13, v14 :: v_dual_lshlrev_b32 v12, 16, v12
	ds_bpermute_b32 v14, v1, v4 offset:32
	v_mul_f32_e32 v13, v13, v12
	s_wait_dscnt 0x0
	s_delay_alu instid0(VALU_DEP_1)
	v_fmac_f32_e32 v205, v13, v14
	v_add_co_u32 v13, vcc_lo, v68, v158
	s_wait_alu 0xfffd
	v_add_co_ci_u32_e64 v14, null, v69, v159, vcc_lo
	global_load_u16 v15, v[13:14], off
	v_add_co_u32 v13, vcc_lo, v66, v158
	s_wait_alu 0xfffd
	v_add_co_ci_u32_e64 v14, null, v67, v159, vcc_lo
	global_load_u16 v13, v[13:14], off
	s_wait_loadcnt 0x1
	v_lshlrev_b32_e32 v14, 16, v15
	ds_bpermute_b32 v15, v1, v5 offset:36
	s_wait_loadcnt_dscnt 0x0
	v_dual_sub_f32 v14, v14, v15 :: v_dual_lshlrev_b32 v13, 16, v13
	ds_bpermute_b32 v15, v1, v4 offset:36
	v_mul_f32_e32 v14, v14, v13
	s_wait_dscnt 0x0
	s_delay_alu instid0(VALU_DEP_1)
	v_fmac_f32_e32 v205, v14, v15
	v_add_co_u32 v14, vcc_lo, v72, v158
	s_wait_alu 0xfffd
	v_add_co_ci_u32_e64 v15, null, v73, v159, vcc_lo
	global_load_u16 v16, v[14:15], off
	v_add_co_u32 v14, vcc_lo, v70, v158
	s_wait_alu 0xfffd
	v_add_co_ci_u32_e64 v15, null, v71, v159, vcc_lo
	global_load_u16 v14, v[14:15], off
	s_wait_loadcnt 0x1
	v_lshlrev_b32_e32 v15, 16, v16
	ds_bpermute_b32 v16, v1, v5 offset:40
	s_wait_loadcnt_dscnt 0x0
	v_dual_sub_f32 v15, v15, v16 :: v_dual_lshlrev_b32 v16, 16, v14
	s_delay_alu instid0(VALU_DEP_1) | instskip(SKIP_2) | instid1(VALU_DEP_1)
	v_mul_f32_e32 v14, v15, v16
	ds_bpermute_b32 v15, v1, v4 offset:40
	v_add_f32_e32 v2, v2, v9
	v_add_f32_e32 v2, v2, v10
	s_wait_dscnt 0x0
	v_fmac_f32_e32 v205, v14, v15
	v_add_co_u32 v14, vcc_lo, v76, v158
	s_wait_alu 0xfffd
	v_add_co_ci_u32_e64 v15, null, v77, v159, vcc_lo
	global_load_u16 v17, v[14:15], off
	v_add_co_u32 v14, vcc_lo, v74, v158
	s_wait_alu 0xfffd
	v_add_co_ci_u32_e64 v15, null, v75, v159, vcc_lo
	global_load_u16 v14, v[14:15], off
	s_wait_loadcnt 0x1
	v_lshlrev_b32_e32 v15, 16, v17
	ds_bpermute_b32 v17, v1, v5 offset:44
	s_wait_dscnt 0x0
	v_sub_f32_e32 v15, v15, v17
	s_wait_loadcnt 0x0
	v_lshlrev_b32_e32 v17, 16, v14
	s_delay_alu instid0(VALU_DEP_1)
	v_mul_f32_e32 v14, v15, v17
	ds_bpermute_b32 v15, v1, v4 offset:44
	s_wait_dscnt 0x0
	v_fmac_f32_e32 v205, v14, v15
	v_add_co_u32 v14, vcc_lo, v80, v158
	s_wait_alu 0xfffd
	v_add_co_ci_u32_e64 v15, null, v81, v159, vcc_lo
	global_load_u16 v18, v[14:15], off
	v_add_co_u32 v14, vcc_lo, v78, v158
	s_wait_alu 0xfffd
	v_add_co_ci_u32_e64 v15, null, v79, v159, vcc_lo
	global_load_u16 v14, v[14:15], off
	s_wait_loadcnt 0x1
	v_lshlrev_b32_e32 v15, 16, v18
	ds_bpermute_b32 v18, v1, v5 offset:48
	s_wait_dscnt 0x0
	v_sub_f32_e32 v15, v15, v18
	s_wait_loadcnt 0x0
	v_lshlrev_b32_e32 v18, 16, v14
	s_delay_alu instid0(VALU_DEP_1) | instskip(SKIP_2) | instid1(VALU_DEP_1)
	v_mul_f32_e32 v14, v15, v18
	ds_bpermute_b32 v15, v1, v4 offset:48
	v_add_f32_e32 v2, v2, v11
	v_add_f32_e32 v2, v2, v12
	s_wait_dscnt 0x0
	v_fmac_f32_e32 v205, v14, v15
	v_add_co_u32 v14, vcc_lo, v84, v158
	s_wait_alu 0xfffd
	v_add_co_ci_u32_e64 v15, null, v85, v159, vcc_lo
	global_load_u16 v19, v[14:15], off
	v_add_co_u32 v14, vcc_lo, v82, v158
	s_wait_alu 0xfffd
	v_add_co_ci_u32_e64 v15, null, v83, v159, vcc_lo
	global_load_u16 v14, v[14:15], off
	s_wait_loadcnt 0x1
	v_lshlrev_b32_e32 v15, 16, v19
	ds_bpermute_b32 v19, v1, v5 offset:52
	s_wait_dscnt 0x0
	v_sub_f32_e32 v15, v15, v19
	s_wait_loadcnt 0x0
	v_lshlrev_b32_e32 v19, 16, v14
	s_delay_alu instid0(VALU_DEP_1)
	v_mul_f32_e32 v14, v15, v19
	ds_bpermute_b32 v15, v1, v4 offset:52
	s_wait_dscnt 0x0
	v_fmac_f32_e32 v205, v14, v15
	v_add_co_u32 v14, vcc_lo, v88, v158
	s_wait_alu 0xfffd
	v_add_co_ci_u32_e64 v15, null, v89, v159, vcc_lo
	global_load_u16 v20, v[14:15], off
	v_add_co_u32 v14, vcc_lo, v86, v158
	s_wait_alu 0xfffd
	v_add_co_ci_u32_e64 v15, null, v87, v159, vcc_lo
	global_load_u16 v14, v[14:15], off
	s_wait_loadcnt 0x1
	v_lshlrev_b32_e32 v15, 16, v20
	ds_bpermute_b32 v20, v1, v5 offset:56
	s_wait_loadcnt_dscnt 0x0
	v_dual_sub_f32 v15, v15, v20 :: v_dual_lshlrev_b32 v20, 16, v14
	s_delay_alu instid0(VALU_DEP_1)
	v_mul_f32_e32 v14, v15, v20
	ds_bpermute_b32 v15, v1, v4 offset:56
	s_wait_dscnt 0x0
	v_fmac_f32_e32 v205, v14, v15
	v_add_co_u32 v14, vcc_lo, v92, v158
	s_wait_alu 0xfffd
	v_add_co_ci_u32_e64 v15, null, v93, v159, vcc_lo
	global_load_u16 v21, v[14:15], off
	v_add_co_u32 v14, vcc_lo, v90, v158
	s_wait_alu 0xfffd
	v_add_co_ci_u32_e64 v15, null, v91, v159, vcc_lo
	global_load_u16 v14, v[14:15], off
	s_wait_loadcnt 0x1
	v_lshlrev_b32_e32 v15, 16, v21
	ds_bpermute_b32 v21, v1, v5 offset:60
	s_wait_dscnt 0x0
	v_sub_f32_e32 v15, v15, v21
	s_wait_loadcnt 0x0
	v_lshlrev_b32_e32 v21, 16, v14
	s_delay_alu instid0(VALU_DEP_1)
	v_mul_f32_e32 v14, v15, v21
	ds_bpermute_b32 v15, v1, v4 offset:60
	s_wait_dscnt 0x0
	v_fmac_f32_e32 v205, v14, v15
	v_add_co_u32 v14, vcc_lo, v96, v158
	s_wait_alu 0xfffd
	v_add_co_ci_u32_e64 v15, null, v97, v159, vcc_lo
	global_load_u16 v22, v[14:15], off
	v_add_co_u32 v14, vcc_lo, v94, v158
	s_wait_alu 0xfffd
	v_add_co_ci_u32_e64 v15, null, v95, v159, vcc_lo
	global_load_u16 v14, v[14:15], off
	s_wait_loadcnt 0x1
	v_lshlrev_b32_e32 v15, 16, v22
	ds_bpermute_b32 v22, v1, v5 offset:64
	s_wait_dscnt 0x0
	v_sub_f32_e32 v15, v15, v22
	s_wait_loadcnt 0x0
	v_lshlrev_b32_e32 v22, 16, v14
	s_delay_alu instid0(VALU_DEP_1) | instskip(SKIP_2) | instid1(VALU_DEP_1)
	v_mul_f32_e32 v14, v15, v22
	ds_bpermute_b32 v15, v1, v4 offset:64
	v_add_f32_e32 v2, v2, v13
	v_add_f32_e32 v2, v2, v16
	s_wait_dscnt 0x0
	v_fmac_f32_e32 v205, v14, v15
	v_add_co_u32 v14, vcc_lo, v100, v158
	s_wait_alu 0xfffd
	v_add_co_ci_u32_e64 v15, null, v101, v159, vcc_lo
	global_load_u16 v23, v[14:15], off
	v_add_co_u32 v14, vcc_lo, v98, v158
	s_wait_alu 0xfffd
	v_add_co_ci_u32_e64 v15, null, v99, v159, vcc_lo
	global_load_u16 v14, v[14:15], off
	s_wait_loadcnt 0x1
	v_lshlrev_b32_e32 v15, 16, v23
	ds_bpermute_b32 v23, v1, v5 offset:68
	s_wait_dscnt 0x0
	v_sub_f32_e32 v15, v15, v23
	s_wait_loadcnt 0x0
	v_lshlrev_b32_e32 v23, 16, v14
	s_delay_alu instid0(VALU_DEP_1)
	v_mul_f32_e32 v14, v15, v23
	ds_bpermute_b32 v15, v1, v4 offset:68
	s_wait_dscnt 0x0
	v_fmac_f32_e32 v205, v14, v15
	v_add_co_u32 v14, vcc_lo, v104, v158
	s_wait_alu 0xfffd
	v_add_co_ci_u32_e64 v15, null, v105, v159, vcc_lo
	global_load_u16 v24, v[14:15], off
	v_add_co_u32 v14, vcc_lo, v102, v158
	s_wait_alu 0xfffd
	v_add_co_ci_u32_e64 v15, null, v103, v159, vcc_lo
	global_load_u16 v14, v[14:15], off
	s_wait_loadcnt 0x1
	v_lshlrev_b32_e32 v15, 16, v24
	ds_bpermute_b32 v24, v1, v5 offset:72
	s_wait_loadcnt_dscnt 0x0
	v_dual_sub_f32 v15, v15, v24 :: v_dual_lshlrev_b32 v24, 16, v14
	s_delay_alu instid0(VALU_DEP_1)
	v_mul_f32_e32 v14, v15, v24
	ds_bpermute_b32 v15, v1, v4 offset:72
	s_wait_dscnt 0x0
	v_fmac_f32_e32 v205, v14, v15
	v_add_co_u32 v14, vcc_lo, v108, v158
	s_wait_alu 0xfffd
	v_add_co_ci_u32_e64 v15, null, v109, v159, vcc_lo
	global_load_u16 v25, v[14:15], off
	v_add_co_u32 v14, vcc_lo, v106, v158
	s_wait_alu 0xfffd
	v_add_co_ci_u32_e64 v15, null, v107, v159, vcc_lo
	global_load_u16 v14, v[14:15], off
	s_wait_loadcnt 0x1
	v_lshlrev_b32_e32 v15, 16, v25
	ds_bpermute_b32 v25, v1, v5 offset:76
	s_wait_dscnt 0x0
	v_sub_f32_e32 v15, v15, v25
	s_wait_loadcnt 0x0
	v_lshlrev_b32_e32 v25, 16, v14
	s_delay_alu instid0(VALU_DEP_1) | instskip(SKIP_2) | instid1(VALU_DEP_1)
	v_mul_f32_e32 v14, v15, v25
	ds_bpermute_b32 v15, v1, v4 offset:76
	v_add_f32_e32 v2, v2, v17
	v_add_f32_e32 v2, v2, v18
	s_wait_dscnt 0x0
	v_fmac_f32_e32 v205, v14, v15
	v_add_co_u32 v14, vcc_lo, v112, v158
	s_wait_alu 0xfffd
	v_add_co_ci_u32_e64 v15, null, v113, v159, vcc_lo
	global_load_u16 v26, v[14:15], off
	v_add_co_u32 v14, vcc_lo, v110, v158
	s_wait_alu 0xfffd
	v_add_co_ci_u32_e64 v15, null, v111, v159, vcc_lo
	global_load_u16 v14, v[14:15], off
	s_wait_loadcnt 0x1
	v_lshlrev_b32_e32 v15, 16, v26
	ds_bpermute_b32 v26, v1, v5 offset:80
	s_wait_dscnt 0x0
	v_sub_f32_e32 v15, v15, v26
	s_wait_loadcnt 0x0
	v_lshlrev_b32_e32 v26, 16, v14
	s_delay_alu instid0(VALU_DEP_1)
	v_mul_f32_e32 v14, v15, v26
	ds_bpermute_b32 v15, v1, v4 offset:80
	s_wait_dscnt 0x0
	v_fmac_f32_e32 v205, v14, v15
	v_add_co_u32 v14, vcc_lo, v116, v158
	s_wait_alu 0xfffd
	v_add_co_ci_u32_e64 v15, null, v117, v159, vcc_lo
	global_load_u16 v27, v[14:15], off
	v_add_co_u32 v14, vcc_lo, v114, v158
	s_wait_alu 0xfffd
	v_add_co_ci_u32_e64 v15, null, v115, v159, vcc_lo
	global_load_u16 v14, v[14:15], off
	s_wait_loadcnt 0x1
	v_lshlrev_b32_e32 v15, 16, v27
	ds_bpermute_b32 v27, v1, v5 offset:84
	s_wait_dscnt 0x0
	v_sub_f32_e32 v15, v15, v27
	s_wait_loadcnt 0x0
	v_lshlrev_b32_e32 v27, 16, v14
	s_delay_alu instid0(VALU_DEP_1) | instskip(SKIP_2) | instid1(VALU_DEP_1)
	v_mul_f32_e32 v14, v15, v27
	ds_bpermute_b32 v15, v1, v4 offset:84
	v_add_f32_e32 v2, v2, v19
	v_add_f32_e32 v2, v2, v20
	s_wait_dscnt 0x0
	v_fmac_f32_e32 v205, v14, v15
	v_add_co_u32 v14, vcc_lo, v120, v158
	s_wait_alu 0xfffd
	v_add_co_ci_u32_e64 v15, null, v121, v159, vcc_lo
	global_load_u16 v28, v[14:15], off
	v_add_co_u32 v14, vcc_lo, v118, v158
	s_wait_alu 0xfffd
	v_add_co_ci_u32_e64 v15, null, v119, v159, vcc_lo
	global_load_u16 v14, v[14:15], off
	s_wait_loadcnt 0x1
	v_lshlrev_b32_e32 v15, 16, v28
	ds_bpermute_b32 v28, v1, v5 offset:88
	s_wait_loadcnt_dscnt 0x0
	v_dual_sub_f32 v15, v15, v28 :: v_dual_lshlrev_b32 v28, 16, v14
	s_delay_alu instid0(VALU_DEP_1)
	v_mul_f32_e32 v14, v15, v28
	ds_bpermute_b32 v15, v1, v4 offset:88
	s_wait_dscnt 0x0
	v_fmac_f32_e32 v205, v14, v15
	v_add_co_u32 v14, vcc_lo, v124, v158
	s_wait_alu 0xfffd
	v_add_co_ci_u32_e64 v15, null, v125, v159, vcc_lo
	global_load_u16 v29, v[14:15], off
	v_add_co_u32 v14, vcc_lo, v122, v158
	s_wait_alu 0xfffd
	v_add_co_ci_u32_e64 v15, null, v123, v159, vcc_lo
	global_load_u16 v14, v[14:15], off
	s_wait_loadcnt 0x1
	v_lshlrev_b32_e32 v15, 16, v29
	ds_bpermute_b32 v29, v1, v5 offset:92
	s_wait_dscnt 0x0
	v_sub_f32_e32 v15, v15, v29
	s_wait_loadcnt 0x0
	v_lshlrev_b32_e32 v29, 16, v14
	s_delay_alu instid0(VALU_DEP_1)
	v_mul_f32_e32 v14, v15, v29
	ds_bpermute_b32 v15, v1, v4 offset:92
	s_wait_dscnt 0x0
	v_fmac_f32_e32 v205, v14, v15
	v_add_co_u32 v14, vcc_lo, v128, v158
	s_wait_alu 0xfffd
	v_add_co_ci_u32_e64 v15, null, v129, v159, vcc_lo
	global_load_u16 v30, v[14:15], off
	v_add_co_u32 v14, vcc_lo, v126, v158
	s_wait_alu 0xfffd
	v_add_co_ci_u32_e64 v15, null, v127, v159, vcc_lo
	global_load_u16 v14, v[14:15], off
	s_wait_loadcnt 0x1
	v_lshlrev_b32_e32 v15, 16, v30
	ds_bpermute_b32 v30, v1, v5 offset:96
	s_wait_dscnt 0x0
	v_sub_f32_e32 v15, v15, v30
	s_wait_loadcnt 0x0
	v_lshlrev_b32_e32 v30, 16, v14
	;; [unrolled: 20-line block ×3, first 2 shown]
	s_delay_alu instid0(VALU_DEP_1) | instskip(SKIP_2) | instid1(VALU_DEP_1)
	v_mul_f32_e32 v14, v15, v31
	ds_bpermute_b32 v15, v1, v4 offset:100
	v_add_f32_e32 v2, v2, v21
	v_add_f32_e32 v2, v2, v22
	s_wait_dscnt 0x0
	v_fmac_f32_e32 v205, v14, v15
	v_add_co_u32 v14, vcc_lo, v136, v158
	s_wait_alu 0xfffd
	v_add_co_ci_u32_e64 v15, null, v137, v159, vcc_lo
	global_load_u16 v32, v[14:15], off
	v_add_co_u32 v14, vcc_lo, v134, v158
	s_wait_alu 0xfffd
	v_add_co_ci_u32_e64 v15, null, v135, v159, vcc_lo
	global_load_u16 v14, v[14:15], off
	s_wait_loadcnt 0x1
	v_lshlrev_b32_e32 v15, 16, v32
	ds_bpermute_b32 v32, v1, v5 offset:104
	s_wait_loadcnt_dscnt 0x0
	v_dual_sub_f32 v15, v15, v32 :: v_dual_lshlrev_b32 v32, 16, v14
	s_delay_alu instid0(VALU_DEP_1)
	v_mul_f32_e32 v14, v15, v32
	ds_bpermute_b32 v15, v1, v4 offset:104
	s_wait_dscnt 0x0
	v_fmac_f32_e32 v205, v14, v15
	v_add_co_u32 v14, vcc_lo, v140, v158
	s_wait_alu 0xfffd
	v_add_co_ci_u32_e64 v15, null, v141, v159, vcc_lo
	global_load_u16 v33, v[14:15], off
	v_add_co_u32 v14, vcc_lo, v138, v158
	s_wait_alu 0xfffd
	v_add_co_ci_u32_e64 v15, null, v139, v159, vcc_lo
	global_load_u16 v14, v[14:15], off
	s_wait_loadcnt 0x1
	v_lshlrev_b32_e32 v15, 16, v33
	ds_bpermute_b32 v33, v1, v5 offset:108
	s_wait_dscnt 0x0
	v_sub_f32_e32 v15, v15, v33
	s_wait_loadcnt 0x0
	v_lshlrev_b32_e32 v33, 16, v14
	s_delay_alu instid0(VALU_DEP_1)
	v_mul_f32_e32 v14, v15, v33
	ds_bpermute_b32 v15, v1, v4 offset:108
	s_wait_dscnt 0x0
	v_fmac_f32_e32 v205, v14, v15
	v_add_co_u32 v14, vcc_lo, v144, v158
	s_wait_alu 0xfffd
	v_add_co_ci_u32_e64 v15, null, v145, v159, vcc_lo
	global_load_u16 v160, v[14:15], off
	v_add_co_u32 v14, vcc_lo, v142, v158
	s_wait_alu 0xfffd
	v_add_co_ci_u32_e64 v15, null, v143, v159, vcc_lo
	global_load_u16 v14, v[14:15], off
	s_wait_loadcnt 0x1
	v_lshlrev_b32_e32 v15, 16, v160
	ds_bpermute_b32 v160, v1, v5 offset:112
	s_wait_loadcnt_dscnt 0x0
	v_dual_sub_f32 v15, v15, v160 :: v_dual_lshlrev_b32 v160, 16, v14
	s_delay_alu instid0(VALU_DEP_1) | instskip(SKIP_2) | instid1(VALU_DEP_1)
	v_mul_f32_e32 v14, v15, v160
	ds_bpermute_b32 v15, v1, v4 offset:112
	v_add_f32_e32 v2, v2, v23
	v_add_f32_e32 v2, v2, v24
	s_delay_alu instid0(VALU_DEP_1) | instskip(NEXT) | instid1(VALU_DEP_1)
	v_add_f32_e32 v2, v2, v25
	v_add_f32_e32 v2, v2, v26
	s_wait_dscnt 0x0
	v_fmac_f32_e32 v205, v14, v15
	v_add_co_u32 v14, vcc_lo, v148, v158
	s_wait_alu 0xfffd
	v_add_co_ci_u32_e64 v15, null, v149, v159, vcc_lo
	v_add_f32_e32 v2, v2, v27
	global_load_u16 v161, v[14:15], off
	v_add_co_u32 v14, vcc_lo, v146, v158
	s_wait_alu 0xfffd
	v_add_co_ci_u32_e64 v15, null, v147, v159, vcc_lo
	v_add_f32_e32 v2, v2, v28
	global_load_u16 v14, v[14:15], off
	v_add_f32_e32 v2, v2, v29
	s_delay_alu instid0(VALU_DEP_1) | instskip(NEXT) | instid1(VALU_DEP_1)
	v_add_f32_e32 v2, v2, v30
	v_add_f32_e32 v2, v2, v31
	s_delay_alu instid0(VALU_DEP_1) | instskip(NEXT) | instid1(VALU_DEP_1)
	v_add_f32_e32 v2, v2, v32
	v_add_f32_e32 v2, v2, v33
	s_wait_loadcnt 0x1
	s_delay_alu instid0(VALU_DEP_1)
	v_dual_add_f32 v2, v2, v160 :: v_dual_lshlrev_b32 v15, 16, v161
	ds_bpermute_b32 v161, v1, v5 offset:116
	s_wait_dscnt 0x0
	v_sub_f32_e32 v15, v15, v161
	s_wait_loadcnt 0x0
	v_lshlrev_b32_e32 v161, 16, v14
	s_delay_alu instid0(VALU_DEP_1)
	v_mul_f32_e32 v14, v15, v161
	ds_bpermute_b32 v15, v1, v4 offset:116
	v_add_f32_e32 v2, v2, v161
	s_wait_dscnt 0x0
	v_fmac_f32_e32 v205, v14, v15
	v_add_co_u32 v14, vcc_lo, v152, v158
	s_wait_alu 0xfffd
	v_add_co_ci_u32_e64 v15, null, v153, v159, vcc_lo
	global_load_u16 v201, v[14:15], off
	v_add_co_u32 v14, vcc_lo, v150, v158
	s_wait_alu 0xfffd
	v_add_co_ci_u32_e64 v15, null, v151, v159, vcc_lo
	global_load_u16 v14, v[14:15], off
	s_wait_loadcnt 0x1
	v_lshlrev_b32_e32 v15, 16, v201
	ds_bpermute_b32 v201, v1, v5 offset:120
	ds_bpermute_b32 v5, v1, v5 offset:124
	s_wait_dscnt 0x1
	v_sub_f32_e32 v15, v15, v201
	s_wait_loadcnt 0x0
	v_lshlrev_b32_e32 v201, 16, v14
	s_delay_alu instid0(VALU_DEP_1)
	v_mul_f32_e32 v14, v15, v201
	ds_bpermute_b32 v15, v1, v4 offset:120
	ds_bpermute_b32 v4, v1, v4 offset:124
	v_add_f32_e32 v2, v2, v201
	s_wait_dscnt 0x1
	v_fmac_f32_e32 v205, v14, v15
	v_add_co_u32 v14, vcc_lo, v156, v158
	s_wait_alu 0xfffd
	v_add_co_ci_u32_e64 v15, null, v157, v159, vcc_lo
	global_load_u16 v203, v[14:15], off
	v_add_co_u32 v14, vcc_lo, v154, v158
	s_wait_alu 0xfffd
	v_add_co_ci_u32_e64 v15, null, v155, v159, vcc_lo
	global_load_u16 v14, v[14:15], off
	s_wait_loadcnt 0x1
	v_lshlrev_b32_e32 v15, 16, v203
	s_wait_loadcnt 0x0
	s_delay_alu instid0(VALU_DEP_1) | instskip(NEXT) | instid1(VALU_DEP_1)
	v_dual_sub_f32 v5, v15, v5 :: v_dual_lshlrev_b32 v14, 16, v14
	v_mul_f32_e32 v5, v5, v14
	v_add_f32_e32 v201, v2, v14
	s_wait_dscnt 0x0
	s_delay_alu instid0(VALU_DEP_2) | instskip(NEXT) | instid1(VALU_DEP_1)
	v_fmac_f32_e32 v205, v5, v4
	v_mov_b32_e32 v203, v205
.LBB97_217:                             ;   in Loop: Header=BB97_145 Depth=1
	scratch_load_b32 v2, off, off           ; 4-byte Folded Reload
	v_add_co_u32 v164, vcc_lo, v164, s18
	s_wait_alu 0xfffd
	v_add_co_ci_u32_e64 v165, null, s19, v165, vcc_lo
	v_add_co_u32 v166, vcc_lo, v166, s18
	s_wait_alu 0xfffd
	v_add_co_ci_u32_e64 v167, null, s19, v167, vcc_lo
	;; [unrolled: 3-line block ×64, first 2 shown]
	s_add_nc_u64 s[22:23], s[22:23], s[8:9]
	s_add_nc_u64 s[20:21], s[20:21], s[8:9]
	s_wait_alu 0xfffe
	v_cmp_ge_i64_e64 s2, s[22:23], s[4:5]
	s_wait_loadcnt 0x0
	v_add_co_u32 v2, vcc_lo, v2, s8
	s_wait_alu 0xfffd
	v_add_co_ci_u32_e64 v202, null, 0, v202, vcc_lo
	scratch_store_b32 off, v2, off          ; 4-byte Folded Spill
	scratch_load_b32 v2, off, off offset:4  ; 4-byte Folded Reload
	s_wait_loadcnt 0x0
	v_add_co_u32 v2, vcc_lo, v2, s18
	scratch_store_b32 off, v2, off offset:4 ; 4-byte Folded Spill
	scratch_load_b32 v2, off, off offset:8  ; 4-byte Folded Reload
	s_wait_loadcnt 0x0
	s_wait_alu 0xfffd
	v_add_co_ci_u32_e64 v2, null, s19, v2, vcc_lo
	scratch_store_b32 off, v2, off offset:8 ; 4-byte Folded Spill
	scratch_load_b32 v2, off, off offset:12 ; 4-byte Folded Reload
	s_wait_loadcnt 0x0
	v_add_co_u32 v2, vcc_lo, v2, s18
	scratch_store_b32 off, v2, off offset:12 ; 4-byte Folded Spill
	scratch_load_b32 v2, off, off offset:16 ; 4-byte Folded Reload
	s_wait_loadcnt 0x0
	s_wait_alu 0xfffd
	v_add_co_ci_u32_e64 v2, null, s19, v2, vcc_lo
	scratch_store_b32 off, v2, off offset:16 ; 4-byte Folded Spill
	scratch_load_b32 v2, off, off offset:20 ; 4-byte Folded Reload
	s_wait_loadcnt 0x0
	v_add_co_u32 v2, vcc_lo, v2, s18
	scratch_store_b32 off, v2, off offset:20 ; 4-byte Folded Spill
	scratch_load_b32 v2, off, off offset:24 ; 4-byte Folded Reload
	;; [unrolled: 9-line block ×35, first 2 shown]
	s_wait_loadcnt 0x0
	s_wait_alu 0xfffd
	v_add_co_ci_u32_e64 v2, null, s19, v2, vcc_lo
	v_add_co_u32 v240, vcc_lo, v240, s18
	s_wait_alu 0xfffd
	v_add_co_ci_u32_e64 v241, null, s19, v241, vcc_lo
	v_add_co_u32 v242, vcc_lo, v242, s18
	;; [unrolled: 3-line block ×26, first 2 shown]
	s_wait_alu 0xfffd
	v_add_co_ci_u32_e64 v200, null, s19, v200, vcc_lo
	s_and_b32 vcc_lo, exec_lo, s2
	scratch_store_b32 off, v2, off offset:288 ; 4-byte Folded Spill
	s_wait_alu 0xfffe
	s_cbranch_vccnz .LBB97_219
; %bb.218:                              ;   in Loop: Header=BB97_145 Depth=1
	v_dual_mov_b32 v238, v201 :: v_dual_mov_b32 v205, v203
	s_branch .LBB97_145
.LBB97_219:
	scratch_load_b32 v228, off, off offset:304 ; 4-byte Folded Reload
.LBB97_220:
	s_mov_b32 s2, ttmp9
	s_mov_b32 s3, 0
	s_wait_alu 0xfffe
	s_lshl_b64 s[2:3], s[2:3], 6
	s_wait_loadcnt 0x0
	s_wait_alu 0xfffe
	v_and_or_b32 v4, 0x3ff, v228, s2
	v_mov_b32_e32 v5, s3
	s_mov_b32 s2, exec_lo
	s_delay_alu instid0(VALU_DEP_1)
	v_cmpx_gt_i64_e64 s[6:7], v[4:5]
	s_cbranch_execz .LBB97_225
; %bb.221:
	s_clause 0x1
	s_load_u16 s4, s[0:1], 0x4e
	s_load_b128 s[0:3], s[0:1], 0x30
	v_bfe_u32 v0, v228, 10, 10
	v_mov_b32_e32 v1, 0
	s_wait_kmcnt 0x0
	s_delay_alu instid0(VALU_DEP_1) | instskip(SKIP_2) | instid1(VALU_DEP_2)
	v_mad_co_u64_u32 v[2:3], null, s4, ttmp7, v[0:1]
	v_lshlrev_b64_e32 v[0:1], 1, v[4:5]
	s_cmp_eq_u64 s[0:1], 0
	v_mul_lo_u32 v3, v3, s6
	s_delay_alu instid0(VALU_DEP_3)
	v_mul_lo_u32 v6, v2, s7
	s_cbranch_scc1 .LBB97_223
; %bb.222:
	v_mad_co_u64_u32 v[4:5], null, v2, s6, 0
	v_bfe_u32 v7, v203, 16, 1
	s_delay_alu instid0(VALU_DEP_1) | instskip(NEXT) | instid1(VALU_DEP_3)
	v_add3_u32 v7, v203, v7, 0x7fff
	v_add3_u32 v5, v5, v6, v3
	s_delay_alu instid0(VALU_DEP_2) | instskip(NEXT) | instid1(VALU_DEP_2)
	v_lshrrev_b32_e32 v7, 16, v7
	v_lshlrev_b64_e32 v[4:5], 1, v[4:5]
	s_delay_alu instid0(VALU_DEP_1) | instskip(SKIP_1) | instid1(VALU_DEP_2)
	v_add_co_u32 v4, vcc_lo, s0, v4
	s_wait_alu 0xfffd
	v_add_co_ci_u32_e64 v5, null, s1, v5, vcc_lo
	v_cmp_o_f32_e32 vcc_lo, v203, v203
	s_wait_alu 0xfffd
	v_cndmask_b32_e32 v7, 0x7fc0, v7, vcc_lo
	v_add_co_u32 v4, vcc_lo, v4, v0
	s_wait_alu 0xfffd
	v_add_co_ci_u32_e64 v5, null, v5, v1, vcc_lo
	global_store_b16 v[4:5], v7, off
.LBB97_223:
	s_cmp_eq_u64 s[2:3], 0
	s_cbranch_scc1 .LBB97_225
; %bb.224:
	v_mad_co_u64_u32 v[4:5], null, v2, s6, 0
	v_bfe_u32 v2, v201, 16, 1
	s_delay_alu instid0(VALU_DEP_2) | instskip(NEXT) | instid1(VALU_DEP_2)
	v_add3_u32 v5, v5, v6, v3
	v_add3_u32 v6, v201, v2, 0x7fff
	s_delay_alu instid0(VALU_DEP_2) | instskip(NEXT) | instid1(VALU_DEP_2)
	v_lshlrev_b64_e32 v[2:3], 1, v[4:5]
	v_lshrrev_b32_e32 v4, 16, v6
	s_delay_alu instid0(VALU_DEP_2) | instskip(SKIP_1) | instid1(VALU_DEP_3)
	v_add_co_u32 v2, vcc_lo, s2, v2
	s_wait_alu 0xfffd
	v_add_co_ci_u32_e64 v3, null, s3, v3, vcc_lo
	v_cmp_o_f32_e32 vcc_lo, v201, v201
	s_wait_alu 0xfffd
	v_cndmask_b32_e32 v4, 0x7fc0, v4, vcc_lo
	v_add_co_u32 v0, vcc_lo, v2, v0
	s_wait_alu 0xfffd
	v_add_co_ci_u32_e64 v1, null, v3, v1, vcc_lo
	global_store_b16 v[0:1], v4, off
.LBB97_225:
	s_nop 0
	s_sendmsg sendmsg(MSG_DEALLOC_VGPRS)
	s_endpgm
	.section	.rodata,"a",@progbits
	.p2align	6, 0x0
	.amdhsa_kernel _ZN2at6native12_GLOBAL__N_135GammaBetaBackwardCUDAKernelTemplateIN3c108BFloat16EfLj64ELj1ELj32ELb1ELb0ELb0EEEvllPKT_S7_PKT0_SA_PS5_SB_
		.amdhsa_group_segment_fixed_size 0
		.amdhsa_private_segment_fixed_size 312
		.amdhsa_kernarg_size 320
		.amdhsa_user_sgpr_count 2
		.amdhsa_user_sgpr_dispatch_ptr 0
		.amdhsa_user_sgpr_queue_ptr 0
		.amdhsa_user_sgpr_kernarg_segment_ptr 1
		.amdhsa_user_sgpr_dispatch_id 0
		.amdhsa_user_sgpr_private_segment_size 0
		.amdhsa_wavefront_size32 1
		.amdhsa_uses_dynamic_stack 0
		.amdhsa_enable_private_segment 1
		.amdhsa_system_sgpr_workgroup_id_x 1
		.amdhsa_system_sgpr_workgroup_id_y 1
		.amdhsa_system_sgpr_workgroup_id_z 0
		.amdhsa_system_sgpr_workgroup_info 0
		.amdhsa_system_vgpr_workitem_id 1
		.amdhsa_next_free_vgpr 256
		.amdhsa_next_free_sgpr 36
		.amdhsa_reserve_vcc 1
		.amdhsa_float_round_mode_32 0
		.amdhsa_float_round_mode_16_64 0
		.amdhsa_float_denorm_mode_32 3
		.amdhsa_float_denorm_mode_16_64 3
		.amdhsa_fp16_overflow 0
		.amdhsa_workgroup_processor_mode 1
		.amdhsa_memory_ordered 1
		.amdhsa_forward_progress 1
		.amdhsa_inst_pref_size 255
		.amdhsa_round_robin_scheduling 0
		.amdhsa_exception_fp_ieee_invalid_op 0
		.amdhsa_exception_fp_denorm_src 0
		.amdhsa_exception_fp_ieee_div_zero 0
		.amdhsa_exception_fp_ieee_overflow 0
		.amdhsa_exception_fp_ieee_underflow 0
		.amdhsa_exception_fp_ieee_inexact 0
		.amdhsa_exception_int_div_zero 0
	.end_amdhsa_kernel
	.section	.text._ZN2at6native12_GLOBAL__N_135GammaBetaBackwardCUDAKernelTemplateIN3c108BFloat16EfLj64ELj1ELj32ELb1ELb0ELb0EEEvllPKT_S7_PKT0_SA_PS5_SB_,"axG",@progbits,_ZN2at6native12_GLOBAL__N_135GammaBetaBackwardCUDAKernelTemplateIN3c108BFloat16EfLj64ELj1ELj32ELb1ELb0ELb0EEEvllPKT_S7_PKT0_SA_PS5_SB_,comdat
.Lfunc_end97:
	.size	_ZN2at6native12_GLOBAL__N_135GammaBetaBackwardCUDAKernelTemplateIN3c108BFloat16EfLj64ELj1ELj32ELb1ELb0ELb0EEEvllPKT_S7_PKT0_SA_PS5_SB_, .Lfunc_end97-_ZN2at6native12_GLOBAL__N_135GammaBetaBackwardCUDAKernelTemplateIN3c108BFloat16EfLj64ELj1ELj32ELb1ELb0ELb0EEEvllPKT_S7_PKT0_SA_PS5_SB_
                                        ; -- End function
	.set _ZN2at6native12_GLOBAL__N_135GammaBetaBackwardCUDAKernelTemplateIN3c108BFloat16EfLj64ELj1ELj32ELb1ELb0ELb0EEEvllPKT_S7_PKT0_SA_PS5_SB_.num_vgpr, 256
	.set _ZN2at6native12_GLOBAL__N_135GammaBetaBackwardCUDAKernelTemplateIN3c108BFloat16EfLj64ELj1ELj32ELb1ELb0ELb0EEEvllPKT_S7_PKT0_SA_PS5_SB_.num_agpr, 0
	.set _ZN2at6native12_GLOBAL__N_135GammaBetaBackwardCUDAKernelTemplateIN3c108BFloat16EfLj64ELj1ELj32ELb1ELb0ELb0EEEvllPKT_S7_PKT0_SA_PS5_SB_.numbered_sgpr, 36
	.set _ZN2at6native12_GLOBAL__N_135GammaBetaBackwardCUDAKernelTemplateIN3c108BFloat16EfLj64ELj1ELj32ELb1ELb0ELb0EEEvllPKT_S7_PKT0_SA_PS5_SB_.num_named_barrier, 0
	.set _ZN2at6native12_GLOBAL__N_135GammaBetaBackwardCUDAKernelTemplateIN3c108BFloat16EfLj64ELj1ELj32ELb1ELb0ELb0EEEvllPKT_S7_PKT0_SA_PS5_SB_.private_seg_size, 312
	.set _ZN2at6native12_GLOBAL__N_135GammaBetaBackwardCUDAKernelTemplateIN3c108BFloat16EfLj64ELj1ELj32ELb1ELb0ELb0EEEvllPKT_S7_PKT0_SA_PS5_SB_.uses_vcc, 1
	.set _ZN2at6native12_GLOBAL__N_135GammaBetaBackwardCUDAKernelTemplateIN3c108BFloat16EfLj64ELj1ELj32ELb1ELb0ELb0EEEvllPKT_S7_PKT0_SA_PS5_SB_.uses_flat_scratch, 1
	.set _ZN2at6native12_GLOBAL__N_135GammaBetaBackwardCUDAKernelTemplateIN3c108BFloat16EfLj64ELj1ELj32ELb1ELb0ELb0EEEvllPKT_S7_PKT0_SA_PS5_SB_.has_dyn_sized_stack, 0
	.set _ZN2at6native12_GLOBAL__N_135GammaBetaBackwardCUDAKernelTemplateIN3c108BFloat16EfLj64ELj1ELj32ELb1ELb0ELb0EEEvllPKT_S7_PKT0_SA_PS5_SB_.has_recursion, 0
	.set _ZN2at6native12_GLOBAL__N_135GammaBetaBackwardCUDAKernelTemplateIN3c108BFloat16EfLj64ELj1ELj32ELb1ELb0ELb0EEEvllPKT_S7_PKT0_SA_PS5_SB_.has_indirect_call, 0
	.section	.AMDGPU.csdata,"",@progbits
; Kernel info:
; codeLenInByte = 39064
; TotalNumSgprs: 38
; NumVgprs: 256
; ScratchSize: 312
; MemoryBound: 0
; FloatMode: 240
; IeeeMode: 1
; LDSByteSize: 0 bytes/workgroup (compile time only)
; SGPRBlocks: 0
; VGPRBlocks: 31
; NumSGPRsForWavesPerEU: 38
; NumVGPRsForWavesPerEU: 256
; Occupancy: 5
; WaveLimiterHint : 0
; COMPUTE_PGM_RSRC2:SCRATCH_EN: 1
; COMPUTE_PGM_RSRC2:USER_SGPR: 2
; COMPUTE_PGM_RSRC2:TRAP_HANDLER: 0
; COMPUTE_PGM_RSRC2:TGID_X_EN: 1
; COMPUTE_PGM_RSRC2:TGID_Y_EN: 1
; COMPUTE_PGM_RSRC2:TGID_Z_EN: 0
; COMPUTE_PGM_RSRC2:TIDIG_COMP_CNT: 1
	.section	.text._ZN2at6native12_GLOBAL__N_135GammaBetaBackwardCUDAKernelTemplateIN3c108BFloat16EfLj64ELj1ELj8ELb1ELb1ELb0EEEvllPKT_S7_PKT0_SA_PS5_SB_,"axG",@progbits,_ZN2at6native12_GLOBAL__N_135GammaBetaBackwardCUDAKernelTemplateIN3c108BFloat16EfLj64ELj1ELj8ELb1ELb1ELb0EEEvllPKT_S7_PKT0_SA_PS5_SB_,comdat
	.globl	_ZN2at6native12_GLOBAL__N_135GammaBetaBackwardCUDAKernelTemplateIN3c108BFloat16EfLj64ELj1ELj8ELb1ELb1ELb0EEEvllPKT_S7_PKT0_SA_PS5_SB_ ; -- Begin function _ZN2at6native12_GLOBAL__N_135GammaBetaBackwardCUDAKernelTemplateIN3c108BFloat16EfLj64ELj1ELj8ELb1ELb1ELb0EEEvllPKT_S7_PKT0_SA_PS5_SB_
	.p2align	8
	.type	_ZN2at6native12_GLOBAL__N_135GammaBetaBackwardCUDAKernelTemplateIN3c108BFloat16EfLj64ELj1ELj8ELb1ELb1ELb0EEEvllPKT_S7_PKT0_SA_PS5_SB_,@function
_ZN2at6native12_GLOBAL__N_135GammaBetaBackwardCUDAKernelTemplateIN3c108BFloat16EfLj64ELj1ELj8ELb1ELb1ELb0EEEvllPKT_S7_PKT0_SA_PS5_SB_: ; @_ZN2at6native12_GLOBAL__N_135GammaBetaBackwardCUDAKernelTemplateIN3c108BFloat16EfLj64ELj1ELj8ELb1ELb1ELb0EEEvllPKT_S7_PKT0_SA_PS5_SB_
; %bb.0:
	s_load_b128 s[12:15], s[0:1], 0x0
	s_lshl_b32 s2, ttmp7, 3
	s_mov_b32 s3, 0
	v_bfe_u32 v6, v0, 10, 10
	s_add_nc_u64 s[20:21], s[0:1], 64
	s_wait_kmcnt 0x0
	v_cmp_gt_i64_e64 s4, s[12:13], s[2:3]
	s_and_b32 vcc_lo, exec_lo, s4
	s_cbranch_vccnz .LBB98_2
; %bb.1:
	v_bfe_u32 v1, v0, 10, 10
	s_add_nc_u64 s[4:5], s[0:1], 64
	s_mov_b32 s6, s3
	s_branch .LBB98_3
.LBB98_2:
	s_mov_b32 s6, -1
                                        ; implicit-def: $sgpr4_sgpr5
                                        ; implicit-def: $vgpr1
.LBB98_3:
	s_load_b128 s[16:19], s[0:1], 0x30
	v_dual_mov_b32 v8, 0 :: v_dual_and_b32 v7, 0x3ff, v0
	v_mov_b32_e32 v10, 0
	s_and_not1_b32 vcc_lo, exec_lo, s6
	s_cbranch_vccnz .LBB98_11
; %bb.4:
	s_load_b32 s22, s[0:1], 0x4c
	v_dual_mov_b32 v9, 8 :: v_dual_lshlrev_b32 v0, 3, v6
	s_clause 0x1
	s_load_b32 s24, s[0:1], 0x44
	s_load_b256 s[4:11], s[0:1], 0x10
	v_dual_mov_b32 v1, 0 :: v_dual_mov_b32 v12, 12
	v_add_co_u32 v2, s0, v0, s2
	s_delay_alu instid0(VALU_DEP_1) | instskip(SKIP_1) | instid1(VALU_DEP_3)
	v_add_co_ci_u32_e64 v3, null, 0, 0, s0
	v_lshl_add_u32 v0, ttmp9, 6, v7
	v_mul_lo_u32 v8, s15, v2
	v_mad_co_u64_u32 v[4:5], null, s14, v2, 0
	s_delay_alu instid0(VALU_DEP_4) | instskip(NEXT) | instid1(VALU_DEP_4)
	v_mul_lo_u32 v10, s14, v3
	v_lshlrev_b64_e32 v[16:17], 1, v[0:1]
	s_mov_b32 s23, 0
	v_dual_mov_b32 v11, 4 :: v_dual_mov_b32 v14, 20
	s_lshl_b64 s[28:29], s[14:15], 1
	s_wait_kmcnt 0x0
	s_and_b32 s0, s22, 0xffff
	v_mov_b32_e32 v0, 28
	s_wait_alu 0xfffe
	v_mad_u32_u24 v15, v6, s0, v7
	v_mov_b32_e32 v13, 16
	v_add3_u32 v5, v5, v10, v8
	s_lshl_b32 s22, s24, 3
	v_mov_b32_e32 v10, 0
	v_dual_mov_b32 v15, 24 :: v_dual_and_b32 v20, 31, v15
	s_delay_alu instid0(VALU_DEP_3) | instskip(SKIP_2) | instid1(VALU_DEP_3)
	v_lshlrev_b64_e32 v[18:19], 1, v[4:5]
	v_mov_b32_e32 v8, 0
	s_mul_u64 s[26:27], s[14:15], s[22:23]
	v_add_co_u32 v2, vcc_lo, v2, v20
	s_delay_alu instid0(VALU_DEP_1) | instskip(NEXT) | instid1(VALU_DEP_4)
	v_add_co_ci_u32_e64 v3, null, 0, v3, vcc_lo
	v_add_co_u32 v16, vcc_lo, v18, v16
	v_cmp_gt_u32_e64 s0, 8, v20
	s_delay_alu instid0(VALU_DEP_3)
	v_lshlrev_b64_e32 v[4:5], 2, v[2:3]
	s_wait_alu 0xfffd
	v_add_co_ci_u32_e64 v17, null, v19, v17, vcc_lo
	s_lshl_b64 s[24:25], s[22:23], 2
	s_lshl_b64 s[26:27], s[26:27], 1
	s_branch .LBB98_7
.LBB98_5:                               ;   in Loop: Header=BB98_7 Depth=1
	s_or_b32 exec_lo, exec_lo, s30
.LBB98_6:                               ;   in Loop: Header=BB98_7 Depth=1
	s_wait_alu 0xfffe
	s_or_b32 exec_lo, exec_lo, s1
	v_add_co_u32 v20, vcc_lo, s4, v16
	s_wait_alu 0xfffd
	v_add_co_ci_u32_e64 v21, null, s5, v17, vcc_lo
	v_add_co_u32 v22, vcc_lo, s6, v16
	s_wait_alu 0xfffd
	v_add_co_ci_u32_e64 v23, null, s7, v17, vcc_lo
	v_add_co_u32 v24, vcc_lo, v20, s28
	s_wait_alu 0xfffd
	v_add_co_ci_u32_e64 v25, null, s29, v21, vcc_lo
	v_add_co_u32 v26, vcc_lo, v22, s28
	s_wait_alu 0xfffd
	v_add_co_ci_u32_e64 v27, null, s29, v23, vcc_lo
	v_add_co_u32 v28, vcc_lo, v24, s28
	s_wait_alu 0xfffd
	v_add_co_ci_u32_e64 v29, null, s29, v25, vcc_lo
	global_load_u16 v30, v[20:21], off
	global_load_u16 v31, v[22:23], off
	;; [unrolled: 1-line block ×5, first 2 shown]
	v_add_co_u32 v20, vcc_lo, v26, s28
	s_wait_alu 0xfffd
	v_add_co_ci_u32_e64 v21, null, s29, v27, vcc_lo
	v_add_co_u32 v22, vcc_lo, v28, s28
	s_wait_alu 0xfffd
	v_add_co_ci_u32_e64 v23, null, s29, v29, vcc_lo
	;; [unrolled: 3-line block ×5, first 2 shown]
	global_load_u16 v35, v[20:21], off
	global_load_u16 v36, v[22:23], off
	;; [unrolled: 1-line block ×5, first 2 shown]
	v_add_co_u32 v20, vcc_lo, v26, s28
	s_wait_alu 0xfffd
	v_add_co_ci_u32_e64 v21, null, s29, v27, vcc_lo
	v_add_co_u32 v22, vcc_lo, v28, s28
	s_wait_alu 0xfffd
	v_add_co_ci_u32_e64 v23, null, s29, v29, vcc_lo
	;; [unrolled: 3-line block ×4, first 2 shown]
	global_load_u16 v28, v[20:21], off
	global_load_u16 v29, v[22:23], off
	;; [unrolled: 1-line block ×4, first 2 shown]
	v_add_co_u32 v20, vcc_lo, v26, s28
	s_wait_alu 0xfffd
	v_add_co_ci_u32_e64 v21, null, s29, v27, vcc_lo
	v_add_co_u32 v22, vcc_lo, v24, s28
	s_wait_alu 0xfffd
	v_add_co_ci_u32_e64 v23, null, s29, v25, vcc_lo
	global_load_u16 v20, v[20:21], off
	global_load_u16 v21, v[22:23], off
	s_wait_loadcnt 0x11
	ds_bpermute_b32 v25, v11, v18
	ds_bpermute_b32 v22, v1, v18
	s_wait_loadcnt 0x10
	ds_bpermute_b32 v23, v1, v19
	ds_bpermute_b32 v24, v11, v19
	;; [unrolled: 1-line block ×14, first 2 shown]
	v_add_co_u32 v4, vcc_lo, v4, s24
	s_add_nc_u64 s[2:3], s[2:3], s[22:23]
	s_wait_alu 0xfffd
	v_add_co_ci_u32_e64 v5, null, s25, v5, vcc_lo
	v_add_co_u32 v2, vcc_lo, v2, s22
	s_wait_alu 0xfffe
	v_cmp_lt_i64_e64 s1, s[2:3], s[12:13]
	s_wait_alu 0xfffd
	v_add_co_ci_u32_e64 v3, null, 0, v3, vcc_lo
	v_add_co_u32 v16, vcc_lo, v16, s26
	s_wait_alu 0xfffd
	v_add_co_ci_u32_e64 v17, null, s27, v17, vcc_lo
	s_and_b32 vcc_lo, exec_lo, s1
	s_wait_loadcnt 0xc
	v_lshlrev_b32_e32 v33, 16, v33
	s_wait_dscnt 0xf
	s_delay_alu instid0(VALU_DEP_1) | instskip(NEXT) | instid1(VALU_DEP_1)
	v_dual_sub_f32 v25, v33, v25 :: v_dual_lshlrev_b32 v30, 16, v30
	v_dual_add_f32 v10, v10, v30 :: v_dual_lshlrev_b32 v31, 16, v31
	s_wait_dscnt 0xe
	s_delay_alu instid0(VALU_DEP_1) | instskip(NEXT) | instid1(VALU_DEP_1)
	v_dual_sub_f32 v22, v31, v22 :: v_dual_lshlrev_b32 v31, 16, v32
	v_mul_f32_e32 v22, v22, v30
	s_delay_alu instid0(VALU_DEP_2) | instskip(SKIP_1) | instid1(VALU_DEP_2)
	v_add_f32_e32 v10, v10, v31
	s_wait_dscnt 0xd
	v_fmac_f32_e32 v8, v22, v23
	s_wait_loadcnt 0x8
	v_dual_mul_f32 v22, v25, v31 :: v_dual_lshlrev_b32 v25, 16, v37
	s_wait_dscnt 0xc
	s_delay_alu instid0(VALU_DEP_1) | instskip(SKIP_4) | instid1(VALU_DEP_1)
	v_fmac_f32_e32 v8, v22, v24
	s_wait_loadcnt 0x6
	v_lshlrev_b32_e32 v24, 16, v39
	v_lshlrev_b32_e32 v32, 16, v35
	s_wait_dscnt 0xb
	v_dual_sub_f32 v23, v32, v27 :: v_dual_lshlrev_b32 v30, 16, v34
	s_delay_alu instid0(VALU_DEP_1)
	v_dual_mul_f32 v22, v23, v30 :: v_dual_lshlrev_b32 v27, 16, v36
	s_wait_dscnt 0xa
	v_sub_f32_e32 v23, v25, v43
	v_lshlrev_b32_e32 v25, 16, v38
	v_add_f32_e32 v10, v10, v30
	s_wait_dscnt 0x9
	v_fmac_f32_e32 v8, v22, v26
	s_wait_dscnt 0x8
	v_dual_mul_f32 v22, v23, v27 :: v_dual_sub_f32 v23, v24, v45
	s_wait_loadcnt 0x4
	v_lshlrev_b32_e32 v24, 16, v29
	v_add_f32_e32 v10, v10, v27
	v_lshlrev_b32_e32 v26, 16, v28
	s_wait_loadcnt_dscnt 0x7
	v_dual_fmac_f32 v8, v22, v42 :: v_dual_lshlrev_b32 v21, 16, v21
	s_wait_dscnt 0x6
	v_dual_mul_f32 v22, v23, v25 :: v_dual_sub_f32 v23, v24, v47
	v_lshlrev_b32_e32 v24, 16, v41
	v_dual_add_f32 v10, v10, v25 :: v_dual_lshlrev_b32 v25, 16, v40
	s_wait_dscnt 0x5
	s_delay_alu instid0(VALU_DEP_3)
	v_fmac_f32_e32 v8, v22, v44
	s_wait_dscnt 0x4
	v_dual_mul_f32 v22, v23, v26 :: v_dual_sub_f32 v23, v24, v49
	v_lshlrev_b32_e32 v20, 16, v20
	v_add_f32_e32 v10, v10, v26
	s_wait_dscnt 0x3
	s_delay_alu instid0(VALU_DEP_3)
	v_fmac_f32_e32 v8, v22, v46
	v_mul_f32_e32 v22, v23, v25
	s_wait_dscnt 0x2
	v_sub_f32_e32 v18, v20, v18
	v_add_f32_e32 v10, v10, v25
	s_wait_dscnt 0x1
	v_fmac_f32_e32 v8, v22, v48
	s_delay_alu instid0(VALU_DEP_3) | instskip(NEXT) | instid1(VALU_DEP_3)
	v_mul_f32_e32 v18, v18, v21
	v_add_f32_e32 v10, v10, v21
	s_wait_dscnt 0x0
	s_delay_alu instid0(VALU_DEP_2)
	v_fmac_f32_e32 v8, v18, v19
	s_wait_alu 0xfffe
	s_cbranch_vccz .LBB98_10
.LBB98_7:                               ; =>This Inner Loop Header: Depth=1
	v_dual_mov_b32 v19, 0 :: v_dual_mov_b32 v18, 0
	s_and_saveexec_b32 s1, s0
	s_cbranch_execz .LBB98_6
; %bb.8:                                ;   in Loop: Header=BB98_7 Depth=1
	v_dual_mov_b32 v18, 0 :: v_dual_mov_b32 v19, 0
	s_mov_b32 s30, exec_lo
	v_cmpx_gt_i64_e64 s[12:13], v[2:3]
	s_cbranch_execz .LBB98_5
; %bb.9:                                ;   in Loop: Header=BB98_7 Depth=1
	v_add_co_u32 v18, vcc_lo, s8, v4
	s_wait_alu 0xfffd
	v_add_co_ci_u32_e64 v19, null, s9, v5, vcc_lo
	v_add_co_u32 v20, vcc_lo, s10, v4
	s_wait_alu 0xfffd
	v_add_co_ci_u32_e64 v21, null, s11, v5, vcc_lo
	global_load_b32 v18, v[18:19], off
	global_load_b32 v19, v[20:21], off
	s_branch .LBB98_5
.LBB98_10:
	v_mov_b32_e32 v1, v6
	s_mov_b64 s[4:5], s[20:21]
.LBB98_11:
	s_load_u16 s2, s[4:5], 0xe
	v_mov_b32_e32 v2, 0
	s_mov_b32 s0, ttmp9
	s_mov_b32 s1, 0
	s_wait_alu 0xfffe
	s_lshl_b64 s[0:1], s[0:1], 6
	s_wait_kmcnt 0x0
	s_cmp_eq_u64 s[16:17], 0
	s_wait_alu 0xfffe
	v_add_co_u32 v0, s0, s0, v7
	s_wait_alu 0xf1ff
	v_mad_co_u64_u32 v[2:3], null, s2, ttmp7, v[1:2]
	v_add_co_ci_u32_e64 v1, null, s1, 0, s0
	s_delay_alu instid0(VALU_DEP_1) | instskip(NEXT) | instid1(VALU_DEP_3)
	v_lshlrev_b64_e32 v[0:1], 1, v[0:1]
	v_mul_lo_u32 v3, v3, s14
	s_delay_alu instid0(VALU_DEP_4)
	v_mul_lo_u32 v4, v2, s15
	s_cbranch_scc1 .LBB98_13
; %bb.12:
	v_mad_co_u64_u32 v[5:6], null, v2, s14, 0
	v_bfe_u32 v7, v8, 16, 1
	s_delay_alu instid0(VALU_DEP_1) | instskip(NEXT) | instid1(VALU_DEP_3)
	v_add3_u32 v7, v8, v7, 0x7fff
	v_add3_u32 v6, v6, v4, v3
	s_delay_alu instid0(VALU_DEP_2) | instskip(NEXT) | instid1(VALU_DEP_2)
	v_lshrrev_b32_e32 v7, 16, v7
	v_lshlrev_b64_e32 v[5:6], 1, v[5:6]
	s_delay_alu instid0(VALU_DEP_1) | instskip(SKIP_1) | instid1(VALU_DEP_2)
	v_add_co_u32 v5, vcc_lo, s16, v5
	s_wait_alu 0xfffd
	v_add_co_ci_u32_e64 v6, null, s17, v6, vcc_lo
	v_cmp_o_f32_e32 vcc_lo, v8, v8
	s_wait_alu 0xfffd
	v_cndmask_b32_e32 v7, 0x7fc0, v7, vcc_lo
	v_add_co_u32 v5, vcc_lo, v5, v0
	s_wait_alu 0xfffd
	v_add_co_ci_u32_e64 v6, null, v6, v1, vcc_lo
	global_store_b16 v[5:6], v7, off
.LBB98_13:
	s_cmp_eq_u64 s[18:19], 0
	s_cbranch_scc1 .LBB98_15
; %bb.14:
	v_mad_co_u64_u32 v[5:6], null, v2, s14, 0
	v_bfe_u32 v2, v10, 16, 1
	s_delay_alu instid0(VALU_DEP_2) | instskip(NEXT) | instid1(VALU_DEP_2)
	v_add3_u32 v6, v6, v4, v3
	v_add3_u32 v4, v10, v2, 0x7fff
	s_delay_alu instid0(VALU_DEP_2) | instskip(NEXT) | instid1(VALU_DEP_2)
	v_lshlrev_b64_e32 v[2:3], 1, v[5:6]
	v_lshrrev_b32_e32 v4, 16, v4
	s_delay_alu instid0(VALU_DEP_2) | instskip(SKIP_1) | instid1(VALU_DEP_3)
	v_add_co_u32 v2, vcc_lo, s18, v2
	s_wait_alu 0xfffd
	v_add_co_ci_u32_e64 v3, null, s19, v3, vcc_lo
	v_cmp_o_f32_e32 vcc_lo, v10, v10
	s_wait_alu 0xfffd
	v_cndmask_b32_e32 v4, 0x7fc0, v4, vcc_lo
	v_add_co_u32 v0, vcc_lo, v2, v0
	s_wait_alu 0xfffd
	v_add_co_ci_u32_e64 v1, null, v3, v1, vcc_lo
	global_store_b16 v[0:1], v4, off
.LBB98_15:
	s_endpgm
	.section	.rodata,"a",@progbits
	.p2align	6, 0x0
	.amdhsa_kernel _ZN2at6native12_GLOBAL__N_135GammaBetaBackwardCUDAKernelTemplateIN3c108BFloat16EfLj64ELj1ELj8ELb1ELb1ELb0EEEvllPKT_S7_PKT0_SA_PS5_SB_
		.amdhsa_group_segment_fixed_size 0
		.amdhsa_private_segment_fixed_size 0
		.amdhsa_kernarg_size 320
		.amdhsa_user_sgpr_count 2
		.amdhsa_user_sgpr_dispatch_ptr 0
		.amdhsa_user_sgpr_queue_ptr 0
		.amdhsa_user_sgpr_kernarg_segment_ptr 1
		.amdhsa_user_sgpr_dispatch_id 0
		.amdhsa_user_sgpr_private_segment_size 0
		.amdhsa_wavefront_size32 1
		.amdhsa_uses_dynamic_stack 0
		.amdhsa_enable_private_segment 0
		.amdhsa_system_sgpr_workgroup_id_x 1
		.amdhsa_system_sgpr_workgroup_id_y 1
		.amdhsa_system_sgpr_workgroup_id_z 0
		.amdhsa_system_sgpr_workgroup_info 0
		.amdhsa_system_vgpr_workitem_id 1
		.amdhsa_next_free_vgpr 50
		.amdhsa_next_free_sgpr 31
		.amdhsa_reserve_vcc 1
		.amdhsa_float_round_mode_32 0
		.amdhsa_float_round_mode_16_64 0
		.amdhsa_float_denorm_mode_32 3
		.amdhsa_float_denorm_mode_16_64 3
		.amdhsa_fp16_overflow 0
		.amdhsa_workgroup_processor_mode 1
		.amdhsa_memory_ordered 1
		.amdhsa_forward_progress 1
		.amdhsa_inst_pref_size 15
		.amdhsa_round_robin_scheduling 0
		.amdhsa_exception_fp_ieee_invalid_op 0
		.amdhsa_exception_fp_denorm_src 0
		.amdhsa_exception_fp_ieee_div_zero 0
		.amdhsa_exception_fp_ieee_overflow 0
		.amdhsa_exception_fp_ieee_underflow 0
		.amdhsa_exception_fp_ieee_inexact 0
		.amdhsa_exception_int_div_zero 0
	.end_amdhsa_kernel
	.section	.text._ZN2at6native12_GLOBAL__N_135GammaBetaBackwardCUDAKernelTemplateIN3c108BFloat16EfLj64ELj1ELj8ELb1ELb1ELb0EEEvllPKT_S7_PKT0_SA_PS5_SB_,"axG",@progbits,_ZN2at6native12_GLOBAL__N_135GammaBetaBackwardCUDAKernelTemplateIN3c108BFloat16EfLj64ELj1ELj8ELb1ELb1ELb0EEEvllPKT_S7_PKT0_SA_PS5_SB_,comdat
.Lfunc_end98:
	.size	_ZN2at6native12_GLOBAL__N_135GammaBetaBackwardCUDAKernelTemplateIN3c108BFloat16EfLj64ELj1ELj8ELb1ELb1ELb0EEEvllPKT_S7_PKT0_SA_PS5_SB_, .Lfunc_end98-_ZN2at6native12_GLOBAL__N_135GammaBetaBackwardCUDAKernelTemplateIN3c108BFloat16EfLj64ELj1ELj8ELb1ELb1ELb0EEEvllPKT_S7_PKT0_SA_PS5_SB_
                                        ; -- End function
	.set _ZN2at6native12_GLOBAL__N_135GammaBetaBackwardCUDAKernelTemplateIN3c108BFloat16EfLj64ELj1ELj8ELb1ELb1ELb0EEEvllPKT_S7_PKT0_SA_PS5_SB_.num_vgpr, 50
	.set _ZN2at6native12_GLOBAL__N_135GammaBetaBackwardCUDAKernelTemplateIN3c108BFloat16EfLj64ELj1ELj8ELb1ELb1ELb0EEEvllPKT_S7_PKT0_SA_PS5_SB_.num_agpr, 0
	.set _ZN2at6native12_GLOBAL__N_135GammaBetaBackwardCUDAKernelTemplateIN3c108BFloat16EfLj64ELj1ELj8ELb1ELb1ELb0EEEvllPKT_S7_PKT0_SA_PS5_SB_.numbered_sgpr, 31
	.set _ZN2at6native12_GLOBAL__N_135GammaBetaBackwardCUDAKernelTemplateIN3c108BFloat16EfLj64ELj1ELj8ELb1ELb1ELb0EEEvllPKT_S7_PKT0_SA_PS5_SB_.num_named_barrier, 0
	.set _ZN2at6native12_GLOBAL__N_135GammaBetaBackwardCUDAKernelTemplateIN3c108BFloat16EfLj64ELj1ELj8ELb1ELb1ELb0EEEvllPKT_S7_PKT0_SA_PS5_SB_.private_seg_size, 0
	.set _ZN2at6native12_GLOBAL__N_135GammaBetaBackwardCUDAKernelTemplateIN3c108BFloat16EfLj64ELj1ELj8ELb1ELb1ELb0EEEvllPKT_S7_PKT0_SA_PS5_SB_.uses_vcc, 1
	.set _ZN2at6native12_GLOBAL__N_135GammaBetaBackwardCUDAKernelTemplateIN3c108BFloat16EfLj64ELj1ELj8ELb1ELb1ELb0EEEvllPKT_S7_PKT0_SA_PS5_SB_.uses_flat_scratch, 0
	.set _ZN2at6native12_GLOBAL__N_135GammaBetaBackwardCUDAKernelTemplateIN3c108BFloat16EfLj64ELj1ELj8ELb1ELb1ELb0EEEvllPKT_S7_PKT0_SA_PS5_SB_.has_dyn_sized_stack, 0
	.set _ZN2at6native12_GLOBAL__N_135GammaBetaBackwardCUDAKernelTemplateIN3c108BFloat16EfLj64ELj1ELj8ELb1ELb1ELb0EEEvllPKT_S7_PKT0_SA_PS5_SB_.has_recursion, 0
	.set _ZN2at6native12_GLOBAL__N_135GammaBetaBackwardCUDAKernelTemplateIN3c108BFloat16EfLj64ELj1ELj8ELb1ELb1ELb0EEEvllPKT_S7_PKT0_SA_PS5_SB_.has_indirect_call, 0
	.section	.AMDGPU.csdata,"",@progbits
; Kernel info:
; codeLenInByte = 1896
; TotalNumSgprs: 33
; NumVgprs: 50
; ScratchSize: 0
; MemoryBound: 0
; FloatMode: 240
; IeeeMode: 1
; LDSByteSize: 0 bytes/workgroup (compile time only)
; SGPRBlocks: 0
; VGPRBlocks: 6
; NumSGPRsForWavesPerEU: 33
; NumVGPRsForWavesPerEU: 50
; Occupancy: 16
; WaveLimiterHint : 0
; COMPUTE_PGM_RSRC2:SCRATCH_EN: 0
; COMPUTE_PGM_RSRC2:USER_SGPR: 2
; COMPUTE_PGM_RSRC2:TRAP_HANDLER: 0
; COMPUTE_PGM_RSRC2:TGID_X_EN: 1
; COMPUTE_PGM_RSRC2:TGID_Y_EN: 1
; COMPUTE_PGM_RSRC2:TGID_Z_EN: 0
; COMPUTE_PGM_RSRC2:TIDIG_COMP_CNT: 1
	.section	.text._ZN2at6native12_GLOBAL__N_135GammaBetaBackwardCUDAKernelTemplateIN3c108BFloat16EfLj64ELj1ELj8ELb1ELb0ELb0EEEvllPKT_S7_PKT0_SA_PS5_SB_,"axG",@progbits,_ZN2at6native12_GLOBAL__N_135GammaBetaBackwardCUDAKernelTemplateIN3c108BFloat16EfLj64ELj1ELj8ELb1ELb0ELb0EEEvllPKT_S7_PKT0_SA_PS5_SB_,comdat
	.globl	_ZN2at6native12_GLOBAL__N_135GammaBetaBackwardCUDAKernelTemplateIN3c108BFloat16EfLj64ELj1ELj8ELb1ELb0ELb0EEEvllPKT_S7_PKT0_SA_PS5_SB_ ; -- Begin function _ZN2at6native12_GLOBAL__N_135GammaBetaBackwardCUDAKernelTemplateIN3c108BFloat16EfLj64ELj1ELj8ELb1ELb0ELb0EEEvllPKT_S7_PKT0_SA_PS5_SB_
	.p2align	8
	.type	_ZN2at6native12_GLOBAL__N_135GammaBetaBackwardCUDAKernelTemplateIN3c108BFloat16EfLj64ELj1ELj8ELb1ELb0ELb0EEEvllPKT_S7_PKT0_SA_PS5_SB_,@function
_ZN2at6native12_GLOBAL__N_135GammaBetaBackwardCUDAKernelTemplateIN3c108BFloat16EfLj64ELj1ELj8ELb1ELb0ELb0EEEvllPKT_S7_PKT0_SA_PS5_SB_: ; @_ZN2at6native12_GLOBAL__N_135GammaBetaBackwardCUDAKernelTemplateIN3c108BFloat16EfLj64ELj1ELj8ELb1ELb0ELb0EEEvllPKT_S7_PKT0_SA_PS5_SB_
; %bb.0:
	s_clause 0x1
	s_load_b256 s[4:11], s[0:1], 0x0
	s_load_b128 s[12:15], s[0:1], 0x20
	s_lshl_b32 s30, ttmp9, 6
	s_mov_b32 s17, 0
	s_or_b32 s16, s30, 63
	s_wait_kmcnt 0x0
	v_cmp_le_i64_e64 s2, s[6:7], s[16:17]
	s_lshl_b32 s16, ttmp7, 3
	s_wait_alu 0xfffe
	v_cmp_gt_i64_e64 s31, s[4:5], s[16:17]
	s_and_b32 vcc_lo, exec_lo, s2
	v_cndmask_b32_e64 v1, 0, 1, s31
	s_delay_alu instid0(VALU_DEP_1)
	v_cmp_ne_u32_e64 s2, 1, v1
	s_cbranch_vccz .LBB99_49
; %bb.1:
	v_mov_b32_e32 v10, 0
	v_mov_b32_e32 v54, 0
	s_and_b32 vcc_lo, exec_lo, s2
	s_cbranch_vccnz .LBB99_50
; %bb.2:
	v_bfe_u32 v22, v0, 10, 10
	v_dual_mov_b32 v1, 0 :: v_dual_and_b32 v24, 0x3ff, v0
	s_load_b32 s3, s[0:1], 0x44
	s_mov_b32 s19, 0
	s_delay_alu instid0(VALU_DEP_2) | instskip(NEXT) | instid1(VALU_DEP_2)
	v_dual_mov_b32 v54, 0 :: v_dual_lshlrev_b32 v23, 3, v22
	v_dual_mov_b32 v5, v1 :: v_dual_add_nc_u32 v4, s30, v24
	s_mov_b32 s23, s19
	s_delay_alu instid0(VALU_DEP_2) | instskip(NEXT) | instid1(VALU_DEP_1)
	v_add_co_u32 v10, s2, v23, s16
	v_add_co_ci_u32_e64 v11, null, 0, 0, s2
	s_delay_alu instid0(VALU_DEP_3) | instskip(NEXT) | instid1(VALU_DEP_3)
	v_cmp_gt_i64_e64 s2, s[6:7], v[4:5]
	v_mul_lo_u32 v6, s7, v10
	v_mad_co_u64_u32 v[2:3], null, s6, v10, 0
	s_delay_alu instid0(VALU_DEP_4)
	v_mul_lo_u32 v7, s6, v11
	v_lshlrev_b64_e32 v[18:19], 1, v[4:5]
	v_mov_b32_e32 v25, v1
	v_mov_b32_e32 v59, 0
	s_add_nc_u64 s[20:21], s[0:1], 64
	s_wait_kmcnt 0x0
	s_lshl_b32 s22, s3, 3
	s_mov_b64 s[26:27], 7
	s_mul_u64 s[24:25], s[6:7], s[22:23]
	v_add3_u32 v3, v3, v7, v6
	v_add_co_u32 v6, vcc_lo, v10, 7
	s_delay_alu instid0(VALU_DEP_1)
	v_add_co_ci_u32_e64 v7, null, 0, v11, vcc_lo
	v_add_co_u32 v8, vcc_lo, v10, 6
	s_wait_alu 0xfffd
	v_add_co_ci_u32_e64 v9, null, 0, v11, vcc_lo
	v_lshlrev_b64_e32 v[4:5], 1, v[2:3]
	v_mul_lo_u32 v12, s7, v6
	v_mul_lo_u32 v13, s6, v7
	v_mad_co_u64_u32 v[6:7], null, s6, v6, 0
	v_mul_lo_u32 v14, s7, v8
	v_mul_lo_u32 v15, s6, v9
	v_mad_co_u64_u32 v[8:9], null, s6, v8, 0
	v_add_co_u32 v26, vcc_lo, s8, v4
	s_wait_alu 0xfffd
	v_add_co_ci_u32_e64 v27, null, s9, v5, vcc_lo
	v_add_co_u32 v28, vcc_lo, s10, v4
	v_add3_u32 v7, v7, v13, v12
	s_wait_alu 0xfffd
	v_add_co_ci_u32_e64 v29, null, s11, v5, vcc_lo
	v_add_co_u32 v12, vcc_lo, v10, 5
	v_add3_u32 v9, v9, v15, v14
	s_wait_alu 0xfffd
	v_add_co_ci_u32_e64 v13, null, 0, v11, vcc_lo
	v_lshlrev_b64_e32 v[4:5], 1, v[6:7]
	v_mul_lo_u32 v14, s7, v12
	v_lshlrev_b64_e32 v[6:7], 1, v[8:9]
	s_delay_alu instid0(VALU_DEP_4)
	v_mul_lo_u32 v13, s6, v13
	v_mad_co_u64_u32 v[8:9], null, s6, v12, 0
	v_add_co_u32 v30, vcc_lo, s8, v4
	s_wait_alu 0xfffd
	v_add_co_ci_u32_e64 v31, null, s9, v5, vcc_lo
	v_add_co_u32 v32, vcc_lo, s10, v4
	s_wait_alu 0xfffd
	v_add_co_ci_u32_e64 v33, null, s11, v5, vcc_lo
	v_add_co_u32 v34, vcc_lo, s8, v6
	v_add3_u32 v9, v9, v13, v14
	s_wait_alu 0xfffd
	v_add_co_ci_u32_e64 v35, null, s9, v7, vcc_lo
	v_add_co_u32 v12, vcc_lo, v10, 4
	v_add_co_u32 v36, s3, s10, v6
	s_wait_alu 0xfffd
	v_add_co_ci_u32_e64 v6, null, 0, v11, vcc_lo
	v_lshlrev_b64_e32 v[4:5], 1, v[8:9]
	v_add_co_u32 v8, vcc_lo, v10, 3
	s_wait_alu 0xfffd
	v_add_co_ci_u32_e64 v9, null, 0, v11, vcc_lo
	s_wait_alu 0xf1ff
	v_add_co_ci_u32_e64 v37, null, s11, v7, s3
	v_mul_lo_u32 v13, s7, v12
	v_mul_lo_u32 v14, s6, v6
	v_mad_co_u64_u32 v[6:7], null, s6, v12, 0
	v_mul_lo_u32 v12, s7, v8
	v_mul_lo_u32 v15, s6, v9
	v_mad_co_u64_u32 v[8:9], null, s6, v8, 0
	v_add_co_u32 v38, vcc_lo, s8, v4
	s_wait_alu 0xfffd
	v_add_co_ci_u32_e64 v39, null, s9, v5, vcc_lo
	v_add3_u32 v7, v7, v14, v13
	v_add_co_u32 v40, vcc_lo, s10, v4
	s_wait_alu 0xfffd
	v_add_co_ci_u32_e64 v41, null, s11, v5, vcc_lo
	v_add_co_u32 v10, vcc_lo, v10, 2
	v_add3_u32 v9, v9, v15, v12
	s_wait_alu 0xfffd
	v_add_co_ci_u32_e64 v11, null, 0, v11, vcc_lo
	v_lshlrev_b64_e32 v[4:5], 1, v[6:7]
	v_mul_lo_u32 v12, s7, v10
	v_lshlrev_b64_e32 v[6:7], 1, v[8:9]
	s_delay_alu instid0(VALU_DEP_4)
	v_mul_lo_u32 v11, s6, v11
	v_mad_co_u64_u32 v[8:9], null, s6, v10, 0
	v_add_co_u32 v42, vcc_lo, s8, v4
	s_wait_alu 0xfffd
	v_add_co_ci_u32_e64 v43, null, s9, v5, vcc_lo
	v_add_co_u32 v44, vcc_lo, s10, v4
	s_wait_alu 0xfffd
	v_add_co_ci_u32_e64 v45, null, s11, v5, vcc_lo
	;; [unrolled: 3-line block ×3, first 2 shown]
	v_add3_u32 v9, v9, v11, v12
	v_add_co_u32 v48, vcc_lo, s10, v6
	s_wait_alu 0xfffd
	v_add_co_ci_u32_e64 v49, null, s11, v7, vcc_lo
	v_add_co_u32 v2, vcc_lo, v2, s6
	s_wait_alu 0xfffd
	v_add_co_ci_u32_e64 v3, null, s7, v3, vcc_lo
	v_lshlrev_b64_e32 v[4:5], 1, v[8:9]
	s_lshl_b64 s[24:25], s[24:25], 1
	s_mov_b64 s[28:29], s[16:17]
	s_delay_alu instid0(VALU_DEP_2) | instskip(NEXT) | instid1(VALU_DEP_2)
	v_lshlrev_b64_e32 v[2:3], 1, v[2:3]
	v_add_co_u32 v50, vcc_lo, s8, v4
	s_wait_alu 0xfffd
	v_add_co_ci_u32_e64 v51, null, s9, v5, vcc_lo
	v_add_co_u32 v52, vcc_lo, s10, v4
	s_wait_alu 0xfffd
	v_add_co_ci_u32_e64 v53, null, s11, v5, vcc_lo
	;; [unrolled: 3-line block ×4, first 2 shown]
.LBB99_3:                               ; =>This Inner Loop Header: Depth=1
	s_add_nc_u64 s[34:35], s[16:17], s[26:27]
	v_add_co_u32 v20, vcc_lo, s16, v23
	s_wait_alu 0xfffe
	v_cmp_ge_i64_e64 s3, s[34:35], s[4:5]
	s_wait_alu 0xfffd
	v_add_co_ci_u32_e64 v21, null, 0, v25, vcc_lo
                                        ; implicit-def: $vgpr10_vgpr11_vgpr12_vgpr13_vgpr14_vgpr15_vgpr16_vgpr17
                                        ; implicit-def: $vgpr2_vgpr3_vgpr4_vgpr5_vgpr6_vgpr7_vgpr8_vgpr9
                                        ; implicit-def: $vgpr61
                                        ; implicit-def: $vgpr2
                                        ; implicit-def: $vgpr10
                                        ; implicit-def: $vgpr3
	s_and_b32 vcc_lo, exec_lo, s3
	s_mov_b32 s3, -1
	s_wait_alu 0xfffe
	s_cbranch_vccz .LBB99_25
; %bb.4:                                ;   in Loop: Header=BB99_3 Depth=1
	s_load_b32 s3, s[20:21], 0xc
	v_dual_mov_b32 v60, 0 :: v_dual_mov_b32 v61, 0
	s_wait_kmcnt 0x0
	s_and_b32 s3, s3, 0xffff
	s_wait_alu 0xfffe
	v_mad_u32_u24 v2, v22, s3, v24
	s_mov_b32 s3, exec_lo
	s_delay_alu instid0(VALU_DEP_1) | instskip(NEXT) | instid1(VALU_DEP_1)
	v_and_b32_e32 v2, 31, v2
	v_cmpx_gt_u32_e32 8, v2
	s_cbranch_execz .LBB99_8
; %bb.5:                                ;   in Loop: Header=BB99_3 Depth=1
	v_add_co_u32 v2, vcc_lo, v20, v2
	s_wait_alu 0xfffd
	v_add_co_ci_u32_e64 v3, null, 0, v21, vcc_lo
	v_dual_mov_b32 v60, 0 :: v_dual_mov_b32 v61, 0
	s_mov_b32 s18, exec_lo
	s_delay_alu instid0(VALU_DEP_2)
	v_cmpx_gt_i64_e64 s[4:5], v[2:3]
	s_cbranch_execz .LBB99_7
; %bb.6:                                ;   in Loop: Header=BB99_3 Depth=1
	v_lshlrev_b64_e32 v[2:3], 2, v[2:3]
	s_delay_alu instid0(VALU_DEP_1) | instskip(SKIP_1) | instid1(VALU_DEP_2)
	v_add_co_u32 v4, vcc_lo, s12, v2
	s_wait_alu 0xfffd
	v_add_co_ci_u32_e64 v5, null, s13, v3, vcc_lo
	v_add_co_u32 v2, vcc_lo, s14, v2
	s_wait_alu 0xfffd
	v_add_co_ci_u32_e64 v3, null, s15, v3, vcc_lo
	global_load_b32 v60, v[4:5], off
	global_load_b32 v61, v[2:3], off
.LBB99_7:                               ;   in Loop: Header=BB99_3 Depth=1
	s_or_b32 exec_lo, exec_lo, s18
.LBB99_8:                               ;   in Loop: Header=BB99_3 Depth=1
	s_wait_alu 0xfffe
	s_or_b32 exec_lo, exec_lo, s3
	v_mov_b32_e32 v8, v1
	v_dual_mov_b32 v2, v1 :: v_dual_mov_b32 v3, v1
	v_dual_mov_b32 v4, v1 :: v_dual_mov_b32 v5, v1
	;; [unrolled: 1-line block ×3, first 2 shown]
	v_cmp_gt_i64_e32 vcc_lo, s[4:5], v[20:21]
	s_delay_alu instid0(VALU_DEP_3) | instskip(NEXT) | instid1(VALU_DEP_3)
	v_dual_mov_b32 v17, v8 :: v_dual_mov_b32 v14, v5
	v_dual_mov_b32 v15, v6 :: v_dual_mov_b32 v16, v7
	v_dual_mov_b32 v13, v4 :: v_dual_mov_b32 v12, v3
	v_dual_mov_b32 v11, v2 :: v_dual_mov_b32 v10, v1
	v_mov_b32_e32 v9, v8
	v_mov_b32_e32 v8, v7
	;; [unrolled: 1-line block ×8, first 2 shown]
	s_and_b32 s18, s2, vcc_lo
	s_delay_alu instid0(SALU_CYCLE_1)
	s_and_saveexec_b32 s3, s18
	s_cbranch_execz .LBB99_10
; %bb.9:                                ;   in Loop: Header=BB99_3 Depth=1
	v_add_co_u32 v2, vcc_lo, v26, v18
	s_wait_alu 0xfffd
	v_add_co_ci_u32_e64 v3, null, v27, v19, vcc_lo
	v_add_co_u32 v4, vcc_lo, v28, v18
	s_wait_alu 0xfffd
	v_add_co_ci_u32_e64 v5, null, v29, v19, vcc_lo
	global_load_u16 v2, v[2:3], off
	global_load_u16 v10, v[4:5], off
	v_dual_mov_b32 v3, v1 :: v_dual_mov_b32 v4, v1
	v_dual_mov_b32 v5, v1 :: v_dual_mov_b32 v6, v1
	;; [unrolled: 1-line block ×6, first 2 shown]
	v_mov_b32_e32 v15, v1
	s_wait_loadcnt 0x1
	v_dual_mov_b32 v17, v1 :: v_dual_lshlrev_b32 v2, 16, v2
	s_wait_loadcnt 0x0
	v_lshlrev_b32_e32 v10, 16, v10
.LBB99_10:                              ;   in Loop: Header=BB99_3 Depth=1
	s_wait_alu 0xfffe
	s_or_b32 exec_lo, exec_lo, s3
	v_add_co_u32 v62, vcc_lo, v20, 1
	s_wait_alu 0xfffd
	v_add_co_ci_u32_e64 v63, null, 0, v21, vcc_lo
	s_delay_alu instid0(VALU_DEP_1) | instskip(SKIP_1) | instid1(SALU_CYCLE_1)
	v_cmp_gt_i64_e32 vcc_lo, s[4:5], v[62:63]
	s_and_b32 s18, s2, vcc_lo
	s_and_saveexec_b32 s3, s18
	s_cbranch_execz .LBB99_12
; %bb.11:                               ;   in Loop: Header=BB99_3 Depth=1
	v_add_co_u32 v62, vcc_lo, v55, v18
	s_wait_alu 0xfffd
	v_add_co_ci_u32_e64 v63, null, v56, v19, vcc_lo
	v_add_co_u32 v64, vcc_lo, v57, v18
	s_wait_alu 0xfffd
	v_add_co_ci_u32_e64 v65, null, v58, v19, vcc_lo
	global_load_u16 v3, v[62:63], off
	global_load_u16 v11, v[64:65], off
	s_wait_loadcnt 0x1
	v_lshlrev_b32_e32 v3, 16, v3
	s_wait_loadcnt 0x0
	v_lshlrev_b32_e32 v11, 16, v11
.LBB99_12:                              ;   in Loop: Header=BB99_3 Depth=1
	s_wait_alu 0xfffe
	s_or_b32 exec_lo, exec_lo, s3
	v_add_co_u32 v62, vcc_lo, v20, 2
	s_wait_alu 0xfffd
	v_add_co_ci_u32_e64 v63, null, 0, v21, vcc_lo
	s_delay_alu instid0(VALU_DEP_1) | instskip(SKIP_1) | instid1(SALU_CYCLE_1)
	v_cmp_gt_i64_e32 vcc_lo, s[4:5], v[62:63]
	s_and_b32 s18, s2, vcc_lo
	s_and_saveexec_b32 s3, s18
	s_cbranch_execz .LBB99_14
; %bb.13:                               ;   in Loop: Header=BB99_3 Depth=1
	v_add_co_u32 v62, vcc_lo, v50, v18
	s_wait_alu 0xfffd
	v_add_co_ci_u32_e64 v63, null, v51, v19, vcc_lo
	v_add_co_u32 v64, vcc_lo, v52, v18
	s_wait_alu 0xfffd
	v_add_co_ci_u32_e64 v65, null, v53, v19, vcc_lo
	global_load_u16 v4, v[62:63], off
	global_load_u16 v12, v[64:65], off
	s_wait_loadcnt 0x1
	v_lshlrev_b32_e32 v4, 16, v4
	s_wait_loadcnt 0x0
	v_lshlrev_b32_e32 v12, 16, v12
.LBB99_14:                              ;   in Loop: Header=BB99_3 Depth=1
	;; [unrolled: 24-line block ×7, first 2 shown]
	s_wait_alu 0xfffe
	s_or_b32 exec_lo, exec_lo, s3
	s_wait_loadcnt 0x1
	ds_bpermute_b32 v62, v1, v60
	ds_bpermute_b32 v63, v1, v60 offset:4
	ds_bpermute_b32 v64, v1, v60 offset:8
	s_wait_loadcnt 0x0
	ds_bpermute_b32 v65, v1, v61
	ds_bpermute_b32 v66, v1, v60 offset:12
	ds_bpermute_b32 v67, v1, v61 offset:4
	;; [unrolled: 1-line block ×7, first 2 shown]
	s_mov_b32 s3, 0
	s_wait_dscnt 0x9
	v_dual_sub_f32 v10, v10, v62 :: v_dual_sub_f32 v11, v11, v63
	v_add_f32_e32 v62, v54, v2
	s_wait_dscnt 0x8
	v_sub_f32_e32 v12, v12, v64
	ds_bpermute_b32 v63, v1, v61 offset:16
	ds_bpermute_b32 v64, v1, v61 offset:20
	v_mul_f32_e32 v11, v3, v11
	v_add_f32_e32 v3, v3, v62
	s_delay_alu instid0(VALU_DEP_1) | instskip(SKIP_1) | instid1(VALU_DEP_1)
	v_dual_mul_f32 v2, v2, v10 :: v_dual_add_f32 v3, v4, v3
	s_wait_dscnt 0x9
	v_fma_f32 v10, v2, v65, v59
	s_wait_dscnt 0x8
	v_sub_f32_e32 v2, v13, v66
	ds_bpermute_b32 v65, v1, v61 offset:24
	ds_bpermute_b32 v61, v1, v61 offset:28
	v_add_f32_e32 v3, v5, v3
	s_wait_dscnt 0x8
	v_dual_fmac_f32 v10, v11, v67 :: v_dual_sub_f32 v11, v14, v68
	v_dual_mul_f32 v12, v4, v12 :: v_dual_mul_f32 v13, v5, v2
	s_wait_dscnt 0x5
	v_dual_sub_f32 v5, v16, v72 :: v_dual_sub_f32 v4, v15, v71
	ds_bpermute_b32 v2, v1, v60 offset:28
	v_dual_fmac_f32 v10, v12, v69 :: v_dual_mul_f32 v11, v6, v11
	v_dual_mul_f32 v5, v8, v5 :: v_dual_mul_f32 v4, v7, v4
	s_wait_dscnt 0x5
	s_delay_alu instid0(VALU_DEP_2) | instskip(NEXT) | instid1(VALU_DEP_1)
	v_dual_add_f32 v3, v6, v3 :: v_dual_fmac_f32 v10, v13, v70
	v_add_f32_e32 v3, v7, v3
	s_wait_dscnt 0x4
	s_delay_alu instid0(VALU_DEP_2) | instskip(NEXT) | instid1(VALU_DEP_2)
	v_fmac_f32_e32 v10, v11, v63
	v_add_f32_e32 v3, v8, v3
	s_wait_dscnt 0x3
	s_delay_alu instid0(VALU_DEP_2) | instskip(SKIP_1) | instid1(VALU_DEP_1)
	v_fmac_f32_e32 v10, v4, v64
	s_wait_dscnt 0x2
	v_fmac_f32_e32 v10, v5, v65
.LBB99_25:                              ;   in Loop: Header=BB99_3 Depth=1
	s_wait_alu 0xfffe
	s_and_b32 vcc_lo, exec_lo, s3
	s_wait_alu 0xfffe
	s_cbranch_vccz .LBB99_40
; %bb.26:                               ;   in Loop: Header=BB99_3 Depth=1
	s_load_b32 s3, s[20:21], 0x0
	s_wait_dscnt 0x1
	v_dual_mov_b32 v60, 0 :: v_dual_mov_b32 v61, 0
	s_wait_kmcnt 0x0
	s_cmp_lt_u32 ttmp9, s3
	s_cselect_b32 s18, 12, 18
	s_delay_alu instid0(SALU_CYCLE_1)
	s_add_nc_u64 s[34:35], s[20:21], s[18:19]
	s_load_u16 s3, s[34:35], 0x0
	s_wait_dscnt 0x0
	s_wait_kmcnt 0x0
	v_mad_u32_u24 v2, v22, s3, v24
	s_mov_b32 s3, exec_lo
	s_delay_alu instid0(VALU_DEP_1) | instskip(NEXT) | instid1(VALU_DEP_1)
	v_and_b32_e32 v2, 31, v2
	v_cmpx_gt_u32_e32 8, v2
	s_cbranch_execz .LBB99_30
; %bb.27:                               ;   in Loop: Header=BB99_3 Depth=1
	v_add_co_u32 v2, vcc_lo, v20, v2
	s_wait_alu 0xfffd
	v_add_co_ci_u32_e64 v3, null, 0, v21, vcc_lo
	v_dual_mov_b32 v60, 0 :: v_dual_mov_b32 v61, 0
	s_mov_b32 s18, exec_lo
	s_delay_alu instid0(VALU_DEP_2)
	v_cmpx_gt_i64_e64 s[4:5], v[2:3]
	s_cbranch_execz .LBB99_29
; %bb.28:                               ;   in Loop: Header=BB99_3 Depth=1
	v_lshlrev_b64_e32 v[2:3], 2, v[2:3]
	s_delay_alu instid0(VALU_DEP_1) | instskip(SKIP_1) | instid1(VALU_DEP_2)
	v_add_co_u32 v4, vcc_lo, s12, v2
	s_wait_alu 0xfffd
	v_add_co_ci_u32_e64 v5, null, s13, v3, vcc_lo
	v_add_co_u32 v2, vcc_lo, s14, v2
	s_wait_alu 0xfffd
	v_add_co_ci_u32_e64 v3, null, s15, v3, vcc_lo
	global_load_b32 v60, v[4:5], off
	global_load_b32 v61, v[2:3], off
.LBB99_29:                              ;   in Loop: Header=BB99_3 Depth=1
	s_or_b32 exec_lo, exec_lo, s18
.LBB99_30:                              ;   in Loop: Header=BB99_3 Depth=1
	s_wait_alu 0xfffe
	s_or_b32 exec_lo, exec_lo, s3
	v_mov_b32_e32 v8, v1
	v_dual_mov_b32 v2, v1 :: v_dual_mov_b32 v3, v1
	v_dual_mov_b32 v4, v1 :: v_dual_mov_b32 v5, v1
	;; [unrolled: 1-line block ×3, first 2 shown]
	s_delay_alu instid0(VALU_DEP_4) | instskip(NEXT) | instid1(VALU_DEP_3)
	v_mov_b32_e32 v17, v8
	v_dual_mov_b32 v13, v4 :: v_dual_mov_b32 v12, v3
	s_delay_alu instid0(VALU_DEP_3) | instskip(NEXT) | instid1(VALU_DEP_4)
	v_dual_mov_b32 v15, v6 :: v_dual_mov_b32 v14, v5
	v_dual_mov_b32 v16, v7 :: v_dual_mov_b32 v11, v2
	;; [unrolled: 1-line block ×3, first 2 shown]
	v_mov_b32_e32 v8, v7
	v_mov_b32_e32 v7, v6
	;; [unrolled: 1-line block ×7, first 2 shown]
	s_and_saveexec_b32 s3, s2
	s_cbranch_execnz .LBB99_42
; %bb.31:                               ;   in Loop: Header=BB99_3 Depth=1
	s_wait_alu 0xfffe
	s_or_b32 exec_lo, exec_lo, s3
	s_and_saveexec_b32 s3, s2
	s_cbranch_execnz .LBB99_43
.LBB99_32:                              ;   in Loop: Header=BB99_3 Depth=1
	s_wait_alu 0xfffe
	s_or_b32 exec_lo, exec_lo, s3
	s_and_saveexec_b32 s3, s2
	s_cbranch_execnz .LBB99_44
.LBB99_33:                              ;   in Loop: Header=BB99_3 Depth=1
	s_wait_alu 0xfffe
	s_or_b32 exec_lo, exec_lo, s3
	s_and_saveexec_b32 s3, s2
	s_cbranch_execnz .LBB99_45
.LBB99_34:                              ;   in Loop: Header=BB99_3 Depth=1
	s_wait_alu 0xfffe
	s_or_b32 exec_lo, exec_lo, s3
	s_and_saveexec_b32 s3, s2
	s_cbranch_execnz .LBB99_46
.LBB99_35:                              ;   in Loop: Header=BB99_3 Depth=1
	s_wait_alu 0xfffe
	s_or_b32 exec_lo, exec_lo, s3
	s_and_saveexec_b32 s3, s2
	s_cbranch_execnz .LBB99_47
.LBB99_36:                              ;   in Loop: Header=BB99_3 Depth=1
	s_wait_alu 0xfffe
	s_or_b32 exec_lo, exec_lo, s3
	s_and_saveexec_b32 s3, s2
	s_cbranch_execnz .LBB99_48
.LBB99_37:                              ;   in Loop: Header=BB99_3 Depth=1
	s_wait_alu 0xfffe
	s_or_b32 exec_lo, exec_lo, s3
	s_and_saveexec_b32 s3, s2
	s_cbranch_execz .LBB99_39
.LBB99_38:                              ;   in Loop: Header=BB99_3 Depth=1
	v_add_co_u32 v20, vcc_lo, v30, v18
	s_wait_alu 0xfffd
	v_add_co_ci_u32_e64 v21, null, v31, v19, vcc_lo
	v_add_co_u32 v62, vcc_lo, v32, v18
	s_wait_alu 0xfffd
	v_add_co_ci_u32_e64 v63, null, v33, v19, vcc_lo
	global_load_u16 v9, v[20:21], off
	global_load_u16 v17, v[62:63], off
	s_wait_loadcnt 0x1
	v_lshlrev_b32_e32 v9, 16, v9
	s_wait_loadcnt 0x0
	v_lshlrev_b32_e32 v17, 16, v17
.LBB99_39:                              ;   in Loop: Header=BB99_3 Depth=1
	s_wait_alu 0xfffe
	s_or_b32 exec_lo, exec_lo, s3
	s_wait_loadcnt 0x1
	ds_bpermute_b32 v20, v1, v60
	ds_bpermute_b32 v21, v1, v60 offset:4
	ds_bpermute_b32 v62, v1, v60 offset:8
	s_wait_loadcnt 0x0
	ds_bpermute_b32 v63, v1, v61
	ds_bpermute_b32 v64, v1, v60 offset:12
	ds_bpermute_b32 v65, v1, v61 offset:4
	;; [unrolled: 1-line block ×5, first 2 shown]
	s_wait_dscnt 0x7
	v_dual_sub_f32 v10, v10, v20 :: v_dual_sub_f32 v11, v11, v21
	ds_bpermute_b32 v20, v1, v61 offset:12
	ds_bpermute_b32 v21, v1, v61 offset:16
	s_wait_dscnt 0x6
	v_dual_sub_f32 v13, v13, v64 :: v_dual_mul_f32 v10, v2, v10
	v_dual_mul_f32 v11, v3, v11 :: v_dual_add_f32 v2, v54, v2
	v_sub_f32_e32 v12, v12, v62
	ds_bpermute_b32 v54, v1, v61 offset:20
	v_fmac_f32_e32 v59, v10, v63
	ds_bpermute_b32 v10, v1, v60 offset:24
	v_add_f32_e32 v2, v3, v2
	s_wait_dscnt 0x7
	v_dual_mul_f32 v12, v4, v12 :: v_dual_fmac_f32 v59, v11, v65
	s_delay_alu instid0(VALU_DEP_2)
	v_dual_mul_f32 v11, v5, v13 :: v_dual_add_f32 v4, v4, v2
	s_wait_dscnt 0x4
	v_sub_f32_e32 v13, v15, v68
	v_sub_f32_e32 v3, v14, v66
	ds_bpermute_b32 v2, v1, v60 offset:28
	v_dual_add_f32 v4, v5, v4 :: v_dual_fmac_f32 v59, v12, v67
	ds_bpermute_b32 v12, v1, v61 offset:24
	ds_bpermute_b32 v61, v1, v61 offset:28
	v_dual_mul_f32 v5, v7, v13 :: v_dual_add_f32 v4, v6, v4
	v_mul_f32_e32 v3, v6, v3
	s_wait_dscnt 0x6
	v_fmac_f32_e32 v59, v11, v20
	s_delay_alu instid0(VALU_DEP_3) | instskip(SKIP_1) | instid1(VALU_DEP_2)
	v_add_f32_e32 v4, v7, v4
	s_wait_dscnt 0x5
	v_fmac_f32_e32 v59, v3, v21
	s_wait_dscnt 0x3
	v_sub_f32_e32 v3, v16, v10
	s_delay_alu instid0(VALU_DEP_2) | instskip(NEXT) | instid1(VALU_DEP_2)
	v_fmac_f32_e32 v59, v5, v54
	v_mul_f32_e32 v3, v8, v3
	s_wait_dscnt 0x1
	s_delay_alu instid0(VALU_DEP_1) | instskip(NEXT) | instid1(VALU_DEP_1)
	v_fmac_f32_e32 v59, v3, v12
	v_dual_add_f32 v3, v8, v4 :: v_dual_mov_b32 v10, v59
.LBB99_40:                              ;   in Loop: Header=BB99_3 Depth=1
	v_add_co_u32 v26, vcc_lo, v26, s24
	s_wait_alu 0xfffd
	v_add_co_ci_u32_e64 v27, null, s25, v27, vcc_lo
	v_add_co_u32 v28, vcc_lo, v28, s24
	s_wait_alu 0xfffd
	v_add_co_ci_u32_e64 v29, null, s25, v29, vcc_lo
	;; [unrolled: 3-line block ×11, first 2 shown]
	v_add_co_u32 v48, vcc_lo, v48, s24
	s_wait_dscnt 0x0
	v_sub_f32_e32 v2, v17, v2
	s_wait_alu 0xfffd
	v_add_co_ci_u32_e64 v49, null, s25, v49, vcc_lo
	v_add_co_u32 v50, vcc_lo, v50, s24
	s_wait_alu 0xfffd
	v_add_co_ci_u32_e64 v51, null, s25, v51, vcc_lo
	v_add_co_u32 v52, vcc_lo, v52, s24
	;; [unrolled: 3-line block ×3, first 2 shown]
	s_add_nc_u64 s[28:29], s[28:29], s[22:23]
	v_mul_f32_e32 v2, v9, v2
	s_wait_alu 0xfffd
	v_add_co_ci_u32_e64 v56, null, s25, v56, vcc_lo
	v_add_co_u32 v57, vcc_lo, v57, s24
	s_wait_alu 0xfffe
	v_cmp_lt_i64_e64 s3, s[28:29], s[4:5]
	s_wait_alu 0xfffd
	v_add_co_ci_u32_e64 v58, null, s25, v58, vcc_lo
	v_add_co_u32 v23, vcc_lo, v23, s22
	v_add_f32_e32 v54, v3, v9
	v_fmac_f32_e32 v10, v2, v61
	s_wait_alu 0xfffd
	v_add_co_ci_u32_e64 v25, null, 0, v25, vcc_lo
	s_and_b32 vcc_lo, exec_lo, s3
	s_add_nc_u64 s[26:27], s[26:27], s[22:23]
	s_wait_alu 0xfffe
	s_cbranch_vccz .LBB99_50
; %bb.41:                               ;   in Loop: Header=BB99_3 Depth=1
	v_mov_b32_e32 v59, v10
	s_branch .LBB99_3
.LBB99_42:                              ;   in Loop: Header=BB99_3 Depth=1
	v_add_co_u32 v2, vcc_lo, v26, v18
	s_wait_alu 0xfffd
	v_add_co_ci_u32_e64 v3, null, v27, v19, vcc_lo
	v_add_co_u32 v4, vcc_lo, v28, v18
	s_wait_alu 0xfffd
	v_add_co_ci_u32_e64 v5, null, v29, v19, vcc_lo
	global_load_u16 v2, v[2:3], off
	global_load_u16 v10, v[4:5], off
	v_dual_mov_b32 v3, v1 :: v_dual_mov_b32 v4, v1
	v_dual_mov_b32 v5, v1 :: v_dual_mov_b32 v6, v1
	;; [unrolled: 1-line block ×6, first 2 shown]
	v_mov_b32_e32 v15, v1
	s_wait_loadcnt 0x1
	v_dual_mov_b32 v17, v1 :: v_dual_lshlrev_b32 v2, 16, v2
	s_wait_loadcnt 0x0
	v_lshlrev_b32_e32 v10, 16, v10
	s_wait_alu 0xfffe
	s_or_b32 exec_lo, exec_lo, s3
	s_and_saveexec_b32 s3, s2
	s_cbranch_execz .LBB99_32
.LBB99_43:                              ;   in Loop: Header=BB99_3 Depth=1
	v_add_co_u32 v20, vcc_lo, v55, v18
	s_wait_alu 0xfffd
	v_add_co_ci_u32_e64 v21, null, v56, v19, vcc_lo
	v_add_co_u32 v62, vcc_lo, v57, v18
	s_wait_alu 0xfffd
	v_add_co_ci_u32_e64 v63, null, v58, v19, vcc_lo
	global_load_u16 v3, v[20:21], off
	global_load_u16 v11, v[62:63], off
	s_wait_loadcnt 0x1
	v_lshlrev_b32_e32 v3, 16, v3
	s_wait_loadcnt 0x0
	v_lshlrev_b32_e32 v11, 16, v11
	s_wait_alu 0xfffe
	s_or_b32 exec_lo, exec_lo, s3
	s_and_saveexec_b32 s3, s2
	s_cbranch_execz .LBB99_33
.LBB99_44:                              ;   in Loop: Header=BB99_3 Depth=1
	v_add_co_u32 v20, vcc_lo, v50, v18
	s_wait_alu 0xfffd
	v_add_co_ci_u32_e64 v21, null, v51, v19, vcc_lo
	v_add_co_u32 v62, vcc_lo, v52, v18
	s_wait_alu 0xfffd
	v_add_co_ci_u32_e64 v63, null, v53, v19, vcc_lo
	global_load_u16 v4, v[20:21], off
	global_load_u16 v12, v[62:63], off
	s_wait_loadcnt 0x1
	v_lshlrev_b32_e32 v4, 16, v4
	s_wait_loadcnt 0x0
	v_lshlrev_b32_e32 v12, 16, v12
	s_wait_alu 0xfffe
	s_or_b32 exec_lo, exec_lo, s3
	s_and_saveexec_b32 s3, s2
	s_cbranch_execz .LBB99_34
.LBB99_45:                              ;   in Loop: Header=BB99_3 Depth=1
	v_add_co_u32 v20, vcc_lo, v46, v18
	s_wait_alu 0xfffd
	v_add_co_ci_u32_e64 v21, null, v47, v19, vcc_lo
	v_add_co_u32 v62, vcc_lo, v48, v18
	s_wait_alu 0xfffd
	v_add_co_ci_u32_e64 v63, null, v49, v19, vcc_lo
	global_load_u16 v5, v[20:21], off
	global_load_u16 v13, v[62:63], off
	s_wait_loadcnt 0x1
	v_lshlrev_b32_e32 v5, 16, v5
	s_wait_loadcnt 0x0
	v_lshlrev_b32_e32 v13, 16, v13
	s_wait_alu 0xfffe
	s_or_b32 exec_lo, exec_lo, s3
	s_and_saveexec_b32 s3, s2
	s_cbranch_execz .LBB99_35
.LBB99_46:                              ;   in Loop: Header=BB99_3 Depth=1
	v_add_co_u32 v20, vcc_lo, v42, v18
	s_wait_alu 0xfffd
	v_add_co_ci_u32_e64 v21, null, v43, v19, vcc_lo
	v_add_co_u32 v62, vcc_lo, v44, v18
	s_wait_alu 0xfffd
	v_add_co_ci_u32_e64 v63, null, v45, v19, vcc_lo
	global_load_u16 v6, v[20:21], off
	global_load_u16 v14, v[62:63], off
	s_wait_loadcnt 0x1
	v_lshlrev_b32_e32 v6, 16, v6
	s_wait_loadcnt 0x0
	v_lshlrev_b32_e32 v14, 16, v14
	s_wait_alu 0xfffe
	s_or_b32 exec_lo, exec_lo, s3
	s_and_saveexec_b32 s3, s2
	s_cbranch_execz .LBB99_36
.LBB99_47:                              ;   in Loop: Header=BB99_3 Depth=1
	v_add_co_u32 v20, vcc_lo, v38, v18
	s_wait_alu 0xfffd
	v_add_co_ci_u32_e64 v21, null, v39, v19, vcc_lo
	v_add_co_u32 v62, vcc_lo, v40, v18
	s_wait_alu 0xfffd
	v_add_co_ci_u32_e64 v63, null, v41, v19, vcc_lo
	global_load_u16 v7, v[20:21], off
	global_load_u16 v15, v[62:63], off
	s_wait_loadcnt 0x1
	v_lshlrev_b32_e32 v7, 16, v7
	s_wait_loadcnt 0x0
	v_lshlrev_b32_e32 v15, 16, v15
	s_wait_alu 0xfffe
	s_or_b32 exec_lo, exec_lo, s3
	s_and_saveexec_b32 s3, s2
	s_cbranch_execz .LBB99_37
.LBB99_48:                              ;   in Loop: Header=BB99_3 Depth=1
	v_add_co_u32 v20, vcc_lo, v34, v18
	s_wait_alu 0xfffd
	v_add_co_ci_u32_e64 v21, null, v35, v19, vcc_lo
	v_add_co_u32 v62, vcc_lo, v36, v18
	s_wait_alu 0xfffd
	v_add_co_ci_u32_e64 v63, null, v37, v19, vcc_lo
	global_load_u16 v8, v[20:21], off
	global_load_u16 v16, v[62:63], off
	s_wait_loadcnt 0x1
	v_lshlrev_b32_e32 v8, 16, v8
	s_wait_loadcnt 0x0
	v_lshlrev_b32_e32 v16, 16, v16
	s_wait_alu 0xfffe
	s_or_b32 exec_lo, exec_lo, s3
	s_and_saveexec_b32 s3, s2
	s_cbranch_execnz .LBB99_38
	s_branch .LBB99_39
.LBB99_49:
                                        ; implicit-def: $vgpr10
                                        ; implicit-def: $vgpr54
	s_branch .LBB99_51
.LBB99_50:
	s_cbranch_execnz .LBB99_83
.LBB99_51:
	v_mov_b32_e32 v10, 0
	v_mov_b32_e32 v54, 0
	s_and_not1_b32 vcc_lo, exec_lo, s31
	s_wait_alu 0xfffe
	s_cbranch_vccnz .LBB99_83
; %bb.52:
	v_bfe_u32 v50, v0, 10, 10
	v_dual_mov_b32 v1, 0 :: v_dual_and_b32 v52, 0x3ff, v0
	s_lshl_b64 s[22:23], s[16:17], 1
	s_mov_b32 s3, 0
	s_delay_alu instid0(VALU_DEP_2) | instskip(NEXT) | instid1(VALU_DEP_2)
	v_dual_mov_b32 v88, 0 :: v_dual_lshlrev_b32 v51, 3, v50
	v_dual_mov_b32 v53, v1 :: v_dual_lshlrev_b32 v8, 4, v50
	v_dual_mov_b32 v5, v1 :: v_dual_add_nc_u32 v4, s30, v52
	s_delay_alu instid0(VALU_DEP_3) | instskip(SKIP_2) | instid1(VALU_DEP_3)
	v_add_co_u32 v10, s2, v51, s16
	s_wait_alu 0xf1ff
	v_add_co_ci_u32_e64 v11, null, 0, 0, s2
	v_lshlrev_b64_e32 v[18:19], 1, v[4:5]
	s_delay_alu instid0(VALU_DEP_3) | instskip(SKIP_1) | instid1(VALU_DEP_4)
	v_mul_lo_u32 v6, s7, v10
	v_mad_co_u64_u32 v[2:3], null, s6, v10, 0
	v_mul_lo_u32 v7, s6, v11
	s_load_b32 s2, s[0:1], 0x44
	s_mov_b32 s21, s3
	v_mov_b32_e32 v87, 0
	s_add_nc_u64 s[18:19], s[0:1], 64
	s_delay_alu instid0(VALU_DEP_2) | instskip(SKIP_1) | instid1(VALU_DEP_1)
	v_add3_u32 v3, v3, v7, v6
	v_add_co_u32 v6, s20, v8, s22
	v_add_co_ci_u32_e64 v7, null, 0, s23, s20
	s_delay_alu instid0(VALU_DEP_3) | instskip(NEXT) | instid1(VALU_DEP_3)
	v_lshlrev_b64_e32 v[4:5], 1, v[2:3]
	v_add_co_u32 v8, vcc_lo, v6, 2
	s_wait_alu 0xfffd
	s_delay_alu instid0(VALU_DEP_3) | instskip(NEXT) | instid1(VALU_DEP_3)
	v_add_co_ci_u32_e64 v9, null, 0, v7, vcc_lo
	v_add_co_u32 v55, vcc_lo, s8, v4
	s_wait_alu 0xfffd
	v_add_co_ci_u32_e64 v56, null, s9, v5, vcc_lo
	v_add_co_u32 v57, vcc_lo, s10, v4
	s_wait_alu 0xfffd
	;; [unrolled: 3-line block ×5, first 2 shown]
	v_add_co_ci_u32_e64 v28, null, 0, v7, vcc_lo
	v_add_co_u32 v42, vcc_lo, v6, 10
	v_mad_co_u64_u32 v[22:23], null, s6, v4, s[8:9]
	v_mul_lo_u32 v5, s6, v5
	v_mul_lo_u32 v15, s7, v4
	v_mad_co_u64_u32 v[36:37], null, s6, v4, s[10:11]
	s_wait_alu 0xfffd
	v_add_co_ci_u32_e64 v30, null, 0, v7, vcc_lo
	v_add_co_u32 v44, vcc_lo, v6, 12
	s_wait_alu 0xfffd
	v_add_co_ci_u32_e64 v32, null, 0, v7, vcc_lo
	v_add_co_u32 v6, vcc_lo, v6, 14
	v_mad_co_u64_u32 v[20:21], null, s6, v8, s[8:9]
	v_mul_lo_u32 v9, s6, v9
	v_mul_lo_u32 v12, s7, v8
	v_mad_co_u64_u32 v[34:35], null, s6, v8, s[10:11]
	s_wait_alu 0xfffd
	v_add_co_ci_u32_e64 v7, null, 0, v7, vcc_lo
	v_add_co_u32 v4, vcc_lo, v10, 7
	v_add3_u32 v23, v15, v23, v5
	v_add3_u32 v37, v15, v37, v5
	s_wait_alu 0xfffd
	v_add_co_ci_u32_e64 v5, null, 0, v11, vcc_lo
	v_mul_lo_u32 v62, s6, v7
	v_add_co_u32 v7, vcc_lo, v10, 6
	v_add3_u32 v21, v12, v21, v9
	v_add3_u32 v35, v12, v35, v9
	s_wait_alu 0xfffd
	v_add_co_ci_u32_e64 v12, null, 0, v11, vcc_lo
	v_mul_lo_u32 v8, s7, v4
	v_mul_lo_u32 v9, s6, v5
	v_mad_co_u64_u32 v[4:5], null, s6, v4, 0
	v_mad_co_u64_u32 v[24:25], null, s6, v13, s[8:9]
	v_mul_lo_u32 v17, s7, v13
	v_mul_lo_u32 v60, s6, v32
	v_mad_co_u64_u32 v[32:33], null, s6, v6, s[8:9]
	v_mul_lo_u32 v63, s7, v6
	v_mad_co_u64_u32 v[38:39], null, s6, v13, s[10:11]
	v_mad_co_u64_u32 v[46:47], null, s6, v6, s[10:11]
	v_mul_lo_u32 v13, s7, v7
	v_mul_lo_u32 v12, s6, v12
	v_mad_co_u64_u32 v[6:7], null, s6, v7, 0
	v_add3_u32 v5, v5, v9, v8
	v_add_co_u32 v8, vcc_lo, v10, 5
	v_mul_lo_u32 v48, s6, v28
	v_mad_co_u64_u32 v[28:29], null, s6, v42, s[8:9]
	v_mul_lo_u32 v54, s6, v30
	v_mul_lo_u32 v59, s7, v42
	v_mad_co_u64_u32 v[42:43], null, s6, v42, s[10:11]
	s_wait_alu 0xfffd
	v_add_co_ci_u32_e64 v9, null, 0, v11, vcc_lo
	v_add3_u32 v7, v7, v12, v13
	v_mad_co_u64_u32 v[30:31], null, s6, v44, s[8:9]
	v_mul_lo_u32 v61, s7, v44
	v_mad_co_u64_u32 v[44:45], null, s6, v44, s[10:11]
	v_lshlrev_b64_e32 v[4:5], 1, v[4:5]
	v_mul_lo_u32 v12, s7, v8
	v_mul_lo_u32 v13, s6, v9
	v_mad_co_u64_u32 v[8:9], null, s6, v8, 0
	v_lshlrev_b64_e32 v[6:7], 1, v[6:7]
	v_add3_u32 v29, v59, v29, v54
	v_add3_u32 v43, v59, v43, v54
	v_add_co_u32 v59, vcc_lo, s8, v4
	v_add3_u32 v31, v61, v31, v60
	v_add3_u32 v45, v61, v45, v60
	s_wait_alu 0xfffd
	v_add_co_ci_u32_e64 v60, null, s9, v5, vcc_lo
	v_add_co_u32 v61, vcc_lo, s10, v4
	v_add3_u32 v33, v63, v33, v62
	v_add3_u32 v47, v63, v47, v62
	s_wait_alu 0xfffd
	v_add_co_ci_u32_e64 v62, null, s11, v5, vcc_lo
	v_add_co_u32 v63, vcc_lo, s8, v6
	v_mul_lo_u32 v14, s6, v14
	v_add3_u32 v9, v9, v13, v12
	s_wait_alu 0xfffd
	v_add_co_ci_u32_e64 v64, null, s9, v7, vcc_lo
	v_add_co_u32 v12, vcc_lo, v10, 4
	s_wait_kmcnt 0x0
	s_lshl_b32 s20, s2, 3
	v_add_co_u32 v65, s2, s10, v6
	s_wait_alu 0xfffd
	v_add_co_ci_u32_e64 v6, null, 0, v11, vcc_lo
	v_lshlrev_b64_e32 v[4:5], 1, v[8:9]
	v_add_co_u32 v8, vcc_lo, v10, 3
	s_wait_alu 0xfffd
	v_add_co_ci_u32_e64 v9, null, 0, v11, vcc_lo
	v_add3_u32 v25, v17, v25, v14
	v_add3_u32 v39, v17, v39, v14
	s_wait_alu 0xf1ff
	v_add_co_ci_u32_e64 v66, null, s11, v7, s2
	v_mul_lo_u32 v13, s7, v12
	v_mul_lo_u32 v14, s6, v6
	v_mad_co_u64_u32 v[6:7], null, s6, v12, 0
	v_mul_lo_u32 v12, s7, v8
	v_mul_lo_u32 v15, s6, v9
	v_mad_co_u64_u32 v[8:9], null, s6, v8, 0
	v_add_co_u32 v67, vcc_lo, s8, v4
	s_wait_alu 0xfffd
	v_add_co_ci_u32_e64 v68, null, s9, v5, vcc_lo
	v_add3_u32 v7, v7, v14, v13
	v_add_co_u32 v69, vcc_lo, s10, v4
	s_wait_alu 0xfffd
	v_add_co_ci_u32_e64 v70, null, s11, v5, vcc_lo
	v_add_co_u32 v10, vcc_lo, v10, 2
	v_add3_u32 v9, v9, v15, v12
	s_wait_alu 0xfffd
	v_add_co_ci_u32_e64 v11, null, 0, v11, vcc_lo
	v_lshlrev_b64_e32 v[4:5], 1, v[6:7]
	v_mul_lo_u32 v12, s7, v10
	v_lshlrev_b64_e32 v[6:7], 1, v[8:9]
	s_delay_alu instid0(VALU_DEP_4)
	v_mul_lo_u32 v11, s6, v11
	v_mad_co_u64_u32 v[8:9], null, s6, v10, 0
	v_add_co_u32 v71, vcc_lo, s8, v4
	s_wait_alu 0xfffd
	v_add_co_ci_u32_e64 v72, null, s9, v5, vcc_lo
	v_add_co_u32 v73, vcc_lo, s10, v4
	s_wait_alu 0xfffd
	v_add_co_ci_u32_e64 v74, null, s11, v5, vcc_lo
	v_add_co_u32 v75, vcc_lo, s8, v6
	s_wait_alu 0xfffd
	v_add_co_ci_u32_e64 v76, null, s9, v7, vcc_lo
	v_add3_u32 v9, v9, v11, v12
	v_add_co_u32 v77, vcc_lo, s10, v6
	s_wait_alu 0xfffd
	v_add_co_ci_u32_e64 v78, null, s11, v7, vcc_lo
	v_add_co_u32 v2, vcc_lo, v2, s6
	s_wait_alu 0xfffd
	v_add_co_ci_u32_e64 v3, null, s7, v3, vcc_lo
	v_lshlrev_b64_e32 v[4:5], 1, v[8:9]
	v_mad_co_u64_u32 v[26:27], null, s6, v16, s[8:9]
	s_delay_alu instid0(VALU_DEP_3)
	v_lshlrev_b64_e32 v[2:3], 1, v[2:3]
	v_mul_lo_u32 v49, s7, v16
	v_mad_co_u64_u32 v[40:41], null, s6, v16, s[10:11]
	v_add_co_u32 v79, vcc_lo, s8, v4
	s_wait_alu 0xfffd
	v_add_co_ci_u32_e64 v80, null, s9, v5, vcc_lo
	v_add_co_u32 v81, vcc_lo, s10, v4
	s_wait_alu 0xfffd
	v_add_co_ci_u32_e64 v82, null, s11, v5, vcc_lo
	;; [unrolled: 3-line block ×3, first 2 shown]
	v_add_co_u32 v85, vcc_lo, s10, v2
	v_add3_u32 v27, v49, v27, v48
	v_add3_u32 v41, v49, v41, v48
	s_wait_alu 0xfffd
	v_add_co_ci_u32_e64 v86, null, s11, v3, vcc_lo
	s_wait_alu 0xfffe
	s_mul_u64 s[22:23], s[6:7], s[20:21]
	s_mov_b64 s[10:11], 7
	s_wait_alu 0xfffe
	s_lshl_b64 s[8:9], s[22:23], 1
	s_mov_b64 s[22:23], s[16:17]
.LBB99_53:                              ; =>This Inner Loop Header: Depth=1
	s_add_nc_u64 s[24:25], s[16:17], s[10:11]
	v_add_co_u32 v48, vcc_lo, s16, v51
	s_wait_alu 0xfffe
	v_cmp_ge_i64_e64 s2, s[24:25], s[4:5]
	s_wait_alu 0xfffd
	v_add_co_ci_u32_e64 v49, null, 0, v53, vcc_lo
                                        ; implicit-def: $vgpr54
                                        ; implicit-def: $vgpr10
	s_and_b32 vcc_lo, exec_lo, s2
	s_mov_b32 s2, -1
	s_wait_alu 0xfffe
	s_cbranch_vccz .LBB99_75
; %bb.54:                               ;   in Loop: Header=BB99_53 Depth=1
	s_load_b32 s2, s[18:19], 0xc
	v_dual_mov_b32 v54, 0 :: v_dual_mov_b32 v89, 0
	s_wait_kmcnt 0x0
	s_and_b32 s2, s2, 0xffff
	s_wait_alu 0xfffe
	v_mad_u32_u24 v2, v50, s2, v52
	s_mov_b32 s2, exec_lo
	s_delay_alu instid0(VALU_DEP_1) | instskip(NEXT) | instid1(VALU_DEP_1)
	v_and_b32_e32 v2, 31, v2
	v_cmpx_gt_u32_e32 8, v2
	s_cbranch_execz .LBB99_58
; %bb.55:                               ;   in Loop: Header=BB99_53 Depth=1
	v_add_co_u32 v2, vcc_lo, v48, v2
	s_wait_alu 0xfffd
	v_add_co_ci_u32_e64 v3, null, 0, v49, vcc_lo
	v_dual_mov_b32 v89, 0 :: v_dual_mov_b32 v54, 0
	s_mov_b32 s24, exec_lo
	s_delay_alu instid0(VALU_DEP_2)
	v_cmpx_gt_i64_e64 s[4:5], v[2:3]
	s_cbranch_execz .LBB99_57
; %bb.56:                               ;   in Loop: Header=BB99_53 Depth=1
	v_lshlrev_b64_e32 v[2:3], 2, v[2:3]
	s_delay_alu instid0(VALU_DEP_1) | instskip(SKIP_1) | instid1(VALU_DEP_2)
	v_add_co_u32 v4, vcc_lo, s12, v2
	s_wait_alu 0xfffd
	v_add_co_ci_u32_e64 v5, null, s13, v3, vcc_lo
	v_add_co_u32 v2, vcc_lo, s14, v2
	s_wait_alu 0xfffd
	v_add_co_ci_u32_e64 v3, null, s15, v3, vcc_lo
	global_load_b32 v89, v[4:5], off
	global_load_b32 v54, v[2:3], off
.LBB99_57:                              ;   in Loop: Header=BB99_53 Depth=1
	s_wait_alu 0xfffe
	s_or_b32 exec_lo, exec_lo, s24
.LBB99_58:                              ;   in Loop: Header=BB99_53 Depth=1
	s_wait_alu 0xfffe
	s_or_b32 exec_lo, exec_lo, s2
	v_mov_b32_e32 v8, v1
	v_dual_mov_b32 v2, v1 :: v_dual_mov_b32 v3, v1
	v_dual_mov_b32 v4, v1 :: v_dual_mov_b32 v5, v1
	;; [unrolled: 1-line block ×3, first 2 shown]
	s_delay_alu instid0(VALU_DEP_4) | instskip(NEXT) | instid1(VALU_DEP_3)
	v_mov_b32_e32 v17, v8
	v_dual_mov_b32 v13, v4 :: v_dual_mov_b32 v12, v3
	s_delay_alu instid0(VALU_DEP_3) | instskip(NEXT) | instid1(VALU_DEP_4)
	v_dual_mov_b32 v15, v6 :: v_dual_mov_b32 v14, v5
	v_dual_mov_b32 v16, v7 :: v_dual_mov_b32 v11, v2
	;; [unrolled: 1-line block ×3, first 2 shown]
	v_mov_b32_e32 v8, v7
	v_mov_b32_e32 v7, v6
	;; [unrolled: 1-line block ×7, first 2 shown]
	s_mov_b32 s2, exec_lo
	v_cmpx_gt_i64_e64 s[4:5], v[48:49]
	s_cbranch_execz .LBB99_60
; %bb.59:                               ;   in Loop: Header=BB99_53 Depth=1
	v_add_co_u32 v2, vcc_lo, v55, v18
	s_wait_alu 0xfffd
	v_add_co_ci_u32_e64 v3, null, v56, v19, vcc_lo
	v_add_co_u32 v4, vcc_lo, v57, v18
	s_wait_alu 0xfffd
	v_add_co_ci_u32_e64 v5, null, v58, v19, vcc_lo
	global_load_u16 v2, v[2:3], off
	global_load_u16 v10, v[4:5], off
	v_dual_mov_b32 v3, v1 :: v_dual_mov_b32 v4, v1
	v_dual_mov_b32 v5, v1 :: v_dual_mov_b32 v6, v1
	;; [unrolled: 1-line block ×6, first 2 shown]
	v_mov_b32_e32 v15, v1
	s_wait_loadcnt 0x1
	v_dual_mov_b32 v17, v1 :: v_dual_lshlrev_b32 v2, 16, v2
	s_wait_loadcnt 0x0
	v_lshlrev_b32_e32 v10, 16, v10
.LBB99_60:                              ;   in Loop: Header=BB99_53 Depth=1
	s_wait_alu 0xfffe
	s_or_b32 exec_lo, exec_lo, s2
	v_add_co_u32 v90, vcc_lo, v48, 1
	s_wait_alu 0xfffd
	v_add_co_ci_u32_e64 v91, null, 0, v49, vcc_lo
	s_mov_b32 s2, exec_lo
	v_cmpx_gt_i64_e64 s[4:5], v[90:91]
	s_cbranch_execz .LBB99_62
; %bb.61:                               ;   in Loop: Header=BB99_53 Depth=1
	v_add_co_u32 v90, vcc_lo, v83, v18
	s_wait_alu 0xfffd
	v_add_co_ci_u32_e64 v91, null, v84, v19, vcc_lo
	v_add_co_u32 v92, vcc_lo, v85, v18
	s_wait_alu 0xfffd
	v_add_co_ci_u32_e64 v93, null, v86, v19, vcc_lo
	global_load_u16 v3, v[90:91], off
	global_load_u16 v11, v[92:93], off
	s_wait_loadcnt 0x1
	v_lshlrev_b32_e32 v3, 16, v3
	s_wait_loadcnt 0x0
	v_lshlrev_b32_e32 v11, 16, v11
.LBB99_62:                              ;   in Loop: Header=BB99_53 Depth=1
	s_wait_alu 0xfffe
	s_or_b32 exec_lo, exec_lo, s2
	v_add_co_u32 v90, vcc_lo, v48, 2
	s_wait_alu 0xfffd
	v_add_co_ci_u32_e64 v91, null, 0, v49, vcc_lo
	s_mov_b32 s2, exec_lo
	v_cmpx_gt_i64_e64 s[4:5], v[90:91]
	s_cbranch_execz .LBB99_64
; %bb.63:                               ;   in Loop: Header=BB99_53 Depth=1
	v_add_co_u32 v90, vcc_lo, v79, v18
	s_wait_alu 0xfffd
	v_add_co_ci_u32_e64 v91, null, v80, v19, vcc_lo
	v_add_co_u32 v92, vcc_lo, v81, v18
	s_wait_alu 0xfffd
	v_add_co_ci_u32_e64 v93, null, v82, v19, vcc_lo
	global_load_u16 v4, v[90:91], off
	global_load_u16 v12, v[92:93], off
	s_wait_loadcnt 0x1
	v_lshlrev_b32_e32 v4, 16, v4
	s_wait_loadcnt 0x0
	v_lshlrev_b32_e32 v12, 16, v12
.LBB99_64:                              ;   in Loop: Header=BB99_53 Depth=1
	s_wait_alu 0xfffe
	s_or_b32 exec_lo, exec_lo, s2
	v_add_co_u32 v90, vcc_lo, v48, 3
	s_wait_alu 0xfffd
	v_add_co_ci_u32_e64 v91, null, 0, v49, vcc_lo
	s_mov_b32 s2, exec_lo
	v_cmpx_gt_i64_e64 s[4:5], v[90:91]
	s_cbranch_execz .LBB99_66
; %bb.65:                               ;   in Loop: Header=BB99_53 Depth=1
	v_add_co_u32 v90, vcc_lo, v75, v18
	s_wait_alu 0xfffd
	v_add_co_ci_u32_e64 v91, null, v76, v19, vcc_lo
	v_add_co_u32 v92, vcc_lo, v77, v18
	s_wait_alu 0xfffd
	v_add_co_ci_u32_e64 v93, null, v78, v19, vcc_lo
	global_load_u16 v5, v[90:91], off
	global_load_u16 v13, v[92:93], off
	s_wait_loadcnt 0x1
	v_lshlrev_b32_e32 v5, 16, v5
	s_wait_loadcnt 0x0
	v_lshlrev_b32_e32 v13, 16, v13
.LBB99_66:                              ;   in Loop: Header=BB99_53 Depth=1
	s_wait_alu 0xfffe
	s_or_b32 exec_lo, exec_lo, s2
	v_add_co_u32 v90, vcc_lo, v48, 4
	s_wait_alu 0xfffd
	v_add_co_ci_u32_e64 v91, null, 0, v49, vcc_lo
	s_mov_b32 s2, exec_lo
	v_cmpx_gt_i64_e64 s[4:5], v[90:91]
	s_cbranch_execz .LBB99_68
; %bb.67:                               ;   in Loop: Header=BB99_53 Depth=1
	v_add_co_u32 v90, vcc_lo, v71, v18
	s_wait_alu 0xfffd
	v_add_co_ci_u32_e64 v91, null, v72, v19, vcc_lo
	v_add_co_u32 v92, vcc_lo, v73, v18
	s_wait_alu 0xfffd
	v_add_co_ci_u32_e64 v93, null, v74, v19, vcc_lo
	global_load_u16 v6, v[90:91], off
	global_load_u16 v14, v[92:93], off
	s_wait_loadcnt 0x1
	v_lshlrev_b32_e32 v6, 16, v6
	s_wait_loadcnt 0x0
	v_lshlrev_b32_e32 v14, 16, v14
.LBB99_68:                              ;   in Loop: Header=BB99_53 Depth=1
	s_wait_alu 0xfffe
	s_or_b32 exec_lo, exec_lo, s2
	v_add_co_u32 v90, vcc_lo, v48, 5
	s_wait_alu 0xfffd
	v_add_co_ci_u32_e64 v91, null, 0, v49, vcc_lo
	s_mov_b32 s2, exec_lo
	v_cmpx_gt_i64_e64 s[4:5], v[90:91]
	s_cbranch_execz .LBB99_70
; %bb.69:                               ;   in Loop: Header=BB99_53 Depth=1
	v_add_co_u32 v90, vcc_lo, v67, v18
	s_wait_alu 0xfffd
	v_add_co_ci_u32_e64 v91, null, v68, v19, vcc_lo
	v_add_co_u32 v92, vcc_lo, v69, v18
	s_wait_alu 0xfffd
	v_add_co_ci_u32_e64 v93, null, v70, v19, vcc_lo
	global_load_u16 v7, v[90:91], off
	global_load_u16 v15, v[92:93], off
	s_wait_loadcnt 0x1
	v_lshlrev_b32_e32 v7, 16, v7
	s_wait_loadcnt 0x0
	v_lshlrev_b32_e32 v15, 16, v15
.LBB99_70:                              ;   in Loop: Header=BB99_53 Depth=1
	s_wait_alu 0xfffe
	s_or_b32 exec_lo, exec_lo, s2
	v_add_co_u32 v90, vcc_lo, v48, 6
	s_wait_alu 0xfffd
	v_add_co_ci_u32_e64 v91, null, 0, v49, vcc_lo
	s_mov_b32 s2, exec_lo
	v_cmpx_gt_i64_e64 s[4:5], v[90:91]
	s_cbranch_execz .LBB99_72
; %bb.71:                               ;   in Loop: Header=BB99_53 Depth=1
	v_add_co_u32 v90, vcc_lo, v63, v18
	s_wait_alu 0xfffd
	v_add_co_ci_u32_e64 v91, null, v64, v19, vcc_lo
	v_add_co_u32 v92, vcc_lo, v65, v18
	s_wait_alu 0xfffd
	v_add_co_ci_u32_e64 v93, null, v66, v19, vcc_lo
	global_load_u16 v8, v[90:91], off
	global_load_u16 v16, v[92:93], off
	s_wait_loadcnt 0x1
	v_lshlrev_b32_e32 v8, 16, v8
	s_wait_loadcnt 0x0
	v_lshlrev_b32_e32 v16, 16, v16
.LBB99_72:                              ;   in Loop: Header=BB99_53 Depth=1
	s_wait_alu 0xfffe
	s_or_b32 exec_lo, exec_lo, s2
	v_add_co_u32 v90, vcc_lo, v48, 7
	s_wait_alu 0xfffd
	v_add_co_ci_u32_e64 v91, null, 0, v49, vcc_lo
	s_mov_b32 s2, exec_lo
	v_cmpx_gt_i64_e64 s[4:5], v[90:91]
	s_cbranch_execz .LBB99_74
; %bb.73:                               ;   in Loop: Header=BB99_53 Depth=1
	v_add_co_u32 v90, vcc_lo, v59, v18
	s_wait_alu 0xfffd
	v_add_co_ci_u32_e64 v91, null, v60, v19, vcc_lo
	v_add_co_u32 v92, vcc_lo, v61, v18
	s_wait_alu 0xfffd
	v_add_co_ci_u32_e64 v93, null, v62, v19, vcc_lo
	global_load_u16 v9, v[90:91], off
	global_load_u16 v17, v[92:93], off
	s_wait_loadcnt 0x1
	v_lshlrev_b32_e32 v9, 16, v9
	s_wait_loadcnt 0x0
	v_lshlrev_b32_e32 v17, 16, v17
.LBB99_74:                              ;   in Loop: Header=BB99_53 Depth=1
	s_wait_alu 0xfffe
	s_or_b32 exec_lo, exec_lo, s2
	s_wait_loadcnt 0x1
	ds_bpermute_b32 v90, v1, v89
	ds_bpermute_b32 v91, v1, v89 offset:4
	ds_bpermute_b32 v92, v1, v89 offset:8
	;; [unrolled: 1-line block ×3, first 2 shown]
	s_wait_loadcnt 0x0
	ds_bpermute_b32 v93, v1, v54
	ds_bpermute_b32 v95, v1, v54 offset:4
	ds_bpermute_b32 v96, v1, v89 offset:16
	;; [unrolled: 1-line block ×7, first 2 shown]
	s_mov_b32 s2, 0
	s_wait_dscnt 0xa
	v_dual_sub_f32 v10, v10, v90 :: v_dual_sub_f32 v11, v11, v91
	v_add_f32_e32 v90, v88, v2
	s_wait_dscnt 0x8
	v_dual_sub_f32 v12, v12, v92 :: v_dual_sub_f32 v13, v13, v94
	s_delay_alu instid0(VALU_DEP_3)
	v_mul_f32_e32 v2, v2, v10
	ds_bpermute_b32 v91, v1, v54 offset:16
	v_dual_mul_f32 v11, v3, v11 :: v_dual_mul_f32 v12, v4, v12
	v_add_f32_e32 v3, v3, v90
	v_mul_f32_e32 v13, v5, v13
	s_wait_dscnt 0x8
	v_fma_f32 v10, v2, v93, v87
	ds_bpermute_b32 v2, v1, v54 offset:20
	s_wait_dscnt 0x7
	v_dual_sub_f32 v14, v14, v96 :: v_dual_add_f32 v3, v4, v3
	ds_bpermute_b32 v4, v1, v54 offset:28
	v_fmac_f32_e32 v10, v11, v95
	ds_bpermute_b32 v11, v1, v54 offset:24
	v_dual_mul_f32 v14, v6, v14 :: v_dual_add_f32 v3, v5, v3
	s_wait_dscnt 0x7
	v_sub_f32_e32 v5, v16, v100
	v_fmac_f32_e32 v10, v12, v97
	s_wait_dscnt 0x5
	v_sub_f32_e32 v12, v15, v99
	s_wait_dscnt 0x4
	v_dual_add_f32 v3, v6, v3 :: v_dual_sub_f32 v6, v17, v89
	v_dual_fmac_f32 v10, v13, v98 :: v_dual_mul_f32 v5, v8, v5
	s_delay_alu instid0(VALU_DEP_3) | instskip(SKIP_1) | instid1(VALU_DEP_2)
	v_mul_f32_e32 v12, v7, v12
	s_wait_dscnt 0x3
	v_fmac_f32_e32 v10, v14, v91
	s_wait_dscnt 0x2
	s_delay_alu instid0(VALU_DEP_1) | instskip(SKIP_2) | instid1(VALU_DEP_2)
	v_fmac_f32_e32 v10, v12, v2
	v_dual_add_f32 v2, v7, v3 :: v_dual_mul_f32 v3, v9, v6
	s_wait_dscnt 0x0
	v_fmac_f32_e32 v10, v5, v11
	s_delay_alu instid0(VALU_DEP_2) | instskip(NEXT) | instid1(VALU_DEP_2)
	v_add_f32_e32 v2, v8, v2
	v_fmac_f32_e32 v10, v3, v4
	s_delay_alu instid0(VALU_DEP_2)
	v_add_f32_e32 v54, v9, v2
.LBB99_75:                              ;   in Loop: Header=BB99_53 Depth=1
	s_wait_alu 0xfffe
	s_and_b32 vcc_lo, exec_lo, s2
	s_wait_alu 0xfffe
	s_cbranch_vccz .LBB99_81
; %bb.76:                               ;   in Loop: Header=BB99_53 Depth=1
	s_load_b32 s2, s[18:19], 0x0
	v_dual_mov_b32 v4, 0 :: v_dual_mov_b32 v5, 0
	s_wait_kmcnt 0x0
	s_cmp_lt_u32 ttmp9, s2
	s_cselect_b32 s2, 12, 18
	s_wait_alu 0xfffe
	s_add_nc_u64 s[24:25], s[18:19], s[2:3]
	s_load_u16 s2, s[24:25], 0x0
	s_wait_kmcnt 0x0
	v_mad_u32_u24 v2, v50, s2, v52
	s_mov_b32 s2, exec_lo
	s_delay_alu instid0(VALU_DEP_1) | instskip(NEXT) | instid1(VALU_DEP_1)
	v_and_b32_e32 v2, 31, v2
	v_cmpx_gt_u32_e32 8, v2
	s_cbranch_execz .LBB99_80
; %bb.77:                               ;   in Loop: Header=BB99_53 Depth=1
	v_add_co_u32 v2, vcc_lo, v48, v2
	s_wait_alu 0xfffd
	v_add_co_ci_u32_e64 v3, null, 0, v49, vcc_lo
	v_dual_mov_b32 v4, 0 :: v_dual_mov_b32 v5, 0
	s_mov_b32 s24, exec_lo
	s_delay_alu instid0(VALU_DEP_2)
	v_cmpx_gt_i64_e64 s[4:5], v[2:3]
	s_cbranch_execz .LBB99_79
; %bb.78:                               ;   in Loop: Header=BB99_53 Depth=1
	v_lshlrev_b64_e32 v[2:3], 2, v[2:3]
	s_delay_alu instid0(VALU_DEP_1) | instskip(SKIP_1) | instid1(VALU_DEP_2)
	v_add_co_u32 v4, vcc_lo, s12, v2
	s_wait_alu 0xfffd
	v_add_co_ci_u32_e64 v5, null, s13, v3, vcc_lo
	v_add_co_u32 v2, vcc_lo, s14, v2
	s_wait_alu 0xfffd
	v_add_co_ci_u32_e64 v3, null, s15, v3, vcc_lo
	global_load_b32 v4, v[4:5], off
	global_load_b32 v5, v[2:3], off
.LBB99_79:                              ;   in Loop: Header=BB99_53 Depth=1
	s_wait_alu 0xfffe
	s_or_b32 exec_lo, exec_lo, s24
.LBB99_80:                              ;   in Loop: Header=BB99_53 Depth=1
	s_wait_alu 0xfffe
	s_or_b32 exec_lo, exec_lo, s2
	v_add_co_u32 v2, vcc_lo, v55, v18
	s_wait_alu 0xfffd
	v_add_co_ci_u32_e64 v3, null, v56, v19, vcc_lo
	s_wait_loadcnt 0x1
	ds_bpermute_b32 v89, v1, v4
	global_load_u16 v2, v[2:3], off
	s_wait_loadcnt 0x0
	v_lshlrev_b32_e32 v6, 16, v2
	v_add_co_u32 v2, vcc_lo, v57, v18
	s_wait_alu 0xfffd
	v_add_co_ci_u32_e64 v3, null, v58, v19, vcc_lo
	global_load_u16 v2, v[2:3], off
	s_wait_loadcnt 0x0
	v_lshlrev_b32_e32 v7, 16, v2
	v_add_co_u32 v2, vcc_lo, v20, v18
	s_wait_alu 0xfffd
	v_add_co_ci_u32_e64 v3, null, v21, v19, vcc_lo
	s_wait_dscnt 0x0
	v_sub_f32_e32 v7, v7, v89
	global_load_u16 v2, v[2:3], off
	v_mul_f32_e32 v7, v7, v6
	s_wait_loadcnt 0x0
	v_lshlrev_b32_e32 v8, 16, v2
	v_add_co_u32 v2, vcc_lo, v34, v18
	s_wait_alu 0xfffd
	v_add_co_ci_u32_e64 v3, null, v35, v19, vcc_lo
	global_load_u16 v2, v[2:3], off
	s_wait_loadcnt 0x0
	v_lshlrev_b32_e32 v9, 16, v2
	v_add_co_u32 v2, vcc_lo, v22, v18
	s_wait_alu 0xfffd
	v_add_co_ci_u32_e64 v3, null, v23, v19, vcc_lo
	global_load_u16 v2, v[2:3], off
	s_wait_loadcnt 0x0
	v_lshlrev_b32_e32 v10, 16, v2
	v_add_co_u32 v2, vcc_lo, v36, v18
	s_wait_alu 0xfffd
	v_add_co_ci_u32_e64 v3, null, v37, v19, vcc_lo
	global_load_u16 v2, v[2:3], off
	s_wait_loadcnt 0x0
	v_lshlrev_b32_e32 v11, 16, v2
	v_add_co_u32 v2, vcc_lo, v24, v18
	s_wait_alu 0xfffd
	v_add_co_ci_u32_e64 v3, null, v25, v19, vcc_lo
	global_load_u16 v2, v[2:3], off
	s_wait_loadcnt 0x0
	v_lshlrev_b32_e32 v12, 16, v2
	v_add_co_u32 v2, vcc_lo, v38, v18
	s_wait_alu 0xfffd
	v_add_co_ci_u32_e64 v3, null, v39, v19, vcc_lo
	global_load_u16 v2, v[2:3], off
	s_wait_loadcnt 0x0
	v_lshlrev_b32_e32 v13, 16, v2
	v_add_co_u32 v2, vcc_lo, v26, v18
	s_wait_alu 0xfffd
	v_add_co_ci_u32_e64 v3, null, v27, v19, vcc_lo
	global_load_u16 v2, v[2:3], off
	s_wait_loadcnt 0x0
	v_lshlrev_b32_e32 v14, 16, v2
	v_add_co_u32 v2, vcc_lo, v40, v18
	s_wait_alu 0xfffd
	v_add_co_ci_u32_e64 v3, null, v41, v19, vcc_lo
	global_load_u16 v2, v[2:3], off
	s_wait_loadcnt 0x0
	v_lshlrev_b32_e32 v15, 16, v2
	v_add_co_u32 v2, vcc_lo, v28, v18
	s_wait_alu 0xfffd
	v_add_co_ci_u32_e64 v3, null, v29, v19, vcc_lo
	global_load_u16 v2, v[2:3], off
	s_wait_loadcnt 0x0
	v_lshlrev_b32_e32 v16, 16, v2
	v_add_co_u32 v2, vcc_lo, v42, v18
	s_wait_alu 0xfffd
	v_add_co_ci_u32_e64 v3, null, v43, v19, vcc_lo
	global_load_u16 v2, v[2:3], off
	s_wait_loadcnt 0x0
	v_lshlrev_b32_e32 v17, 16, v2
	v_add_co_u32 v2, vcc_lo, v30, v18
	s_wait_alu 0xfffd
	v_add_co_ci_u32_e64 v3, null, v31, v19, vcc_lo
	global_load_u16 v2, v[2:3], off
	s_wait_loadcnt 0x0
	v_lshlrev_b32_e32 v48, 16, v2
	v_add_co_u32 v2, vcc_lo, v44, v18
	s_wait_alu 0xfffd
	v_add_co_ci_u32_e64 v3, null, v45, v19, vcc_lo
	global_load_u16 v2, v[2:3], off
	s_wait_loadcnt 0x0
	v_lshlrev_b32_e32 v49, 16, v2
	v_add_co_u32 v2, vcc_lo, v32, v18
	s_wait_alu 0xfffd
	v_add_co_ci_u32_e64 v3, null, v33, v19, vcc_lo
	global_load_u16 v2, v[2:3], off
	s_wait_loadcnt 0x0
	v_lshlrev_b32_e32 v54, 16, v2
	v_add_co_u32 v2, vcc_lo, v46, v18
	s_wait_alu 0xfffd
	v_add_co_ci_u32_e64 v3, null, v47, v19, vcc_lo
	global_load_u16 v2, v[2:3], off
	ds_bpermute_b32 v3, v1, v5
	s_wait_dscnt 0x0
	v_fmac_f32_e32 v87, v7, v3
	ds_bpermute_b32 v7, v1, v4 offset:4
	v_add_f32_e32 v3, v88, v6
	ds_bpermute_b32 v6, v1, v5 offset:4
	v_add_f32_e32 v3, v3, v8
	s_wait_dscnt 0x1
	v_sub_f32_e32 v7, v9, v7
	s_delay_alu instid0(VALU_DEP_2) | instskip(NEXT) | instid1(VALU_DEP_2)
	v_add_f32_e32 v3, v3, v10
	v_mul_f32_e32 v7, v7, v8
	s_delay_alu instid0(VALU_DEP_2) | instskip(SKIP_1) | instid1(VALU_DEP_2)
	v_add_f32_e32 v3, v3, v12
	s_wait_dscnt 0x0
	v_fmac_f32_e32 v87, v7, v6
	ds_bpermute_b32 v7, v1, v4 offset:8
	ds_bpermute_b32 v6, v1, v5 offset:8
	v_add_f32_e32 v3, v3, v14
	s_wait_dscnt 0x1
	v_sub_f32_e32 v7, v11, v7
	s_delay_alu instid0(VALU_DEP_2) | instskip(NEXT) | instid1(VALU_DEP_2)
	v_add_f32_e32 v3, v3, v16
	v_mul_f32_e32 v7, v7, v10
	s_wait_dscnt 0x0
	s_delay_alu instid0(VALU_DEP_1)
	v_fmac_f32_e32 v87, v7, v6
	ds_bpermute_b32 v7, v1, v4 offset:12
	ds_bpermute_b32 v6, v1, v5 offset:12
	s_wait_dscnt 0x1
	v_sub_f32_e32 v7, v13, v7
	v_add_f32_e32 v3, v3, v48
	s_delay_alu instid0(VALU_DEP_2) | instskip(SKIP_1) | instid1(VALU_DEP_1)
	v_mul_f32_e32 v7, v7, v12
	s_wait_dscnt 0x0
	v_fmac_f32_e32 v87, v7, v6
	ds_bpermute_b32 v7, v1, v4 offset:16
	ds_bpermute_b32 v6, v1, v5 offset:16
	s_wait_dscnt 0x1
	v_sub_f32_e32 v7, v15, v7
	s_delay_alu instid0(VALU_DEP_1) | instskip(SKIP_1) | instid1(VALU_DEP_1)
	v_mul_f32_e32 v7, v7, v14
	s_wait_dscnt 0x0
	v_fmac_f32_e32 v87, v7, v6
	ds_bpermute_b32 v7, v1, v4 offset:20
	ds_bpermute_b32 v6, v1, v5 offset:20
	s_wait_dscnt 0x1
	v_sub_f32_e32 v7, v17, v7
	s_delay_alu instid0(VALU_DEP_1) | instskip(SKIP_1) | instid1(VALU_DEP_1)
	v_mul_f32_e32 v7, v7, v16
	s_wait_dscnt 0x0
	v_fmac_f32_e32 v87, v7, v6
	ds_bpermute_b32 v7, v1, v4 offset:24
	ds_bpermute_b32 v4, v1, v4 offset:28
	;; [unrolled: 1-line block ×4, first 2 shown]
	s_wait_dscnt 0x3
	v_sub_f32_e32 v7, v49, v7
	s_delay_alu instid0(VALU_DEP_1) | instskip(SKIP_1) | instid1(VALU_DEP_1)
	v_mul_f32_e32 v7, v7, v48
	s_wait_dscnt 0x1
	v_fmac_f32_e32 v87, v7, v6
	s_wait_loadcnt 0x0
	v_lshlrev_b32_e32 v2, 16, v2
	s_delay_alu instid0(VALU_DEP_1) | instskip(NEXT) | instid1(VALU_DEP_1)
	v_sub_f32_e32 v2, v2, v4
	v_mul_f32_e32 v2, v2, v54
	s_wait_dscnt 0x0
	s_delay_alu instid0(VALU_DEP_1) | instskip(NEXT) | instid1(VALU_DEP_1)
	v_dual_add_f32 v54, v3, v54 :: v_dual_fmac_f32 v87, v2, v5
	v_mov_b32_e32 v10, v87
.LBB99_81:                              ;   in Loop: Header=BB99_53 Depth=1
	v_add_co_u32 v55, vcc_lo, v55, s8
	s_wait_alu 0xfffd
	v_add_co_ci_u32_e64 v56, null, s9, v56, vcc_lo
	v_add_co_u32 v57, vcc_lo, v57, s8
	s_wait_alu 0xfffd
	v_add_co_ci_u32_e64 v58, null, s9, v58, vcc_lo
	;; [unrolled: 3-line block ×28, first 2 shown]
	v_add_co_u32 v81, vcc_lo, v81, s8
	s_add_nc_u64 s[22:23], s[22:23], s[20:21]
	s_wait_alu 0xfffd
	v_add_co_ci_u32_e64 v82, null, s9, v82, vcc_lo
	v_add_co_u32 v83, vcc_lo, v83, s8
	s_wait_alu 0xfffe
	v_cmp_ge_i64_e64 s2, s[22:23], s[4:5]
	s_wait_alu 0xfffd
	v_add_co_ci_u32_e64 v84, null, s9, v84, vcc_lo
	v_add_co_u32 v85, vcc_lo, v85, s8
	s_wait_alu 0xfffd
	v_add_co_ci_u32_e64 v86, null, s9, v86, vcc_lo
	s_and_b32 vcc_lo, exec_lo, s2
	s_add_nc_u64 s[10:11], s[10:11], s[20:21]
	s_wait_alu 0xfffe
	s_cbranch_vccnz .LBB99_83
; %bb.82:                               ;   in Loop: Header=BB99_53 Depth=1
	v_dual_mov_b32 v88, v54 :: v_dual_mov_b32 v87, v10
	s_branch .LBB99_53
.LBB99_83:
	s_mov_b32 s2, ttmp9
	s_mov_b32 s3, 0
	s_wait_alu 0xfffe
	s_lshl_b64 s[2:3], s[2:3], 6
	s_wait_alu 0xfffe
	v_and_or_b32 v4, 0x3ff, v0, s2
	v_mov_b32_e32 v5, s3
	s_mov_b32 s2, exec_lo
	s_delay_alu instid0(VALU_DEP_1)
	v_cmpx_gt_i64_e64 s[6:7], v[4:5]
	s_cbranch_execz .LBB99_88
; %bb.84:
	s_clause 0x1
	s_load_u16 s4, s[0:1], 0x4e
	s_load_b128 s[0:3], s[0:1], 0x30
	v_bfe_u32 v0, v0, 10, 10
	v_mov_b32_e32 v1, 0
	s_wait_kmcnt 0x0
	s_delay_alu instid0(VALU_DEP_1) | instskip(SKIP_2) | instid1(VALU_DEP_2)
	v_mad_co_u64_u32 v[2:3], null, s4, ttmp7, v[0:1]
	v_lshlrev_b64_e32 v[0:1], 1, v[4:5]
	s_cmp_eq_u64 s[0:1], 0
	v_mul_lo_u32 v3, v3, s6
	s_delay_alu instid0(VALU_DEP_3)
	v_mul_lo_u32 v6, v2, s7
	s_cbranch_scc1 .LBB99_86
; %bb.85:
	v_mad_co_u64_u32 v[4:5], null, v2, s6, 0
	v_bfe_u32 v7, v10, 16, 1
	s_delay_alu instid0(VALU_DEP_1) | instskip(NEXT) | instid1(VALU_DEP_3)
	v_add3_u32 v7, v10, v7, 0x7fff
	v_add3_u32 v5, v5, v6, v3
	s_delay_alu instid0(VALU_DEP_2) | instskip(NEXT) | instid1(VALU_DEP_2)
	v_lshrrev_b32_e32 v7, 16, v7
	v_lshlrev_b64_e32 v[4:5], 1, v[4:5]
	s_delay_alu instid0(VALU_DEP_1) | instskip(SKIP_1) | instid1(VALU_DEP_2)
	v_add_co_u32 v4, vcc_lo, s0, v4
	s_wait_alu 0xfffd
	v_add_co_ci_u32_e64 v5, null, s1, v5, vcc_lo
	v_cmp_o_f32_e32 vcc_lo, v10, v10
	s_wait_alu 0xfffd
	v_cndmask_b32_e32 v7, 0x7fc0, v7, vcc_lo
	v_add_co_u32 v4, vcc_lo, v4, v0
	s_wait_alu 0xfffd
	v_add_co_ci_u32_e64 v5, null, v5, v1, vcc_lo
	global_store_b16 v[4:5], v7, off
.LBB99_86:
	s_cmp_eq_u64 s[2:3], 0
	s_cbranch_scc1 .LBB99_88
; %bb.87:
	v_mad_co_u64_u32 v[4:5], null, v2, s6, 0
	v_bfe_u32 v2, v54, 16, 1
	s_delay_alu instid0(VALU_DEP_2) | instskip(NEXT) | instid1(VALU_DEP_2)
	v_add3_u32 v5, v5, v6, v3
	v_add3_u32 v6, v54, v2, 0x7fff
	s_delay_alu instid0(VALU_DEP_2) | instskip(NEXT) | instid1(VALU_DEP_2)
	v_lshlrev_b64_e32 v[2:3], 1, v[4:5]
	v_lshrrev_b32_e32 v4, 16, v6
	s_delay_alu instid0(VALU_DEP_2) | instskip(SKIP_1) | instid1(VALU_DEP_3)
	v_add_co_u32 v2, vcc_lo, s2, v2
	s_wait_alu 0xfffd
	v_add_co_ci_u32_e64 v3, null, s3, v3, vcc_lo
	v_cmp_o_f32_e32 vcc_lo, v54, v54
	s_wait_alu 0xfffd
	v_cndmask_b32_e32 v4, 0x7fc0, v4, vcc_lo
	v_add_co_u32 v0, vcc_lo, v2, v0
	s_wait_alu 0xfffd
	v_add_co_ci_u32_e64 v1, null, v3, v1, vcc_lo
	global_store_b16 v[0:1], v4, off
.LBB99_88:
	s_nop 0
	s_sendmsg sendmsg(MSG_DEALLOC_VGPRS)
	s_endpgm
	.section	.rodata,"a",@progbits
	.p2align	6, 0x0
	.amdhsa_kernel _ZN2at6native12_GLOBAL__N_135GammaBetaBackwardCUDAKernelTemplateIN3c108BFloat16EfLj64ELj1ELj8ELb1ELb0ELb0EEEvllPKT_S7_PKT0_SA_PS5_SB_
		.amdhsa_group_segment_fixed_size 0
		.amdhsa_private_segment_fixed_size 0
		.amdhsa_kernarg_size 320
		.amdhsa_user_sgpr_count 2
		.amdhsa_user_sgpr_dispatch_ptr 0
		.amdhsa_user_sgpr_queue_ptr 0
		.amdhsa_user_sgpr_kernarg_segment_ptr 1
		.amdhsa_user_sgpr_dispatch_id 0
		.amdhsa_user_sgpr_private_segment_size 0
		.amdhsa_wavefront_size32 1
		.amdhsa_uses_dynamic_stack 0
		.amdhsa_enable_private_segment 0
		.amdhsa_system_sgpr_workgroup_id_x 1
		.amdhsa_system_sgpr_workgroup_id_y 1
		.amdhsa_system_sgpr_workgroup_id_z 0
		.amdhsa_system_sgpr_workgroup_info 0
		.amdhsa_system_vgpr_workitem_id 1
		.amdhsa_next_free_vgpr 101
		.amdhsa_next_free_sgpr 36
		.amdhsa_reserve_vcc 1
		.amdhsa_float_round_mode_32 0
		.amdhsa_float_round_mode_16_64 0
		.amdhsa_float_denorm_mode_32 3
		.amdhsa_float_denorm_mode_16_64 3
		.amdhsa_fp16_overflow 0
		.amdhsa_workgroup_processor_mode 1
		.amdhsa_memory_ordered 1
		.amdhsa_forward_progress 1
		.amdhsa_inst_pref_size 79
		.amdhsa_round_robin_scheduling 0
		.amdhsa_exception_fp_ieee_invalid_op 0
		.amdhsa_exception_fp_denorm_src 0
		.amdhsa_exception_fp_ieee_div_zero 0
		.amdhsa_exception_fp_ieee_overflow 0
		.amdhsa_exception_fp_ieee_underflow 0
		.amdhsa_exception_fp_ieee_inexact 0
		.amdhsa_exception_int_div_zero 0
	.end_amdhsa_kernel
	.section	.text._ZN2at6native12_GLOBAL__N_135GammaBetaBackwardCUDAKernelTemplateIN3c108BFloat16EfLj64ELj1ELj8ELb1ELb0ELb0EEEvllPKT_S7_PKT0_SA_PS5_SB_,"axG",@progbits,_ZN2at6native12_GLOBAL__N_135GammaBetaBackwardCUDAKernelTemplateIN3c108BFloat16EfLj64ELj1ELj8ELb1ELb0ELb0EEEvllPKT_S7_PKT0_SA_PS5_SB_,comdat
.Lfunc_end99:
	.size	_ZN2at6native12_GLOBAL__N_135GammaBetaBackwardCUDAKernelTemplateIN3c108BFloat16EfLj64ELj1ELj8ELb1ELb0ELb0EEEvllPKT_S7_PKT0_SA_PS5_SB_, .Lfunc_end99-_ZN2at6native12_GLOBAL__N_135GammaBetaBackwardCUDAKernelTemplateIN3c108BFloat16EfLj64ELj1ELj8ELb1ELb0ELb0EEEvllPKT_S7_PKT0_SA_PS5_SB_
                                        ; -- End function
	.set _ZN2at6native12_GLOBAL__N_135GammaBetaBackwardCUDAKernelTemplateIN3c108BFloat16EfLj64ELj1ELj8ELb1ELb0ELb0EEEvllPKT_S7_PKT0_SA_PS5_SB_.num_vgpr, 101
	.set _ZN2at6native12_GLOBAL__N_135GammaBetaBackwardCUDAKernelTemplateIN3c108BFloat16EfLj64ELj1ELj8ELb1ELb0ELb0EEEvllPKT_S7_PKT0_SA_PS5_SB_.num_agpr, 0
	.set _ZN2at6native12_GLOBAL__N_135GammaBetaBackwardCUDAKernelTemplateIN3c108BFloat16EfLj64ELj1ELj8ELb1ELb0ELb0EEEvllPKT_S7_PKT0_SA_PS5_SB_.numbered_sgpr, 36
	.set _ZN2at6native12_GLOBAL__N_135GammaBetaBackwardCUDAKernelTemplateIN3c108BFloat16EfLj64ELj1ELj8ELb1ELb0ELb0EEEvllPKT_S7_PKT0_SA_PS5_SB_.num_named_barrier, 0
	.set _ZN2at6native12_GLOBAL__N_135GammaBetaBackwardCUDAKernelTemplateIN3c108BFloat16EfLj64ELj1ELj8ELb1ELb0ELb0EEEvllPKT_S7_PKT0_SA_PS5_SB_.private_seg_size, 0
	.set _ZN2at6native12_GLOBAL__N_135GammaBetaBackwardCUDAKernelTemplateIN3c108BFloat16EfLj64ELj1ELj8ELb1ELb0ELb0EEEvllPKT_S7_PKT0_SA_PS5_SB_.uses_vcc, 1
	.set _ZN2at6native12_GLOBAL__N_135GammaBetaBackwardCUDAKernelTemplateIN3c108BFloat16EfLj64ELj1ELj8ELb1ELb0ELb0EEEvllPKT_S7_PKT0_SA_PS5_SB_.uses_flat_scratch, 0
	.set _ZN2at6native12_GLOBAL__N_135GammaBetaBackwardCUDAKernelTemplateIN3c108BFloat16EfLj64ELj1ELj8ELb1ELb0ELb0EEEvllPKT_S7_PKT0_SA_PS5_SB_.has_dyn_sized_stack, 0
	.set _ZN2at6native12_GLOBAL__N_135GammaBetaBackwardCUDAKernelTemplateIN3c108BFloat16EfLj64ELj1ELj8ELb1ELb0ELb0EEEvllPKT_S7_PKT0_SA_PS5_SB_.has_recursion, 0
	.set _ZN2at6native12_GLOBAL__N_135GammaBetaBackwardCUDAKernelTemplateIN3c108BFloat16EfLj64ELj1ELj8ELb1ELb0ELb0EEEvllPKT_S7_PKT0_SA_PS5_SB_.has_indirect_call, 0
	.section	.AMDGPU.csdata,"",@progbits
; Kernel info:
; codeLenInByte = 10052
; TotalNumSgprs: 38
; NumVgprs: 101
; ScratchSize: 0
; MemoryBound: 0
; FloatMode: 240
; IeeeMode: 1
; LDSByteSize: 0 bytes/workgroup (compile time only)
; SGPRBlocks: 0
; VGPRBlocks: 12
; NumSGPRsForWavesPerEU: 38
; NumVGPRsForWavesPerEU: 101
; Occupancy: 12
; WaveLimiterHint : 0
; COMPUTE_PGM_RSRC2:SCRATCH_EN: 0
; COMPUTE_PGM_RSRC2:USER_SGPR: 2
; COMPUTE_PGM_RSRC2:TRAP_HANDLER: 0
; COMPUTE_PGM_RSRC2:TGID_X_EN: 1
; COMPUTE_PGM_RSRC2:TGID_Y_EN: 1
; COMPUTE_PGM_RSRC2:TGID_Z_EN: 0
; COMPUTE_PGM_RSRC2:TIDIG_COMP_CNT: 1
	.section	.text._ZN2at6native12_GLOBAL__N_135GammaBetaBackwardCUDAKernelTemplateIN3c108BFloat16EfLj64ELj8ELj64ELb0ELb1ELb0EEEvllPKT_S7_PKT0_SA_PS5_SB_,"axG",@progbits,_ZN2at6native12_GLOBAL__N_135GammaBetaBackwardCUDAKernelTemplateIN3c108BFloat16EfLj64ELj8ELj64ELb0ELb1ELb0EEEvllPKT_S7_PKT0_SA_PS5_SB_,comdat
	.globl	_ZN2at6native12_GLOBAL__N_135GammaBetaBackwardCUDAKernelTemplateIN3c108BFloat16EfLj64ELj8ELj64ELb0ELb1ELb0EEEvllPKT_S7_PKT0_SA_PS5_SB_ ; -- Begin function _ZN2at6native12_GLOBAL__N_135GammaBetaBackwardCUDAKernelTemplateIN3c108BFloat16EfLj64ELj8ELj64ELb0ELb1ELb0EEEvllPKT_S7_PKT0_SA_PS5_SB_
	.p2align	8
	.type	_ZN2at6native12_GLOBAL__N_135GammaBetaBackwardCUDAKernelTemplateIN3c108BFloat16EfLj64ELj8ELj64ELb0ELb1ELb0EEEvllPKT_S7_PKT0_SA_PS5_SB_,@function
_ZN2at6native12_GLOBAL__N_135GammaBetaBackwardCUDAKernelTemplateIN3c108BFloat16EfLj64ELj8ELj64ELb0ELb1ELb0EEEvllPKT_S7_PKT0_SA_PS5_SB_: ; @_ZN2at6native12_GLOBAL__N_135GammaBetaBackwardCUDAKernelTemplateIN3c108BFloat16EfLj64ELj8ELj64ELb0ELb1ELb0EEEvllPKT_S7_PKT0_SA_PS5_SB_
; %bb.0:
	s_load_b128 s[16:19], s[0:1], 0x0
	s_lshl_b32 s2, ttmp7, 6
	s_mov_b32 s3, 0
	v_bfe_u32 v7, v0, 10, 10
	s_wait_kmcnt 0x0
	v_cmp_gt_i64_e64 s4, s[16:17], s[2:3]
	s_and_b32 vcc_lo, exec_lo, s4
	s_cbranch_vccnz .LBB100_2
; %bb.1:
	v_bfe_u32 v1, v0, 10, 10
	s_mov_b32 s4, s3
	s_branch .LBB100_3
.LBB100_2:
	s_mov_b32 s4, -1
                                        ; implicit-def: $vgpr1
.LBB100_3:
	s_load_b128 s[12:15], s[0:1], 0x30
	v_dual_mov_b32 v17, 0 :: v_dual_and_b32 v6, 0x3ff, v0
	v_mov_b32_e32 v0, 0
	s_and_not1_b32 vcc_lo, exec_lo, s4
	s_cbranch_vccnz .LBB100_11
; %bb.4:
	s_load_b32 s20, s[0:1], 0x4c
	v_dual_mov_b32 v1, 0 :: v_dual_lshlrev_b32 v0, 3, v7
	s_clause 0x1
	s_load_b32 s22, s[0:1], 0x44
	s_load_b256 s[4:11], s[0:1], 0x10
	s_mov_b32 s21, 0
	v_dual_mov_b32 v8, 8 :: v_dual_mov_b32 v9, 4
	v_add_co_u32 v2, s0, v0, s2
	s_delay_alu instid0(VALU_DEP_1) | instskip(SKIP_1) | instid1(VALU_DEP_3)
	v_add_co_ci_u32_e64 v3, null, 0, 0, s0
	v_lshl_add_u32 v0, ttmp9, 6, v6
	v_mul_lo_u32 v14, s19, v2
	v_mad_co_u64_u32 v[4:5], null, s18, v2, 0
	s_delay_alu instid0(VALU_DEP_4) | instskip(NEXT) | instid1(VALU_DEP_4)
	v_mul_lo_u32 v17, s18, v3
	v_lshlrev_b64_e32 v[15:16], 1, v[0:1]
	v_dual_mov_b32 v10, 12 :: v_dual_mov_b32 v11, 16
	v_mov_b32_e32 v0, 0
	s_wait_kmcnt 0x0
	s_and_b32 s0, s20, 0xffff
	s_wait_alu 0xfffe
	v_mad_u32_u24 v13, v7, s0, v6
	v_mov_b32_e32 v12, 20
	v_add3_u32 v5, v5, v17, v14
	s_lshl_b32 s20, s22, 6
	s_delay_alu instid0(VALU_DEP_3) | instskip(SKIP_1) | instid1(VALU_DEP_3)
	v_dual_mov_b32 v14, 28 :: v_dual_and_b32 v19, 31, v13
	v_mov_b32_e32 v13, 24
	v_lshlrev_b64_e32 v[17:18], 1, v[4:5]
	s_mul_u64 s[24:25], s[18:19], s[20:21]
	s_lshl_b64 s[22:23], s[20:21], 2
	v_add_co_u32 v2, vcc_lo, v2, v19
	s_delay_alu instid0(VALU_DEP_1) | instskip(NEXT) | instid1(VALU_DEP_3)
	v_add_co_ci_u32_e64 v3, null, 0, v3, vcc_lo
	v_add_co_u32 v15, vcc_lo, v17, v15
	v_cmp_gt_u32_e64 s0, 8, v19
	s_delay_alu instid0(VALU_DEP_3)
	v_lshlrev_b64_e32 v[4:5], 2, v[2:3]
	s_wait_alu 0xfffd
	v_add_co_ci_u32_e64 v16, null, v18, v16, vcc_lo
	v_mov_b32_e32 v17, 0
	s_lshl_b64 s[24:25], s[24:25], 1
	s_lshl_b64 s[18:19], s[18:19], 1
	s_branch .LBB100_7
.LBB100_5:                              ;   in Loop: Header=BB100_7 Depth=1
	s_or_b32 exec_lo, exec_lo, s26
.LBB100_6:                              ;   in Loop: Header=BB100_7 Depth=1
	s_wait_alu 0xfffe
	s_or_b32 exec_lo, exec_lo, s1
	v_add_co_u32 v20, vcc_lo, s4, v15
	s_wait_alu 0xfffd
	v_add_co_ci_u32_e64 v21, null, s5, v16, vcc_lo
	v_add_co_u32 v22, vcc_lo, s6, v15
	s_wait_alu 0xfffd
	v_add_co_ci_u32_e64 v23, null, s7, v16, vcc_lo
	;; [unrolled: 3-line block ×5, first 2 shown]
	global_load_u16 v30, v[20:21], off
	global_load_u16 v31, v[22:23], off
	;; [unrolled: 1-line block ×5, first 2 shown]
	v_add_co_u32 v20, vcc_lo, v26, s18
	s_wait_alu 0xfffd
	v_add_co_ci_u32_e64 v21, null, s19, v27, vcc_lo
	v_add_co_u32 v22, vcc_lo, v28, s18
	s_wait_alu 0xfffd
	v_add_co_ci_u32_e64 v23, null, s19, v29, vcc_lo
	;; [unrolled: 3-line block ×5, first 2 shown]
	global_load_u16 v35, v[20:21], off
	global_load_u16 v36, v[22:23], off
	global_load_u16 v37, v[24:25], off
	global_load_u16 v38, v[26:27], off
	global_load_u16 v39, v[28:29], off
	v_add_co_u32 v20, vcc_lo, v26, s18
	s_wait_alu 0xfffd
	v_add_co_ci_u32_e64 v21, null, s19, v27, vcc_lo
	v_add_co_u32 v22, vcc_lo, v28, s18
	s_wait_alu 0xfffd
	v_add_co_ci_u32_e64 v23, null, s19, v29, vcc_lo
	;; [unrolled: 3-line block ×4, first 2 shown]
	global_load_u16 v28, v[20:21], off
	global_load_u16 v29, v[22:23], off
	global_load_u16 v40, v[24:25], off
	global_load_u16 v41, v[26:27], off
	v_add_co_u32 v20, vcc_lo, v26, s18
	s_wait_alu 0xfffd
	v_add_co_ci_u32_e64 v21, null, s19, v27, vcc_lo
	v_add_co_u32 v22, vcc_lo, v24, s18
	s_wait_alu 0xfffd
	v_add_co_ci_u32_e64 v23, null, s19, v25, vcc_lo
	global_load_u16 v20, v[20:21], off
	global_load_u16 v21, v[22:23], off
	s_wait_loadcnt 0x11
	ds_bpermute_b32 v25, v9, v18
	ds_bpermute_b32 v22, v1, v18
	s_wait_loadcnt 0x10
	ds_bpermute_b32 v23, v1, v19
	ds_bpermute_b32 v27, v8, v18
	;; [unrolled: 1-line block ×14, first 2 shown]
	v_add_co_u32 v4, vcc_lo, v4, s22
	s_add_nc_u64 s[2:3], s[2:3], s[20:21]
	s_wait_alu 0xfffd
	v_add_co_ci_u32_e64 v5, null, s23, v5, vcc_lo
	v_add_co_u32 v2, vcc_lo, v2, s20
	s_wait_alu 0xfffe
	v_cmp_lt_i64_e64 s1, s[2:3], s[16:17]
	s_wait_alu 0xfffd
	v_add_co_ci_u32_e64 v3, null, 0, v3, vcc_lo
	v_add_co_u32 v15, vcc_lo, v15, s24
	s_wait_alu 0xfffd
	v_add_co_ci_u32_e64 v16, null, s25, v16, vcc_lo
	s_and_b32 vcc_lo, exec_lo, s1
	s_wait_loadcnt 0xc
	v_lshlrev_b32_e32 v33, 16, v33
	s_wait_dscnt 0xf
	s_delay_alu instid0(VALU_DEP_1) | instskip(SKIP_1) | instid1(VALU_DEP_2)
	v_dual_sub_f32 v25, v33, v25 :: v_dual_lshlrev_b32 v30, 16, v30
	v_lshlrev_b32_e32 v31, 16, v31
	v_add_f32_e32 v17, v17, v30
	s_wait_dscnt 0xe
	s_delay_alu instid0(VALU_DEP_2) | instskip(NEXT) | instid1(VALU_DEP_1)
	v_sub_f32_e32 v22, v31, v22
	v_dual_mul_f32 v22, v22, v30 :: v_dual_lshlrev_b32 v31, 16, v32
	s_wait_loadcnt 0xa
	v_lshlrev_b32_e32 v32, 16, v35
	v_lshlrev_b32_e32 v30, 16, v34
	s_wait_dscnt 0xd
	v_fmac_f32_e32 v0, v22, v23
	s_wait_loadcnt 0x8
	v_dual_mul_f32 v22, v25, v31 :: v_dual_lshlrev_b32 v25, 16, v37
	s_wait_dscnt 0xc
	v_sub_f32_e32 v23, v32, v27
	v_add_f32_e32 v17, v17, v31
	v_lshlrev_b32_e32 v27, 16, v36
	s_wait_dscnt 0xb
	v_fmac_f32_e32 v0, v22, v24
	s_wait_loadcnt 0x6
	v_lshlrev_b32_e32 v24, 16, v39
	s_wait_dscnt 0xa
	v_dual_mul_f32 v22, v23, v30 :: v_dual_sub_f32 v23, v25, v43
	v_add_f32_e32 v17, v17, v30
	v_lshlrev_b32_e32 v25, 16, v38
	s_wait_dscnt 0x9
	s_delay_alu instid0(VALU_DEP_3)
	v_fmac_f32_e32 v0, v22, v26
	s_wait_dscnt 0x8
	v_dual_mul_f32 v22, v23, v27 :: v_dual_sub_f32 v23, v24, v45
	s_wait_loadcnt 0x5
	v_lshlrev_b32_e32 v26, 16, v28
	s_wait_loadcnt 0x4
	v_dual_add_f32 v17, v17, v27 :: v_dual_lshlrev_b32 v24, 16, v29
	s_wait_dscnt 0x7
	v_fmac_f32_e32 v0, v22, v42
	s_wait_dscnt 0x5
	s_delay_alu instid0(VALU_DEP_2) | instskip(SKIP_3) | instid1(VALU_DEP_3)
	v_dual_mul_f32 v22, v23, v25 :: v_dual_sub_f32 v23, v24, v47
	v_add_f32_e32 v17, v17, v25
	s_wait_loadcnt 0x3
	v_lshlrev_b32_e32 v25, 16, v40
	v_fmac_f32_e32 v0, v22, v44
	s_wait_loadcnt 0x2
	v_dual_add_f32 v17, v17, v26 :: v_dual_lshlrev_b32 v24, 16, v41
	v_mul_f32_e32 v22, v23, v26
	s_wait_loadcnt_dscnt 0x104
	s_delay_alu instid0(VALU_DEP_2)
	v_dual_sub_f32 v23, v24, v49 :: v_dual_lshlrev_b32 v20, 16, v20
	s_wait_loadcnt 0x0
	v_lshlrev_b32_e32 v21, 16, v21
	s_wait_dscnt 0x3
	v_dual_add_f32 v17, v17, v25 :: v_dual_fmac_f32 v0, v22, v46
	s_wait_dscnt 0x2
	v_sub_f32_e32 v18, v20, v18
	v_mul_f32_e32 v22, v23, v25
	s_delay_alu instid0(VALU_DEP_3) | instskip(NEXT) | instid1(VALU_DEP_3)
	v_add_f32_e32 v17, v17, v21
	v_mul_f32_e32 v18, v18, v21
	s_wait_dscnt 0x1
	s_delay_alu instid0(VALU_DEP_3) | instskip(SKIP_1) | instid1(VALU_DEP_1)
	v_fmac_f32_e32 v0, v22, v48
	s_wait_dscnt 0x0
	v_fmac_f32_e32 v0, v18, v19
	s_wait_alu 0xfffe
	s_cbranch_vccz .LBB100_10
.LBB100_7:                              ; =>This Inner Loop Header: Depth=1
	v_dual_mov_b32 v19, 0 :: v_dual_mov_b32 v18, 0
	s_and_saveexec_b32 s1, s0
	s_cbranch_execz .LBB100_6
; %bb.8:                                ;   in Loop: Header=BB100_7 Depth=1
	v_dual_mov_b32 v18, 0 :: v_dual_mov_b32 v19, 0
	s_mov_b32 s26, exec_lo
	v_cmpx_gt_i64_e64 s[16:17], v[2:3]
	s_cbranch_execz .LBB100_5
; %bb.9:                                ;   in Loop: Header=BB100_7 Depth=1
	v_add_co_u32 v18, vcc_lo, s8, v4
	s_wait_alu 0xfffd
	v_add_co_ci_u32_e64 v19, null, s9, v5, vcc_lo
	v_add_co_u32 v20, vcc_lo, s10, v4
	s_wait_alu 0xfffd
	v_add_co_ci_u32_e64 v21, null, s11, v5, vcc_lo
	global_load_b32 v18, v[18:19], off
	global_load_b32 v19, v[20:21], off
	s_branch .LBB100_5
.LBB100_10:
	v_mov_b32_e32 v1, v7
.LBB100_11:
	s_delay_alu instid0(VALU_DEP_1) | instskip(SKIP_1) | instid1(VALU_DEP_1)
	v_mad_u32_u24 v2, 0x41, v1, v6
	s_mov_b32 s0, exec_lo
	v_lshl_add_u32 v4, v2, 2, 0
	v_sub_nc_u32_e32 v3, v2, v1
	ds_store_b32 v4, v0
	ds_store_b32 v4, v17 offset:2080
	s_wait_dscnt 0x0
	s_barrier_signal -1
	s_barrier_wait -1
	global_inv scope:SCOPE_SE
	v_cmpx_gt_u32_e32 0x800, v3
	s_cbranch_execz .LBB100_43
; %bb.12:
	v_and_b32_e32 v0, 31, v6
	v_lshrrev_b32_e32 v2, 5, v3
                                        ; implicit-def: $vgpr1
	s_delay_alu instid0(VALU_DEP_2)
	v_cmp_gt_u32_e64 s0, 8, v0
	v_mul_u32_u24_e32 v4, 0x41, v0
                                        ; implicit-def: $vgpr0
	s_wait_alu 0xfffe
	s_and_saveexec_b32 s1, s0
	s_cbranch_execz .LBB100_14
; %bb.13:
	s_delay_alu instid0(VALU_DEP_1) | instskip(NEXT) | instid1(VALU_DEP_1)
	v_add_nc_u32_e32 v0, v2, v4
	v_lshl_add_u32 v0, v0, 2, 0
	ds_load_b32 v1, v0
	ds_load_b32 v0, v0 offset:2080
.LBB100_14:
	s_wait_alu 0xfffe
	s_or_b32 exec_lo, exec_lo, s1
	v_mbcnt_lo_u32_b32 v8, -1, 0
	s_mov_b32 s2, ttmp9
	s_mov_b32 s3, 0
	v_cmp_eq_u32_e64 s1, 0, v6
	s_wait_alu 0xfffe
	s_lshl_b64 s[2:3], s[2:3], 6
	v_xor_b32_e32 v5, 4, v8
	v_xor_b32_e32 v7, 2, v8
	;; [unrolled: 1-line block ×3, first 2 shown]
	s_wait_kmcnt 0x0
	s_cmp_lg_u64 s[12:13], 0
	s_cselect_b32 s5, -1, 0
	v_cmp_gt_i32_e32 vcc_lo, 32, v5
	s_cmp_lg_u64 s[14:15], 0
	s_cselect_b32 s4, -1, 0
	s_wait_alu 0xfffd
	v_cndmask_b32_e32 v5, v8, v5, vcc_lo
	v_cmp_gt_i32_e32 vcc_lo, 32, v7
	s_wait_alu 0xfffd
	v_cndmask_b32_e32 v7, v8, v7, vcc_lo
	v_cmp_gt_i32_e32 vcc_lo, 32, v11
	s_wait_alu 0xfffd
	v_cndmask_b32_e32 v8, v8, v11, vcc_lo
	s_delay_alu instid0(VALU_DEP_1)
	v_lshlrev_b32_e32 v8, 2, v8
	v_lshlrev_b32_e32 v5, 2, v5
	s_wait_dscnt 0x0
	ds_bpermute_b32 v10, v5, v0
	s_wait_dscnt 0x0
	v_add_f32_e32 v0, v0, v10
	ds_bpermute_b32 v9, v5, v1
	v_lshlrev_b32_e32 v7, 2, v7
	ds_bpermute_b32 v10, v7, v0
	s_wait_dscnt 0x0
	v_dual_add_f32 v1, v1, v9 :: v_dual_add_f32 v0, v0, v10
	ds_bpermute_b32 v9, v7, v1
	ds_bpermute_b32 v10, v8, v0
	s_wait_dscnt 0x1
	v_add_f32_e32 v1, v1, v9
	ds_bpermute_b32 v9, v8, v1
	s_wait_dscnt 0x0
	v_dual_add_f32 v6, v1, v9 :: v_dual_add_f32 v9, v0, v10
	s_and_saveexec_b32 s6, s1
	s_cbranch_execz .LBB100_19
; %bb.15:
	s_wait_alu 0xfffe
	v_mov_b32_e32 v1, s3
	v_or_b32_e32 v0, s2, v2
	s_and_not1_b32 vcc_lo, exec_lo, s5
	s_delay_alu instid0(VALU_DEP_1)
	v_lshlrev_b64_e32 v[0:1], 1, v[0:1]
	s_wait_alu 0xfffe
	s_cbranch_vccnz .LBB100_17
; %bb.16:
	v_bfe_u32 v10, v6, 16, 1
	v_cmp_o_f32_e32 vcc_lo, v6, v6
	s_delay_alu instid0(VALU_DEP_2) | instskip(NEXT) | instid1(VALU_DEP_1)
	v_add3_u32 v10, v6, v10, 0x7fff
	v_lshrrev_b32_e32 v10, 16, v10
	s_wait_alu 0xfffd
	s_delay_alu instid0(VALU_DEP_1)
	v_cndmask_b32_e32 v12, 0x7fc0, v10, vcc_lo
	v_add_co_u32 v10, vcc_lo, s12, v0
	s_wait_alu 0xfffd
	v_add_co_ci_u32_e64 v11, null, s13, v1, vcc_lo
	global_store_b16 v[10:11], v12, off
.LBB100_17:
	s_and_not1_b32 vcc_lo, exec_lo, s4
	s_wait_alu 0xfffe
	s_cbranch_vccnz .LBB100_19
; %bb.18:
	v_bfe_u32 v10, v9, 16, 1
	v_cmp_o_f32_e32 vcc_lo, v9, v9
	s_delay_alu instid0(VALU_DEP_2) | instskip(NEXT) | instid1(VALU_DEP_1)
	v_add3_u32 v10, v9, v10, 0x7fff
	v_lshrrev_b32_e32 v10, 16, v10
	s_wait_alu 0xfffd
	s_delay_alu instid0(VALU_DEP_1)
	v_cndmask_b32_e32 v10, 0x7fc0, v10, vcc_lo
	v_add_co_u32 v0, vcc_lo, s14, v0
	s_wait_alu 0xfffd
	v_add_co_ci_u32_e64 v1, null, s15, v1, vcc_lo
	global_store_b16 v[0:1], v10, off
.LBB100_19:
	s_wait_alu 0xfffe
	s_or_b32 exec_lo, exec_lo, s6
	v_cmp_gt_u32_e32 vcc_lo, 0x600, v3
	s_and_b32 exec_lo, exec_lo, vcc_lo
	s_cbranch_execz .LBB100_43
; %bb.20:
	s_and_saveexec_b32 s6, s0
	s_cbranch_execz .LBB100_22
; %bb.21:
	v_add_nc_u32_e32 v0, v2, v4
	s_delay_alu instid0(VALU_DEP_1)
	v_lshl_add_u32 v0, v0, 2, 0
	ds_load_b32 v6, v0 offset:64
	ds_load_b32 v9, v0 offset:2144
.LBB100_22:
	s_wait_alu 0xfffe
	s_or_b32 exec_lo, exec_lo, s6
	s_wait_dscnt 0x1
	ds_bpermute_b32 v0, v5, v6
	s_wait_dscnt 0x1
	ds_bpermute_b32 v1, v5, v9
	s_wait_dscnt 0x0
	v_dual_add_f32 v0, v6, v0 :: v_dual_add_f32 v1, v9, v1
	ds_bpermute_b32 v6, v7, v0
	ds_bpermute_b32 v9, v7, v1
	s_wait_dscnt 0x0
	v_dual_add_f32 v0, v0, v6 :: v_dual_add_f32 v1, v1, v9
	ds_bpermute_b32 v6, v8, v0
	ds_bpermute_b32 v9, v8, v1
	s_wait_dscnt 0x0
	v_dual_add_f32 v0, v0, v6 :: v_dual_add_f32 v1, v1, v9
	s_and_saveexec_b32 s6, s1
	s_cbranch_execz .LBB100_27
; %bb.23:
	s_and_not1_b32 vcc_lo, exec_lo, s5
	s_wait_alu 0xfffe
	s_cbranch_vccnz .LBB100_25
; %bb.24:
	v_bfe_u32 v6, v0, 16, 1
	v_add_co_u32 v9, s7, s2, v2
	s_wait_alu 0xf1ff
	v_add_co_ci_u32_e64 v10, null, s3, 0, s7
	s_delay_alu instid0(VALU_DEP_3) | instskip(SKIP_1) | instid1(VALU_DEP_3)
	v_add3_u32 v6, v0, v6, 0x7fff
	v_cmp_o_f32_e32 vcc_lo, v0, v0
	v_lshlrev_b64_e32 v[9:10], 1, v[9:10]
	s_delay_alu instid0(VALU_DEP_3) | instskip(SKIP_1) | instid1(VALU_DEP_1)
	v_lshrrev_b32_e32 v6, 16, v6
	s_wait_alu 0xfffd
	v_cndmask_b32_e32 v6, 0x7fc0, v6, vcc_lo
	s_delay_alu instid0(VALU_DEP_3)
	v_add_co_u32 v9, vcc_lo, s12, v9
	s_wait_alu 0xfffd
	v_add_co_ci_u32_e64 v10, null, s13, v10, vcc_lo
	global_store_b16 v[9:10], v6, off offset:32
.LBB100_25:
	s_and_not1_b32 vcc_lo, exec_lo, s4
	s_wait_alu 0xfffe
	s_cbranch_vccnz .LBB100_27
; %bb.26:
	v_bfe_u32 v6, v1, 16, 1
	v_add_co_u32 v9, s7, s2, v2
	s_wait_alu 0xf1ff
	v_add_co_ci_u32_e64 v10, null, s3, 0, s7
	s_delay_alu instid0(VALU_DEP_3) | instskip(SKIP_1) | instid1(VALU_DEP_3)
	v_add3_u32 v6, v1, v6, 0x7fff
	v_cmp_o_f32_e32 vcc_lo, v1, v1
	v_lshlrev_b64_e32 v[9:10], 1, v[9:10]
	s_delay_alu instid0(VALU_DEP_3) | instskip(SKIP_1) | instid1(VALU_DEP_1)
	v_lshrrev_b32_e32 v6, 16, v6
	s_wait_alu 0xfffd
	v_cndmask_b32_e32 v6, 0x7fc0, v6, vcc_lo
	s_delay_alu instid0(VALU_DEP_3)
	v_add_co_u32 v9, vcc_lo, s14, v9
	s_wait_alu 0xfffd
	v_add_co_ci_u32_e64 v10, null, s15, v10, vcc_lo
	global_store_b16 v[9:10], v6, off offset:32
.LBB100_27:
	s_wait_alu 0xfffe
	s_or_b32 exec_lo, exec_lo, s6
	v_cmp_gt_u32_e32 vcc_lo, 0x400, v3
	s_and_b32 exec_lo, exec_lo, vcc_lo
	s_cbranch_execz .LBB100_43
; %bb.28:
	s_and_saveexec_b32 s6, s0
	s_cbranch_execz .LBB100_30
; %bb.29:
	v_add_nc_u32_e32 v0, v2, v4
	s_delay_alu instid0(VALU_DEP_1)
	v_lshl_add_u32 v1, v0, 2, 0
	ds_load_b32 v0, v1 offset:128
	ds_load_b32 v1, v1 offset:2208
.LBB100_30:
	s_wait_alu 0xfffe
	s_or_b32 exec_lo, exec_lo, s6
	s_wait_dscnt 0x1
	ds_bpermute_b32 v6, v5, v0
	s_wait_dscnt 0x1
	ds_bpermute_b32 v9, v5, v1
	s_wait_dscnt 0x0
	v_dual_add_f32 v0, v0, v6 :: v_dual_add_f32 v1, v1, v9
	ds_bpermute_b32 v6, v7, v0
	ds_bpermute_b32 v9, v7, v1
	s_wait_dscnt 0x0
	v_dual_add_f32 v0, v0, v6 :: v_dual_add_f32 v1, v1, v9
	ds_bpermute_b32 v6, v8, v0
	ds_bpermute_b32 v9, v8, v1
	s_wait_dscnt 0x0
	v_dual_add_f32 v0, v0, v6 :: v_dual_add_f32 v1, v1, v9
	s_and_saveexec_b32 s6, s1
	s_cbranch_execz .LBB100_35
; %bb.31:
	s_and_not1_b32 vcc_lo, exec_lo, s5
	s_wait_alu 0xfffe
	s_cbranch_vccnz .LBB100_33
; %bb.32:
	v_bfe_u32 v6, v0, 16, 1
	v_add_co_u32 v9, s7, s2, v2
	s_wait_alu 0xf1ff
	v_add_co_ci_u32_e64 v10, null, s3, 0, s7
	s_delay_alu instid0(VALU_DEP_3) | instskip(SKIP_1) | instid1(VALU_DEP_3)
	v_add3_u32 v6, v0, v6, 0x7fff
	v_cmp_o_f32_e32 vcc_lo, v0, v0
	v_lshlrev_b64_e32 v[9:10], 1, v[9:10]
	s_delay_alu instid0(VALU_DEP_3) | instskip(SKIP_1) | instid1(VALU_DEP_1)
	v_lshrrev_b32_e32 v6, 16, v6
	s_wait_alu 0xfffd
	v_cndmask_b32_e32 v6, 0x7fc0, v6, vcc_lo
	s_delay_alu instid0(VALU_DEP_3)
	v_add_co_u32 v9, vcc_lo, s12, v9
	s_wait_alu 0xfffd
	v_add_co_ci_u32_e64 v10, null, s13, v10, vcc_lo
	global_store_b16 v[9:10], v6, off offset:64
.LBB100_33:
	s_and_not1_b32 vcc_lo, exec_lo, s4
	s_wait_alu 0xfffe
	s_cbranch_vccnz .LBB100_35
; %bb.34:
	v_bfe_u32 v6, v1, 16, 1
	v_add_co_u32 v9, s7, s2, v2
	s_wait_alu 0xf1ff
	v_add_co_ci_u32_e64 v10, null, s3, 0, s7
	s_delay_alu instid0(VALU_DEP_3) | instskip(SKIP_1) | instid1(VALU_DEP_3)
	v_add3_u32 v6, v1, v6, 0x7fff
	v_cmp_o_f32_e32 vcc_lo, v1, v1
	v_lshlrev_b64_e32 v[9:10], 1, v[9:10]
	s_delay_alu instid0(VALU_DEP_3) | instskip(SKIP_1) | instid1(VALU_DEP_1)
	v_lshrrev_b32_e32 v6, 16, v6
	s_wait_alu 0xfffd
	v_cndmask_b32_e32 v6, 0x7fc0, v6, vcc_lo
	s_delay_alu instid0(VALU_DEP_3)
	v_add_co_u32 v9, vcc_lo, s14, v9
	s_wait_alu 0xfffd
	v_add_co_ci_u32_e64 v10, null, s15, v10, vcc_lo
	global_store_b16 v[9:10], v6, off offset:64
.LBB100_35:
	s_wait_alu 0xfffe
	s_or_b32 exec_lo, exec_lo, s6
	v_cmp_gt_u32_e32 vcc_lo, 0x200, v3
	s_and_b32 exec_lo, exec_lo, vcc_lo
	s_cbranch_execz .LBB100_43
; %bb.36:
	s_and_saveexec_b32 s6, s0
	s_cbranch_execz .LBB100_38
; %bb.37:
	v_add_nc_u32_e32 v0, v2, v4
	s_delay_alu instid0(VALU_DEP_1)
	v_lshl_add_u32 v1, v0, 2, 0
	ds_load_b32 v0, v1 offset:192
	ds_load_b32 v1, v1 offset:2272
.LBB100_38:
	s_wait_alu 0xfffe
	s_or_b32 exec_lo, exec_lo, s6
	s_wait_dscnt 0x1
	ds_bpermute_b32 v3, v5, v0
	s_wait_dscnt 0x1
	ds_bpermute_b32 v4, v5, v1
	s_wait_dscnt 0x0
	v_dual_add_f32 v0, v0, v3 :: v_dual_add_f32 v1, v1, v4
	ds_bpermute_b32 v3, v7, v0
	ds_bpermute_b32 v4, v7, v1
	s_wait_dscnt 0x0
	v_dual_add_f32 v3, v0, v3 :: v_dual_add_f32 v0, v1, v4
	ds_bpermute_b32 v4, v8, v3
	ds_bpermute_b32 v1, v8, v0
	s_and_b32 exec_lo, exec_lo, s1
	s_cbranch_execz .LBB100_43
; %bb.39:
	s_and_not1_b32 vcc_lo, exec_lo, s5
	s_wait_alu 0xfffe
	s_cbranch_vccnz .LBB100_41
; %bb.40:
	s_wait_dscnt 0x1
	v_add_f32_e32 v5, v3, v4
	s_delay_alu instid0(VALU_DEP_1) | instskip(SKIP_1) | instid1(VALU_DEP_2)
	v_bfe_u32 v3, v5, 16, 1
	v_cmp_o_f32_e32 vcc_lo, v5, v5
	v_add3_u32 v6, v5, v3, 0x7fff
	v_add_co_u32 v3, s0, s2, v2
	s_wait_alu 0xf1ff
	v_add_co_ci_u32_e64 v4, null, s3, 0, s0
	s_delay_alu instid0(VALU_DEP_3) | instskip(NEXT) | instid1(VALU_DEP_2)
	v_lshrrev_b32_e32 v6, 16, v6
	v_lshlrev_b64_e32 v[3:4], 1, v[3:4]
	s_wait_alu 0xfffd
	s_delay_alu instid0(VALU_DEP_2) | instskip(NEXT) | instid1(VALU_DEP_2)
	v_cndmask_b32_e32 v5, 0x7fc0, v6, vcc_lo
	v_add_co_u32 v3, vcc_lo, s12, v3
	s_wait_alu 0xfffd
	s_delay_alu instid0(VALU_DEP_3)
	v_add_co_ci_u32_e64 v4, null, s13, v4, vcc_lo
	global_store_b16 v[3:4], v5, off offset:96
.LBB100_41:
	s_and_not1_b32 vcc_lo, exec_lo, s4
	s_wait_alu 0xfffe
	s_cbranch_vccnz .LBB100_43
; %bb.42:
	s_wait_dscnt 0x0
	v_add_f32_e32 v3, v0, v1
	s_delay_alu instid0(VALU_DEP_1) | instskip(SKIP_1) | instid1(VALU_DEP_2)
	v_bfe_u32 v0, v3, 16, 1
	v_cmp_o_f32_e32 vcc_lo, v3, v3
	v_add3_u32 v4, v3, v0, 0x7fff
	v_add_co_u32 v0, s0, s2, v2
	s_wait_alu 0xf1ff
	v_add_co_ci_u32_e64 v1, null, s3, 0, s0
	s_delay_alu instid0(VALU_DEP_3) | instskip(NEXT) | instid1(VALU_DEP_2)
	v_lshrrev_b32_e32 v2, 16, v4
	v_lshlrev_b64_e32 v[0:1], 1, v[0:1]
	s_wait_alu 0xfffd
	s_delay_alu instid0(VALU_DEP_2) | instskip(NEXT) | instid1(VALU_DEP_2)
	v_cndmask_b32_e32 v2, 0x7fc0, v2, vcc_lo
	v_add_co_u32 v0, vcc_lo, s14, v0
	s_wait_alu 0xfffd
	s_delay_alu instid0(VALU_DEP_3)
	v_add_co_ci_u32_e64 v1, null, s15, v1, vcc_lo
	global_store_b16 v[0:1], v2, off offset:96
.LBB100_43:
	s_endpgm
	.section	.rodata,"a",@progbits
	.p2align	6, 0x0
	.amdhsa_kernel _ZN2at6native12_GLOBAL__N_135GammaBetaBackwardCUDAKernelTemplateIN3c108BFloat16EfLj64ELj8ELj64ELb0ELb1ELb0EEEvllPKT_S7_PKT0_SA_PS5_SB_
		.amdhsa_group_segment_fixed_size 0
		.amdhsa_private_segment_fixed_size 0
		.amdhsa_kernarg_size 320
		.amdhsa_user_sgpr_count 2
		.amdhsa_user_sgpr_dispatch_ptr 0
		.amdhsa_user_sgpr_queue_ptr 0
		.amdhsa_user_sgpr_kernarg_segment_ptr 1
		.amdhsa_user_sgpr_dispatch_id 0
		.amdhsa_user_sgpr_private_segment_size 0
		.amdhsa_wavefront_size32 1
		.amdhsa_uses_dynamic_stack 0
		.amdhsa_enable_private_segment 0
		.amdhsa_system_sgpr_workgroup_id_x 1
		.amdhsa_system_sgpr_workgroup_id_y 1
		.amdhsa_system_sgpr_workgroup_id_z 0
		.amdhsa_system_sgpr_workgroup_info 0
		.amdhsa_system_vgpr_workitem_id 1
		.amdhsa_next_free_vgpr 50
		.amdhsa_next_free_sgpr 27
		.amdhsa_reserve_vcc 1
		.amdhsa_float_round_mode_32 0
		.amdhsa_float_round_mode_16_64 0
		.amdhsa_float_denorm_mode_32 3
		.amdhsa_float_denorm_mode_16_64 3
		.amdhsa_fp16_overflow 0
		.amdhsa_workgroup_processor_mode 1
		.amdhsa_memory_ordered 1
		.amdhsa_forward_progress 1
		.amdhsa_inst_pref_size 27
		.amdhsa_round_robin_scheduling 0
		.amdhsa_exception_fp_ieee_invalid_op 0
		.amdhsa_exception_fp_denorm_src 0
		.amdhsa_exception_fp_ieee_div_zero 0
		.amdhsa_exception_fp_ieee_overflow 0
		.amdhsa_exception_fp_ieee_underflow 0
		.amdhsa_exception_fp_ieee_inexact 0
		.amdhsa_exception_int_div_zero 0
	.end_amdhsa_kernel
	.section	.text._ZN2at6native12_GLOBAL__N_135GammaBetaBackwardCUDAKernelTemplateIN3c108BFloat16EfLj64ELj8ELj64ELb0ELb1ELb0EEEvllPKT_S7_PKT0_SA_PS5_SB_,"axG",@progbits,_ZN2at6native12_GLOBAL__N_135GammaBetaBackwardCUDAKernelTemplateIN3c108BFloat16EfLj64ELj8ELj64ELb0ELb1ELb0EEEvllPKT_S7_PKT0_SA_PS5_SB_,comdat
.Lfunc_end100:
	.size	_ZN2at6native12_GLOBAL__N_135GammaBetaBackwardCUDAKernelTemplateIN3c108BFloat16EfLj64ELj8ELj64ELb0ELb1ELb0EEEvllPKT_S7_PKT0_SA_PS5_SB_, .Lfunc_end100-_ZN2at6native12_GLOBAL__N_135GammaBetaBackwardCUDAKernelTemplateIN3c108BFloat16EfLj64ELj8ELj64ELb0ELb1ELb0EEEvllPKT_S7_PKT0_SA_PS5_SB_
                                        ; -- End function
	.set _ZN2at6native12_GLOBAL__N_135GammaBetaBackwardCUDAKernelTemplateIN3c108BFloat16EfLj64ELj8ELj64ELb0ELb1ELb0EEEvllPKT_S7_PKT0_SA_PS5_SB_.num_vgpr, 50
	.set _ZN2at6native12_GLOBAL__N_135GammaBetaBackwardCUDAKernelTemplateIN3c108BFloat16EfLj64ELj8ELj64ELb0ELb1ELb0EEEvllPKT_S7_PKT0_SA_PS5_SB_.num_agpr, 0
	.set _ZN2at6native12_GLOBAL__N_135GammaBetaBackwardCUDAKernelTemplateIN3c108BFloat16EfLj64ELj8ELj64ELb0ELb1ELb0EEEvllPKT_S7_PKT0_SA_PS5_SB_.numbered_sgpr, 27
	.set _ZN2at6native12_GLOBAL__N_135GammaBetaBackwardCUDAKernelTemplateIN3c108BFloat16EfLj64ELj8ELj64ELb0ELb1ELb0EEEvllPKT_S7_PKT0_SA_PS5_SB_.num_named_barrier, 0
	.set _ZN2at6native12_GLOBAL__N_135GammaBetaBackwardCUDAKernelTemplateIN3c108BFloat16EfLj64ELj8ELj64ELb0ELb1ELb0EEEvllPKT_S7_PKT0_SA_PS5_SB_.private_seg_size, 0
	.set _ZN2at6native12_GLOBAL__N_135GammaBetaBackwardCUDAKernelTemplateIN3c108BFloat16EfLj64ELj8ELj64ELb0ELb1ELb0EEEvllPKT_S7_PKT0_SA_PS5_SB_.uses_vcc, 1
	.set _ZN2at6native12_GLOBAL__N_135GammaBetaBackwardCUDAKernelTemplateIN3c108BFloat16EfLj64ELj8ELj64ELb0ELb1ELb0EEEvllPKT_S7_PKT0_SA_PS5_SB_.uses_flat_scratch, 0
	.set _ZN2at6native12_GLOBAL__N_135GammaBetaBackwardCUDAKernelTemplateIN3c108BFloat16EfLj64ELj8ELj64ELb0ELb1ELb0EEEvllPKT_S7_PKT0_SA_PS5_SB_.has_dyn_sized_stack, 0
	.set _ZN2at6native12_GLOBAL__N_135GammaBetaBackwardCUDAKernelTemplateIN3c108BFloat16EfLj64ELj8ELj64ELb0ELb1ELb0EEEvllPKT_S7_PKT0_SA_PS5_SB_.has_recursion, 0
	.set _ZN2at6native12_GLOBAL__N_135GammaBetaBackwardCUDAKernelTemplateIN3c108BFloat16EfLj64ELj8ELj64ELb0ELb1ELb0EEEvllPKT_S7_PKT0_SA_PS5_SB_.has_indirect_call, 0
	.section	.AMDGPU.csdata,"",@progbits
; Kernel info:
; codeLenInByte = 3368
; TotalNumSgprs: 29
; NumVgprs: 50
; ScratchSize: 0
; MemoryBound: 0
; FloatMode: 240
; IeeeMode: 1
; LDSByteSize: 0 bytes/workgroup (compile time only)
; SGPRBlocks: 0
; VGPRBlocks: 6
; NumSGPRsForWavesPerEU: 29
; NumVGPRsForWavesPerEU: 50
; Occupancy: 16
; WaveLimiterHint : 0
; COMPUTE_PGM_RSRC2:SCRATCH_EN: 0
; COMPUTE_PGM_RSRC2:USER_SGPR: 2
; COMPUTE_PGM_RSRC2:TRAP_HANDLER: 0
; COMPUTE_PGM_RSRC2:TGID_X_EN: 1
; COMPUTE_PGM_RSRC2:TGID_Y_EN: 1
; COMPUTE_PGM_RSRC2:TGID_Z_EN: 0
; COMPUTE_PGM_RSRC2:TIDIG_COMP_CNT: 1
	.section	.text._ZN2at6native12_GLOBAL__N_135GammaBetaBackwardCUDAKernelTemplateIN3c108BFloat16EfLj64ELj8ELj64ELb0ELb0ELb0EEEvllPKT_S7_PKT0_SA_PS5_SB_,"axG",@progbits,_ZN2at6native12_GLOBAL__N_135GammaBetaBackwardCUDAKernelTemplateIN3c108BFloat16EfLj64ELj8ELj64ELb0ELb0ELb0EEEvllPKT_S7_PKT0_SA_PS5_SB_,comdat
	.globl	_ZN2at6native12_GLOBAL__N_135GammaBetaBackwardCUDAKernelTemplateIN3c108BFloat16EfLj64ELj8ELj64ELb0ELb0ELb0EEEvllPKT_S7_PKT0_SA_PS5_SB_ ; -- Begin function _ZN2at6native12_GLOBAL__N_135GammaBetaBackwardCUDAKernelTemplateIN3c108BFloat16EfLj64ELj8ELj64ELb0ELb0ELb0EEEvllPKT_S7_PKT0_SA_PS5_SB_
	.p2align	8
	.type	_ZN2at6native12_GLOBAL__N_135GammaBetaBackwardCUDAKernelTemplateIN3c108BFloat16EfLj64ELj8ELj64ELb0ELb0ELb0EEEvllPKT_S7_PKT0_SA_PS5_SB_,@function
_ZN2at6native12_GLOBAL__N_135GammaBetaBackwardCUDAKernelTemplateIN3c108BFloat16EfLj64ELj8ELj64ELb0ELb0ELb0EEEvllPKT_S7_PKT0_SA_PS5_SB_: ; @_ZN2at6native12_GLOBAL__N_135GammaBetaBackwardCUDAKernelTemplateIN3c108BFloat16EfLj64ELj8ELj64ELb0ELb0ELb0EEEvllPKT_S7_PKT0_SA_PS5_SB_
; %bb.0:
	s_clause 0x1
	s_load_b256 s[4:11], s[0:1], 0x0
	s_load_b128 s[12:15], s[0:1], 0x20
	s_lshl_b32 s30, ttmp9, 6
	s_mov_b32 s17, 0
	s_or_b32 s16, s30, 63
	s_wait_kmcnt 0x0
	v_cmp_le_i64_e64 s2, s[6:7], s[16:17]
	s_lshl_b32 s16, ttmp7, 6
	s_wait_alu 0xfffe
	v_cmp_gt_i64_e64 s31, s[4:5], s[16:17]
	s_and_b32 vcc_lo, exec_lo, s2
	v_cndmask_b32_e64 v1, 0, 1, s31
	s_delay_alu instid0(VALU_DEP_1)
	v_cmp_ne_u32_e64 s2, 1, v1
	s_cbranch_vccz .LBB101_49
; %bb.1:
	v_dual_mov_b32 v10, 0 :: v_dual_mov_b32 v55, 0
	s_and_b32 vcc_lo, exec_lo, s2
	s_cbranch_vccnz .LBB101_50
; %bb.2:
	v_bfe_u32 v20, v0, 10, 10
	v_dual_mov_b32 v1, 0 :: v_dual_and_b32 v22, 0x3ff, v0
	s_load_b32 s3, s[0:1], 0x44
	s_mov_b32 s19, 0
	s_delay_alu instid0(VALU_DEP_2) | instskip(NEXT) | instid1(VALU_DEP_2)
	v_dual_mov_b32 v56, 0 :: v_dual_lshlrev_b32 v21, 3, v20
	v_dual_mov_b32 v3, v1 :: v_dual_add_nc_u32 v2, s30, v22
	s_mov_b32 s23, s19
	s_delay_alu instid0(VALU_DEP_2) | instskip(NEXT) | instid1(VALU_DEP_1)
	v_add_co_u32 v10, s2, v21, s16
	v_add_co_ci_u32_e64 v11, null, 0, 0, s2
	s_delay_alu instid0(VALU_DEP_3) | instskip(NEXT) | instid1(VALU_DEP_3)
	v_cmp_gt_i64_e64 s2, s[6:7], v[2:3]
	v_mul_lo_u32 v6, s7, v10
	v_mad_co_u64_u32 v[4:5], null, s6, v10, 0
	s_delay_alu instid0(VALU_DEP_4) | instskip(SKIP_1) | instid1(VALU_DEP_1)
	v_mul_lo_u32 v7, s6, v11
	v_add_co_u32 v8, vcc_lo, v10, 7
	v_add_co_ci_u32_e64 v9, null, 0, v11, vcc_lo
	v_lshlrev_b64_e32 v[18:19], 1, v[2:3]
	s_delay_alu instid0(VALU_DEP_3)
	v_mul_lo_u32 v12, s7, v8
	s_wait_kmcnt 0x0
	s_lshl_b32 s22, s3, 6
	v_add3_u32 v5, v5, v7, v6
	v_mad_co_u64_u32 v[6:7], null, s6, v8, 0
	v_add_co_u32 v8, vcc_lo, v10, 6
	v_mul_lo_u32 v13, s6, v9
	s_wait_alu 0xfffd
	v_add_co_ci_u32_e64 v9, null, 0, v11, vcc_lo
	v_lshlrev_b64_e32 v[2:3], 1, v[4:5]
	v_mul_lo_u32 v14, s7, v8
	v_mov_b32_e32 v55, 0
	s_delay_alu instid0(VALU_DEP_4)
	v_mul_lo_u32 v15, s6, v9
	v_mad_co_u64_u32 v[8:9], null, s6, v8, 0
	v_add_co_u32 v23, vcc_lo, s8, v2
	s_wait_alu 0xfffd
	v_add_co_ci_u32_e64 v24, null, s9, v3, vcc_lo
	v_add_co_u32 v25, vcc_lo, s10, v2
	v_add3_u32 v7, v7, v13, v12
	s_wait_alu 0xfffd
	v_add_co_ci_u32_e64 v26, null, s11, v3, vcc_lo
	v_add_co_u32 v12, vcc_lo, v10, 5
	v_add3_u32 v9, v9, v15, v14
	s_wait_alu 0xfffd
	v_add_co_ci_u32_e64 v13, null, 0, v11, vcc_lo
	v_lshlrev_b64_e32 v[2:3], 1, v[6:7]
	v_mul_lo_u32 v14, s7, v12
	v_lshlrev_b64_e32 v[6:7], 1, v[8:9]
	s_delay_alu instid0(VALU_DEP_4)
	v_mul_lo_u32 v13, s6, v13
	v_mad_co_u64_u32 v[8:9], null, s6, v12, 0
	v_add_co_u32 v27, vcc_lo, s8, v2
	s_wait_alu 0xfffd
	v_add_co_ci_u32_e64 v28, null, s9, v3, vcc_lo
	v_add_co_u32 v29, vcc_lo, s10, v2
	s_wait_alu 0xfffd
	v_add_co_ci_u32_e64 v30, null, s11, v3, vcc_lo
	v_add_co_u32 v31, vcc_lo, s8, v6
	v_add3_u32 v9, v9, v13, v14
	s_wait_alu 0xfffd
	v_add_co_ci_u32_e64 v32, null, s9, v7, vcc_lo
	v_add_co_u32 v12, vcc_lo, v10, 4
	v_add_co_u32 v33, s3, s10, v6
	s_wait_alu 0xfffd
	v_add_co_ci_u32_e64 v6, null, 0, v11, vcc_lo
	v_lshlrev_b64_e32 v[2:3], 1, v[8:9]
	v_add_co_u32 v8, vcc_lo, v10, 3
	s_wait_alu 0xfffd
	v_add_co_ci_u32_e64 v9, null, 0, v11, vcc_lo
	s_wait_alu 0xf1ff
	v_add_co_ci_u32_e64 v34, null, s11, v7, s3
	v_mul_lo_u32 v13, s7, v12
	v_mul_lo_u32 v14, s6, v6
	v_mad_co_u64_u32 v[6:7], null, s6, v12, 0
	v_mul_lo_u32 v12, s7, v8
	v_mul_lo_u32 v15, s6, v9
	v_mad_co_u64_u32 v[8:9], null, s6, v8, 0
	v_add_co_u32 v35, vcc_lo, s8, v2
	s_wait_alu 0xfffd
	v_add_co_ci_u32_e64 v36, null, s9, v3, vcc_lo
	v_add3_u32 v7, v7, v14, v13
	v_add_co_u32 v37, vcc_lo, s10, v2
	s_wait_alu 0xfffd
	v_add_co_ci_u32_e64 v38, null, s11, v3, vcc_lo
	v_add_co_u32 v10, vcc_lo, v10, 2
	v_add3_u32 v9, v9, v15, v12
	s_wait_alu 0xfffd
	v_add_co_ci_u32_e64 v11, null, 0, v11, vcc_lo
	v_lshlrev_b64_e32 v[2:3], 1, v[6:7]
	v_mul_lo_u32 v12, s7, v10
	v_lshlrev_b64_e32 v[6:7], 1, v[8:9]
	s_delay_alu instid0(VALU_DEP_4)
	v_mul_lo_u32 v11, s6, v11
	v_mad_co_u64_u32 v[8:9], null, s6, v10, 0
	v_add_co_u32 v39, vcc_lo, s8, v2
	s_wait_alu 0xfffd
	v_add_co_ci_u32_e64 v40, null, s9, v3, vcc_lo
	v_add_co_u32 v41, vcc_lo, s10, v2
	s_wait_alu 0xfffd
	v_add_co_ci_u32_e64 v42, null, s11, v3, vcc_lo
	;; [unrolled: 3-line block ×3, first 2 shown]
	v_add3_u32 v9, v9, v11, v12
	v_add_co_u32 v45, vcc_lo, s10, v6
	s_wait_alu 0xfffd
	v_add_co_ci_u32_e64 v46, null, s11, v7, vcc_lo
	v_add_co_u32 v4, vcc_lo, v4, s6
	s_wait_alu 0xfffd
	v_add_co_ci_u32_e64 v5, null, s7, v5, vcc_lo
	v_lshlrev_b64_e32 v[2:3], 1, v[8:9]
	s_mul_u64 s[24:25], s[6:7], s[22:23]
	s_add_nc_u64 s[20:21], s[0:1], 64
	s_delay_alu instid0(VALU_DEP_2)
	v_lshlrev_b64_e32 v[4:5], 1, v[4:5]
	s_lshl_b64 s[24:25], s[24:25], 1
	s_add_nc_u64 s[26:27], s[16:17], 63
	v_add_co_u32 v47, vcc_lo, s8, v2
	s_wait_alu 0xfffd
	v_add_co_ci_u32_e64 v48, null, s9, v3, vcc_lo
	v_add_co_u32 v49, vcc_lo, s10, v2
	s_wait_alu 0xfffd
	v_add_co_ci_u32_e64 v50, null, s11, v3, vcc_lo
	;; [unrolled: 3-line block ×4, first 2 shown]
	s_mov_b64 s[28:29], s[16:17]
.LBB101_3:                              ; =>This Inner Loop Header: Depth=1
	v_cmp_ge_i64_e64 s3, s[26:27], s[4:5]
	v_add_co_u32 v57, s18, v21, s26
	s_wait_alu 0xf1ff
	v_add_co_ci_u32_e64 v58, null, 0, s27, s18
                                        ; implicit-def: $vgpr10_vgpr11_vgpr12_vgpr13_vgpr14_vgpr15_vgpr16_vgpr17
                                        ; implicit-def: $vgpr2_vgpr3_vgpr4_vgpr5_vgpr6_vgpr7_vgpr8_vgpr9
                                        ; implicit-def: $vgpr60
                                        ; implicit-def: $vgpr2
	s_and_b32 vcc_lo, exec_lo, s3
	s_mov_b32 s3, -1
                                        ; implicit-def: $vgpr10
                                        ; implicit-def: $vgpr3
	s_wait_alu 0xfffe
	s_cbranch_vccz .LBB101_25
; %bb.4:                                ;   in Loop: Header=BB101_3 Depth=1
	s_load_b32 s3, s[20:21], 0xc
	v_dual_mov_b32 v60, 0 :: v_dual_mov_b32 v59, 0
	s_wait_kmcnt 0x0
	s_and_b32 s3, s3, 0xffff
	s_wait_alu 0xfffe
	v_mad_u32_u24 v2, v20, s3, v22
	s_mov_b32 s3, exec_lo
	s_delay_alu instid0(VALU_DEP_1) | instskip(NEXT) | instid1(VALU_DEP_1)
	v_and_b32_e32 v2, 31, v2
	v_cmpx_gt_u32_e32 8, v2
	s_cbranch_execz .LBB101_8
; %bb.5:                                ;   in Loop: Header=BB101_3 Depth=1
	v_add_co_u32 v2, vcc_lo, v57, v2
	s_wait_alu 0xfffd
	v_add_co_ci_u32_e64 v3, null, 0, v58, vcc_lo
	v_dual_mov_b32 v59, 0 :: v_dual_mov_b32 v60, 0
	s_delay_alu instid0(VALU_DEP_3) | instskip(SKIP_1) | instid1(VALU_DEP_3)
	v_add_co_u32 v2, vcc_lo, 0xffffffc1, v2
	s_wait_alu 0xfffd
	v_add_co_ci_u32_e64 v3, null, -1, v3, vcc_lo
	s_mov_b32 s18, exec_lo
	v_cmpx_gt_i64_e64 s[4:5], v[2:3]
	s_cbranch_execz .LBB101_7
; %bb.6:                                ;   in Loop: Header=BB101_3 Depth=1
	v_lshlrev_b64_e32 v[2:3], 2, v[2:3]
	s_delay_alu instid0(VALU_DEP_1) | instskip(SKIP_1) | instid1(VALU_DEP_2)
	v_add_co_u32 v4, vcc_lo, s12, v2
	s_wait_alu 0xfffd
	v_add_co_ci_u32_e64 v5, null, s13, v3, vcc_lo
	v_add_co_u32 v2, vcc_lo, s14, v2
	s_wait_alu 0xfffd
	v_add_co_ci_u32_e64 v3, null, s15, v3, vcc_lo
	global_load_b32 v59, v[4:5], off
	global_load_b32 v60, v[2:3], off
.LBB101_7:                              ;   in Loop: Header=BB101_3 Depth=1
	s_wait_alu 0xfffe
	s_or_b32 exec_lo, exec_lo, s18
.LBB101_8:                              ;   in Loop: Header=BB101_3 Depth=1
	s_wait_alu 0xfffe
	s_or_b32 exec_lo, exec_lo, s3
	v_add_co_u32 v9, vcc_lo, 0xffffffc1, v57
	s_wait_alu 0xfffd
	v_add_co_ci_u32_e64 v10, null, -1, v58, vcc_lo
	v_mov_b32_e32 v8, v1
	v_dual_mov_b32 v2, v1 :: v_dual_mov_b32 v3, v1
	v_dual_mov_b32 v4, v1 :: v_dual_mov_b32 v5, v1
	;; [unrolled: 1-line block ×3, first 2 shown]
	v_cmp_gt_i64_e32 vcc_lo, s[4:5], v[9:10]
	s_delay_alu instid0(VALU_DEP_3) | instskip(NEXT) | instid1(VALU_DEP_3)
	v_dual_mov_b32 v17, v8 :: v_dual_mov_b32 v14, v5
	v_dual_mov_b32 v15, v6 :: v_dual_mov_b32 v16, v7
	;; [unrolled: 1-line block ×4, first 2 shown]
	v_mov_b32_e32 v9, v8
	v_mov_b32_e32 v8, v7
	;; [unrolled: 1-line block ×8, first 2 shown]
	s_and_b32 s18, s2, vcc_lo
	s_wait_alu 0xfffe
	s_and_saveexec_b32 s3, s18
	s_cbranch_execz .LBB101_10
; %bb.9:                                ;   in Loop: Header=BB101_3 Depth=1
	v_add_co_u32 v2, vcc_lo, v23, v18
	s_wait_alu 0xfffd
	v_add_co_ci_u32_e64 v3, null, v24, v19, vcc_lo
	v_add_co_u32 v4, vcc_lo, v25, v18
	s_wait_alu 0xfffd
	v_add_co_ci_u32_e64 v5, null, v26, v19, vcc_lo
	global_load_u16 v2, v[2:3], off
	global_load_u16 v10, v[4:5], off
	v_dual_mov_b32 v3, v1 :: v_dual_mov_b32 v4, v1
	v_dual_mov_b32 v5, v1 :: v_dual_mov_b32 v6, v1
	;; [unrolled: 1-line block ×6, first 2 shown]
	v_mov_b32_e32 v15, v1
	s_wait_loadcnt 0x1
	v_dual_mov_b32 v17, v1 :: v_dual_lshlrev_b32 v2, 16, v2
	s_wait_loadcnt 0x0
	v_lshlrev_b32_e32 v10, 16, v10
.LBB101_10:                             ;   in Loop: Header=BB101_3 Depth=1
	s_wait_alu 0xfffe
	s_or_b32 exec_lo, exec_lo, s3
	v_add_co_u32 v61, vcc_lo, 0xffffffc2, v57
	s_wait_alu 0xfffd
	v_add_co_ci_u32_e64 v62, null, -1, v58, vcc_lo
	s_delay_alu instid0(VALU_DEP_1)
	v_cmp_gt_i64_e32 vcc_lo, s[4:5], v[61:62]
	s_and_b32 s18, s2, vcc_lo
	s_wait_alu 0xfffe
	s_and_saveexec_b32 s3, s18
	s_cbranch_execz .LBB101_12
; %bb.11:                               ;   in Loop: Header=BB101_3 Depth=1
	v_add_co_u32 v61, vcc_lo, v51, v18
	s_wait_alu 0xfffd
	v_add_co_ci_u32_e64 v62, null, v52, v19, vcc_lo
	v_add_co_u32 v63, vcc_lo, v53, v18
	s_wait_alu 0xfffd
	v_add_co_ci_u32_e64 v64, null, v54, v19, vcc_lo
	global_load_u16 v3, v[61:62], off
	global_load_u16 v11, v[63:64], off
	s_wait_loadcnt 0x1
	v_lshlrev_b32_e32 v3, 16, v3
	s_wait_loadcnt 0x0
	v_lshlrev_b32_e32 v11, 16, v11
.LBB101_12:                             ;   in Loop: Header=BB101_3 Depth=1
	s_wait_alu 0xfffe
	s_or_b32 exec_lo, exec_lo, s3
	v_add_co_u32 v61, vcc_lo, 0xffffffc3, v57
	s_wait_alu 0xfffd
	v_add_co_ci_u32_e64 v62, null, -1, v58, vcc_lo
	s_delay_alu instid0(VALU_DEP_1)
	v_cmp_gt_i64_e32 vcc_lo, s[4:5], v[61:62]
	s_and_b32 s18, s2, vcc_lo
	s_wait_alu 0xfffe
	s_and_saveexec_b32 s3, s18
	s_cbranch_execz .LBB101_14
; %bb.13:                               ;   in Loop: Header=BB101_3 Depth=1
	v_add_co_u32 v61, vcc_lo, v47, v18
	s_wait_alu 0xfffd
	v_add_co_ci_u32_e64 v62, null, v48, v19, vcc_lo
	v_add_co_u32 v63, vcc_lo, v49, v18
	s_wait_alu 0xfffd
	v_add_co_ci_u32_e64 v64, null, v50, v19, vcc_lo
	global_load_u16 v4, v[61:62], off
	global_load_u16 v12, v[63:64], off
	s_wait_loadcnt 0x1
	v_lshlrev_b32_e32 v4, 16, v4
	s_wait_loadcnt 0x0
	v_lshlrev_b32_e32 v12, 16, v12
.LBB101_14:                             ;   in Loop: Header=BB101_3 Depth=1
	;; [unrolled: 25-line block ×7, first 2 shown]
	s_wait_alu 0xfffe
	s_or_b32 exec_lo, exec_lo, s3
	s_wait_loadcnt 0x1
	ds_bpermute_b32 v61, v1, v59
	ds_bpermute_b32 v62, v1, v59 offset:4
	ds_bpermute_b32 v63, v1, v59 offset:8
	s_wait_loadcnt 0x0
	ds_bpermute_b32 v64, v1, v60
	ds_bpermute_b32 v65, v1, v59 offset:12
	ds_bpermute_b32 v66, v1, v60 offset:4
	;; [unrolled: 1-line block ×7, first 2 shown]
	s_mov_b32 s3, 0
	s_wait_dscnt 0xa
	v_dual_sub_f32 v10, v10, v61 :: v_dual_add_f32 v61, v55, v2
	s_wait_dscnt 0x8
	v_dual_sub_f32 v11, v11, v62 :: v_dual_sub_f32 v12, v12, v63
	ds_bpermute_b32 v62, v1, v60 offset:16
	v_mul_f32_e32 v2, v2, v10
	ds_bpermute_b32 v63, v1, v60 offset:20
	v_dual_mul_f32 v11, v3, v11 :: v_dual_mul_f32 v12, v4, v12
	v_add_f32_e32 v3, v3, v61
	s_wait_dscnt 0x9
	v_fma_f32 v10, v2, v64, v56
	s_wait_dscnt 0x8
	v_sub_f32_e32 v2, v13, v65
	ds_bpermute_b32 v64, v1, v60 offset:24
	ds_bpermute_b32 v60, v1, v60 offset:28
	s_wait_dscnt 0x9
	v_dual_add_f32 v3, v4, v3 :: v_dual_fmac_f32 v10, v11, v66
	s_wait_dscnt 0x8
	v_sub_f32_e32 v11, v14, v67
	v_mul_f32_e32 v13, v5, v2
	ds_bpermute_b32 v2, v1, v59 offset:28
	s_wait_dscnt 0x6
	v_sub_f32_e32 v4, v15, v70
	v_dual_fmac_f32 v10, v12, v68 :: v_dual_mul_f32 v11, v6, v11
	v_add_f32_e32 v3, v5, v3
	s_wait_dscnt 0x5
	s_delay_alu instid0(VALU_DEP_3) | instskip(NEXT) | instid1(VALU_DEP_2)
	v_dual_sub_f32 v5, v16, v71 :: v_dual_mul_f32 v4, v7, v4
	v_dual_fmac_f32 v10, v13, v69 :: v_dual_add_f32 v3, v6, v3
	s_wait_dscnt 0x4
	s_delay_alu instid0(VALU_DEP_1) | instskip(SKIP_1) | instid1(VALU_DEP_1)
	v_dual_mul_f32 v5, v8, v5 :: v_dual_fmac_f32 v10, v11, v62
	s_wait_dscnt 0x3
	v_fmac_f32_e32 v10, v4, v63
	s_wait_dscnt 0x2
	s_delay_alu instid0(VALU_DEP_1) | instskip(NEXT) | instid1(VALU_DEP_1)
	v_dual_add_f32 v3, v7, v3 :: v_dual_fmac_f32 v10, v5, v64
	v_add_f32_e32 v3, v8, v3
.LBB101_25:                             ;   in Loop: Header=BB101_3 Depth=1
	s_wait_alu 0xfffe
	s_and_b32 vcc_lo, exec_lo, s3
	s_wait_alu 0xfffe
	s_cbranch_vccz .LBB101_40
; %bb.26:                               ;   in Loop: Header=BB101_3 Depth=1
	s_load_b32 s3, s[20:21], 0x0
	s_wait_dscnt 0x1
	v_dual_mov_b32 v60, 0 :: v_dual_mov_b32 v59, 0
	s_wait_kmcnt 0x0
	s_cmp_lt_u32 ttmp9, s3
	s_cselect_b32 s18, 12, 18
	s_wait_alu 0xfffe
	s_add_nc_u64 s[34:35], s[20:21], s[18:19]
	s_load_u16 s3, s[34:35], 0x0
	s_wait_dscnt 0x0
	s_wait_kmcnt 0x0
	v_mad_u32_u24 v2, v20, s3, v22
	s_mov_b32 s3, exec_lo
	s_delay_alu instid0(VALU_DEP_1) | instskip(NEXT) | instid1(VALU_DEP_1)
	v_and_b32_e32 v2, 31, v2
	v_cmpx_gt_u32_e32 8, v2
	s_cbranch_execz .LBB101_30
; %bb.27:                               ;   in Loop: Header=BB101_3 Depth=1
	v_add_co_u32 v2, vcc_lo, v57, v2
	s_wait_alu 0xfffd
	v_add_co_ci_u32_e64 v3, null, 0, v58, vcc_lo
	v_dual_mov_b32 v59, 0 :: v_dual_mov_b32 v60, 0
	s_delay_alu instid0(VALU_DEP_3) | instskip(SKIP_1) | instid1(VALU_DEP_3)
	v_add_co_u32 v2, vcc_lo, 0xffffffc1, v2
	s_wait_alu 0xfffd
	v_add_co_ci_u32_e64 v3, null, -1, v3, vcc_lo
	s_mov_b32 s18, exec_lo
	v_cmpx_gt_i64_e64 s[4:5], v[2:3]
	s_cbranch_execz .LBB101_29
; %bb.28:                               ;   in Loop: Header=BB101_3 Depth=1
	v_lshlrev_b64_e32 v[2:3], 2, v[2:3]
	s_delay_alu instid0(VALU_DEP_1) | instskip(SKIP_1) | instid1(VALU_DEP_2)
	v_add_co_u32 v4, vcc_lo, s12, v2
	s_wait_alu 0xfffd
	v_add_co_ci_u32_e64 v5, null, s13, v3, vcc_lo
	v_add_co_u32 v2, vcc_lo, s14, v2
	s_wait_alu 0xfffd
	v_add_co_ci_u32_e64 v3, null, s15, v3, vcc_lo
	global_load_b32 v59, v[4:5], off
	global_load_b32 v60, v[2:3], off
.LBB101_29:                             ;   in Loop: Header=BB101_3 Depth=1
	s_wait_alu 0xfffe
	s_or_b32 exec_lo, exec_lo, s18
.LBB101_30:                             ;   in Loop: Header=BB101_3 Depth=1
	s_wait_alu 0xfffe
	s_or_b32 exec_lo, exec_lo, s3
	v_mov_b32_e32 v8, v1
	v_dual_mov_b32 v2, v1 :: v_dual_mov_b32 v3, v1
	v_dual_mov_b32 v4, v1 :: v_dual_mov_b32 v5, v1
	;; [unrolled: 1-line block ×3, first 2 shown]
	s_delay_alu instid0(VALU_DEP_4) | instskip(NEXT) | instid1(VALU_DEP_3)
	v_mov_b32_e32 v17, v8
	v_dual_mov_b32 v13, v4 :: v_dual_mov_b32 v12, v3
	s_delay_alu instid0(VALU_DEP_3) | instskip(NEXT) | instid1(VALU_DEP_4)
	v_dual_mov_b32 v15, v6 :: v_dual_mov_b32 v14, v5
	v_dual_mov_b32 v16, v7 :: v_dual_mov_b32 v11, v2
	v_dual_mov_b32 v10, v1 :: v_dual_mov_b32 v9, v8
	v_mov_b32_e32 v8, v7
	v_mov_b32_e32 v7, v6
	;; [unrolled: 1-line block ×7, first 2 shown]
	s_and_saveexec_b32 s3, s2
	s_cbranch_execnz .LBB101_42
; %bb.31:                               ;   in Loop: Header=BB101_3 Depth=1
	s_wait_alu 0xfffe
	s_or_b32 exec_lo, exec_lo, s3
	s_and_saveexec_b32 s3, s2
	s_cbranch_execnz .LBB101_43
.LBB101_32:                             ;   in Loop: Header=BB101_3 Depth=1
	s_wait_alu 0xfffe
	s_or_b32 exec_lo, exec_lo, s3
	s_and_saveexec_b32 s3, s2
	s_cbranch_execnz .LBB101_44
.LBB101_33:                             ;   in Loop: Header=BB101_3 Depth=1
	s_wait_alu 0xfffe
	s_or_b32 exec_lo, exec_lo, s3
	s_and_saveexec_b32 s3, s2
	s_cbranch_execnz .LBB101_45
.LBB101_34:                             ;   in Loop: Header=BB101_3 Depth=1
	s_wait_alu 0xfffe
	s_or_b32 exec_lo, exec_lo, s3
	s_and_saveexec_b32 s3, s2
	s_cbranch_execnz .LBB101_46
.LBB101_35:                             ;   in Loop: Header=BB101_3 Depth=1
	s_wait_alu 0xfffe
	s_or_b32 exec_lo, exec_lo, s3
	s_and_saveexec_b32 s3, s2
	s_cbranch_execnz .LBB101_47
.LBB101_36:                             ;   in Loop: Header=BB101_3 Depth=1
	s_wait_alu 0xfffe
	s_or_b32 exec_lo, exec_lo, s3
	s_and_saveexec_b32 s3, s2
	s_cbranch_execnz .LBB101_48
.LBB101_37:                             ;   in Loop: Header=BB101_3 Depth=1
	s_wait_alu 0xfffe
	s_or_b32 exec_lo, exec_lo, s3
	s_and_saveexec_b32 s3, s2
	s_cbranch_execz .LBB101_39
.LBB101_38:                             ;   in Loop: Header=BB101_3 Depth=1
	v_add_co_u32 v57, vcc_lo, v27, v18
	s_wait_alu 0xfffd
	v_add_co_ci_u32_e64 v58, null, v28, v19, vcc_lo
	v_add_co_u32 v61, vcc_lo, v29, v18
	s_wait_alu 0xfffd
	v_add_co_ci_u32_e64 v62, null, v30, v19, vcc_lo
	global_load_u16 v9, v[57:58], off
	global_load_u16 v17, v[61:62], off
	s_wait_loadcnt 0x1
	v_lshlrev_b32_e32 v9, 16, v9
	s_wait_loadcnt 0x0
	v_lshlrev_b32_e32 v17, 16, v17
.LBB101_39:                             ;   in Loop: Header=BB101_3 Depth=1
	s_wait_alu 0xfffe
	s_or_b32 exec_lo, exec_lo, s3
	s_wait_loadcnt 0x1
	ds_bpermute_b32 v57, v1, v59
	ds_bpermute_b32 v58, v1, v59 offset:4
	ds_bpermute_b32 v61, v1, v59 offset:8
	s_wait_loadcnt 0x0
	ds_bpermute_b32 v62, v1, v60
	ds_bpermute_b32 v63, v1, v59 offset:12
	ds_bpermute_b32 v64, v1, v60 offset:4
	;; [unrolled: 1-line block ×5, first 2 shown]
	s_wait_dscnt 0x7
	v_dual_sub_f32 v10, v10, v57 :: v_dual_sub_f32 v11, v11, v58
	ds_bpermute_b32 v57, v1, v60 offset:12
	s_wait_dscnt 0x7
	v_sub_f32_e32 v12, v12, v61
	ds_bpermute_b32 v58, v1, v60 offset:20
	v_dual_mul_f32 v10, v2, v10 :: v_dual_mul_f32 v11, v3, v11
	s_wait_dscnt 0x6
	v_dual_add_f32 v2, v55, v2 :: v_dual_sub_f32 v13, v13, v63
	ds_bpermute_b32 v55, v1, v60 offset:16
	v_fmac_f32_e32 v56, v10, v62
	ds_bpermute_b32 v10, v1, v59 offset:24
	s_wait_dscnt 0x6
	v_dual_add_f32 v2, v3, v2 :: v_dual_sub_f32 v3, v14, v65
	v_dual_fmac_f32 v56, v11, v64 :: v_dual_mul_f32 v11, v5, v13
	s_wait_dscnt 0x5
	v_dual_sub_f32 v13, v15, v67 :: v_dual_mul_f32 v12, v4, v12
	s_wait_dscnt 0x4
	s_delay_alu instid0(VALU_DEP_1)
	v_dual_mul_f32 v3, v6, v3 :: v_dual_fmac_f32 v56, v12, v66
	ds_bpermute_b32 v12, v1, v60 offset:24
	ds_bpermute_b32 v60, v1, v60 offset:28
	s_wait_dscnt 0x5
	v_fmac_f32_e32 v56, v11, v57
	s_wait_dscnt 0x2
	s_delay_alu instid0(VALU_DEP_1) | instskip(NEXT) | instid1(VALU_DEP_1)
	v_dual_fmac_f32 v56, v3, v55 :: v_dual_sub_f32 v3, v16, v10
	v_mul_f32_e32 v3, v8, v3
	v_add_f32_e32 v4, v4, v2
	ds_bpermute_b32 v2, v1, v59 offset:28
	v_dual_add_f32 v4, v5, v4 :: v_dual_mul_f32 v5, v7, v13
	s_delay_alu instid0(VALU_DEP_1) | instskip(NEXT) | instid1(VALU_DEP_2)
	v_add_f32_e32 v4, v6, v4
	v_fmac_f32_e32 v56, v5, v58
	s_delay_alu instid0(VALU_DEP_2) | instskip(SKIP_1) | instid1(VALU_DEP_2)
	v_add_f32_e32 v4, v7, v4
	s_wait_dscnt 0x2
	v_fmac_f32_e32 v56, v3, v12
	s_delay_alu instid0(VALU_DEP_2) | instskip(NEXT) | instid1(VALU_DEP_2)
	v_add_f32_e32 v3, v8, v4
	v_mov_b32_e32 v10, v56
.LBB101_40:                             ;   in Loop: Header=BB101_3 Depth=1
	v_add_co_u32 v23, vcc_lo, v23, s24
	s_wait_alu 0xfffd
	v_add_co_ci_u32_e64 v24, null, s25, v24, vcc_lo
	v_add_co_u32 v25, vcc_lo, v25, s24
	s_wait_alu 0xfffd
	v_add_co_ci_u32_e64 v26, null, s25, v26, vcc_lo
	;; [unrolled: 3-line block ×10, first 2 shown]
	v_add_co_u32 v43, vcc_lo, v43, s24
	s_wait_dscnt 0x0
	v_dual_sub_f32 v2, v17, v2 :: v_dual_add_f32 v55, v3, v9
	s_wait_alu 0xfffd
	v_add_co_ci_u32_e64 v44, null, s25, v44, vcc_lo
	v_add_co_u32 v45, vcc_lo, v45, s24
	s_wait_alu 0xfffd
	v_add_co_ci_u32_e64 v46, null, s25, v46, vcc_lo
	v_add_co_u32 v47, vcc_lo, v47, s24
	;; [unrolled: 3-line block ×3, first 2 shown]
	s_add_nc_u64 s[28:29], s[28:29], s[22:23]
	v_mul_f32_e32 v2, v9, v2
	s_wait_alu 0xfffd
	v_add_co_ci_u32_e64 v50, null, s25, v50, vcc_lo
	v_add_co_u32 v51, vcc_lo, v51, s24
	s_wait_alu 0xfffe
	v_cmp_lt_i64_e64 s3, s[28:29], s[4:5]
	s_wait_alu 0xfffd
	v_add_co_ci_u32_e64 v52, null, s25, v52, vcc_lo
	v_add_co_u32 v53, vcc_lo, v53, s24
	v_fmac_f32_e32 v10, v2, v60
	s_wait_alu 0xfffd
	v_add_co_ci_u32_e64 v54, null, s25, v54, vcc_lo
	s_and_b32 vcc_lo, exec_lo, s3
	s_add_nc_u64 s[26:27], s[26:27], s[22:23]
	s_wait_alu 0xfffe
	s_cbranch_vccz .LBB101_50
; %bb.41:                               ;   in Loop: Header=BB101_3 Depth=1
	v_mov_b32_e32 v56, v10
	s_branch .LBB101_3
.LBB101_42:                             ;   in Loop: Header=BB101_3 Depth=1
	v_add_co_u32 v2, vcc_lo, v23, v18
	s_wait_alu 0xfffd
	v_add_co_ci_u32_e64 v3, null, v24, v19, vcc_lo
	v_add_co_u32 v4, vcc_lo, v25, v18
	s_wait_alu 0xfffd
	v_add_co_ci_u32_e64 v5, null, v26, v19, vcc_lo
	global_load_u16 v2, v[2:3], off
	global_load_u16 v10, v[4:5], off
	v_dual_mov_b32 v3, v1 :: v_dual_mov_b32 v4, v1
	v_dual_mov_b32 v5, v1 :: v_dual_mov_b32 v6, v1
	;; [unrolled: 1-line block ×6, first 2 shown]
	v_mov_b32_e32 v15, v1
	s_wait_loadcnt 0x1
	v_dual_mov_b32 v17, v1 :: v_dual_lshlrev_b32 v2, 16, v2
	s_wait_loadcnt 0x0
	v_lshlrev_b32_e32 v10, 16, v10
	s_wait_alu 0xfffe
	s_or_b32 exec_lo, exec_lo, s3
	s_and_saveexec_b32 s3, s2
	s_cbranch_execz .LBB101_32
.LBB101_43:                             ;   in Loop: Header=BB101_3 Depth=1
	v_add_co_u32 v57, vcc_lo, v51, v18
	s_wait_alu 0xfffd
	v_add_co_ci_u32_e64 v58, null, v52, v19, vcc_lo
	v_add_co_u32 v61, vcc_lo, v53, v18
	s_wait_alu 0xfffd
	v_add_co_ci_u32_e64 v62, null, v54, v19, vcc_lo
	global_load_u16 v3, v[57:58], off
	global_load_u16 v11, v[61:62], off
	s_wait_loadcnt 0x1
	v_lshlrev_b32_e32 v3, 16, v3
	s_wait_loadcnt 0x0
	v_lshlrev_b32_e32 v11, 16, v11
	s_wait_alu 0xfffe
	s_or_b32 exec_lo, exec_lo, s3
	s_and_saveexec_b32 s3, s2
	s_cbranch_execz .LBB101_33
.LBB101_44:                             ;   in Loop: Header=BB101_3 Depth=1
	v_add_co_u32 v57, vcc_lo, v47, v18
	s_wait_alu 0xfffd
	v_add_co_ci_u32_e64 v58, null, v48, v19, vcc_lo
	v_add_co_u32 v61, vcc_lo, v49, v18
	s_wait_alu 0xfffd
	v_add_co_ci_u32_e64 v62, null, v50, v19, vcc_lo
	global_load_u16 v4, v[57:58], off
	global_load_u16 v12, v[61:62], off
	s_wait_loadcnt 0x1
	v_lshlrev_b32_e32 v4, 16, v4
	s_wait_loadcnt 0x0
	v_lshlrev_b32_e32 v12, 16, v12
	s_wait_alu 0xfffe
	s_or_b32 exec_lo, exec_lo, s3
	s_and_saveexec_b32 s3, s2
	s_cbranch_execz .LBB101_34
.LBB101_45:                             ;   in Loop: Header=BB101_3 Depth=1
	v_add_co_u32 v57, vcc_lo, v43, v18
	s_wait_alu 0xfffd
	v_add_co_ci_u32_e64 v58, null, v44, v19, vcc_lo
	v_add_co_u32 v61, vcc_lo, v45, v18
	s_wait_alu 0xfffd
	v_add_co_ci_u32_e64 v62, null, v46, v19, vcc_lo
	global_load_u16 v5, v[57:58], off
	global_load_u16 v13, v[61:62], off
	s_wait_loadcnt 0x1
	v_lshlrev_b32_e32 v5, 16, v5
	s_wait_loadcnt 0x0
	v_lshlrev_b32_e32 v13, 16, v13
	s_wait_alu 0xfffe
	s_or_b32 exec_lo, exec_lo, s3
	s_and_saveexec_b32 s3, s2
	s_cbranch_execz .LBB101_35
.LBB101_46:                             ;   in Loop: Header=BB101_3 Depth=1
	v_add_co_u32 v57, vcc_lo, v39, v18
	s_wait_alu 0xfffd
	v_add_co_ci_u32_e64 v58, null, v40, v19, vcc_lo
	v_add_co_u32 v61, vcc_lo, v41, v18
	s_wait_alu 0xfffd
	v_add_co_ci_u32_e64 v62, null, v42, v19, vcc_lo
	global_load_u16 v6, v[57:58], off
	global_load_u16 v14, v[61:62], off
	s_wait_loadcnt 0x1
	v_lshlrev_b32_e32 v6, 16, v6
	s_wait_loadcnt 0x0
	v_lshlrev_b32_e32 v14, 16, v14
	s_wait_alu 0xfffe
	s_or_b32 exec_lo, exec_lo, s3
	s_and_saveexec_b32 s3, s2
	s_cbranch_execz .LBB101_36
.LBB101_47:                             ;   in Loop: Header=BB101_3 Depth=1
	v_add_co_u32 v57, vcc_lo, v35, v18
	s_wait_alu 0xfffd
	v_add_co_ci_u32_e64 v58, null, v36, v19, vcc_lo
	v_add_co_u32 v61, vcc_lo, v37, v18
	s_wait_alu 0xfffd
	v_add_co_ci_u32_e64 v62, null, v38, v19, vcc_lo
	global_load_u16 v7, v[57:58], off
	global_load_u16 v15, v[61:62], off
	s_wait_loadcnt 0x1
	v_lshlrev_b32_e32 v7, 16, v7
	s_wait_loadcnt 0x0
	v_lshlrev_b32_e32 v15, 16, v15
	s_wait_alu 0xfffe
	s_or_b32 exec_lo, exec_lo, s3
	s_and_saveexec_b32 s3, s2
	s_cbranch_execz .LBB101_37
.LBB101_48:                             ;   in Loop: Header=BB101_3 Depth=1
	v_add_co_u32 v57, vcc_lo, v31, v18
	s_wait_alu 0xfffd
	v_add_co_ci_u32_e64 v58, null, v32, v19, vcc_lo
	v_add_co_u32 v61, vcc_lo, v33, v18
	s_wait_alu 0xfffd
	v_add_co_ci_u32_e64 v62, null, v34, v19, vcc_lo
	global_load_u16 v8, v[57:58], off
	global_load_u16 v16, v[61:62], off
	s_wait_loadcnt 0x1
	v_lshlrev_b32_e32 v8, 16, v8
	s_wait_loadcnt 0x0
	v_lshlrev_b32_e32 v16, 16, v16
	s_wait_alu 0xfffe
	s_or_b32 exec_lo, exec_lo, s3
	s_and_saveexec_b32 s3, s2
	s_cbranch_execnz .LBB101_38
	s_branch .LBB101_39
.LBB101_49:
                                        ; implicit-def: $vgpr10
                                        ; implicit-def: $vgpr55
	s_branch .LBB101_51
.LBB101_50:
	s_cbranch_execnz .LBB101_83
.LBB101_51:
	v_dual_mov_b32 v10, 0 :: v_dual_mov_b32 v55, 0
	s_and_not1_b32 vcc_lo, exec_lo, s31
	s_wait_alu 0xfffe
	s_cbranch_vccnz .LBB101_83
; %bb.52:
	v_bfe_u32 v48, v0, 10, 10
	v_dual_mov_b32 v1, 0 :: v_dual_and_b32 v50, 0x3ff, v0
	s_lshl_b64 s[20:21], s[16:17], 1
	s_mov_b32 s3, 0
	s_delay_alu instid0(VALU_DEP_2) | instskip(SKIP_2) | instid1(VALU_DEP_3)
	v_dual_mov_b32 v84, 0 :: v_dual_lshlrev_b32 v49, 3, v48
	v_dual_mov_b32 v85, 0 :: v_dual_lshlrev_b32 v8, 4, v48
	v_dual_mov_b32 v5, v1 :: v_dual_add_nc_u32 v4, s30, v50
	v_add_co_u32 v10, s2, v49, s16
	s_wait_alu 0xf1ff
	v_add_co_ci_u32_e64 v11, null, 0, 0, s2
	s_delay_alu instid0(VALU_DEP_3) | instskip(NEXT) | instid1(VALU_DEP_3)
	v_lshlrev_b64_e32 v[18:19], 1, v[4:5]
	v_mul_lo_u32 v6, s7, v10
	v_mad_co_u64_u32 v[2:3], null, s6, v10, 0
	s_delay_alu instid0(VALU_DEP_4) | instskip(SKIP_2) | instid1(VALU_DEP_1)
	v_mul_lo_u32 v7, s6, v11
	s_load_b32 s2, s[0:1], 0x44
	s_mov_b32 s19, s3
	v_add3_u32 v3, v3, v7, v6
	v_add_co_u32 v6, s18, v8, s20
	s_wait_alu 0xf1ff
	v_add_co_ci_u32_e64 v7, null, 0, s21, s18
	s_delay_alu instid0(VALU_DEP_3) | instskip(NEXT) | instid1(VALU_DEP_3)
	v_lshlrev_b64_e32 v[4:5], 1, v[2:3]
	v_add_co_u32 v8, vcc_lo, v6, 2
	s_wait_alu 0xfffd
	s_delay_alu instid0(VALU_DEP_3) | instskip(NEXT) | instid1(VALU_DEP_3)
	v_add_co_ci_u32_e64 v9, null, 0, v7, vcc_lo
	v_add_co_u32 v51, vcc_lo, s8, v4
	s_wait_alu 0xfffd
	v_add_co_ci_u32_e64 v52, null, s9, v5, vcc_lo
	v_add_co_u32 v53, vcc_lo, s10, v4
	s_wait_alu 0xfffd
	;; [unrolled: 3-line block ×5, first 2 shown]
	v_add_co_ci_u32_e64 v28, null, 0, v7, vcc_lo
	v_add_co_u32 v42, vcc_lo, v6, 10
	v_mad_co_u64_u32 v[22:23], null, s6, v4, s[8:9]
	v_mul_lo_u32 v5, s6, v5
	v_mul_lo_u32 v15, s7, v4
	v_mad_co_u64_u32 v[36:37], null, s6, v4, s[10:11]
	s_wait_alu 0xfffd
	v_add_co_ci_u32_e64 v30, null, 0, v7, vcc_lo
	v_add_co_u32 v44, vcc_lo, v6, 12
	s_wait_alu 0xfffd
	v_add_co_ci_u32_e64 v32, null, 0, v7, vcc_lo
	v_add_co_u32 v6, vcc_lo, v6, 14
	v_mad_co_u64_u32 v[20:21], null, s6, v8, s[8:9]
	v_mul_lo_u32 v9, s6, v9
	v_mul_lo_u32 v12, s7, v8
	v_mad_co_u64_u32 v[34:35], null, s6, v8, s[10:11]
	s_wait_alu 0xfffd
	v_add_co_ci_u32_e64 v7, null, 0, v7, vcc_lo
	v_add_co_u32 v4, vcc_lo, v10, 7
	v_add3_u32 v23, v15, v23, v5
	v_add3_u32 v37, v15, v37, v5
	s_wait_alu 0xfffd
	v_add_co_ci_u32_e64 v5, null, 0, v11, vcc_lo
	v_mul_lo_u32 v61, s6, v7
	v_add_co_u32 v7, vcc_lo, v10, 6
	v_add3_u32 v21, v12, v21, v9
	v_add3_u32 v35, v12, v35, v9
	s_wait_alu 0xfffd
	v_add_co_ci_u32_e64 v12, null, 0, v11, vcc_lo
	v_mul_lo_u32 v8, s7, v4
	v_mul_lo_u32 v9, s6, v5
	v_mad_co_u64_u32 v[4:5], null, s6, v4, 0
	v_mad_co_u64_u32 v[24:25], null, s6, v13, s[8:9]
	v_mul_lo_u32 v17, s7, v13
	v_mul_lo_u32 v59, s6, v32
	v_mad_co_u64_u32 v[32:33], null, s6, v6, s[8:9]
	v_mul_lo_u32 v62, s7, v6
	v_mad_co_u64_u32 v[38:39], null, s6, v13, s[10:11]
	v_mad_co_u64_u32 v[46:47], null, s6, v6, s[10:11]
	v_mul_lo_u32 v13, s7, v7
	v_mul_lo_u32 v12, s6, v12
	v_mad_co_u64_u32 v[6:7], null, s6, v7, 0
	v_add3_u32 v5, v5, v9, v8
	v_add_co_u32 v8, vcc_lo, v10, 5
	v_mad_co_u64_u32 v[26:27], null, s6, v16, s[8:9]
	v_mul_lo_u32 v55, s6, v28
	v_mul_lo_u32 v56, s7, v16
	v_mad_co_u64_u32 v[40:41], null, s6, v16, s[10:11]
	s_wait_alu 0xfffd
	v_add_co_ci_u32_e64 v9, null, 0, v11, vcc_lo
	v_add3_u32 v7, v7, v12, v13
	v_mad_co_u64_u32 v[28:29], null, s6, v42, s[8:9]
	v_mul_lo_u32 v57, s6, v30
	v_mul_lo_u32 v58, s7, v42
	v_mad_co_u64_u32 v[42:43], null, s6, v42, s[10:11]
	v_lshlrev_b64_e32 v[4:5], 1, v[4:5]
	v_mad_co_u64_u32 v[30:31], null, s6, v44, s[8:9]
	v_mul_lo_u32 v60, s7, v44
	v_mad_co_u64_u32 v[44:45], null, s6, v44, s[10:11]
	v_mul_lo_u32 v12, s7, v8
	v_mul_lo_u32 v13, s6, v9
	v_mad_co_u64_u32 v[8:9], null, s6, v8, 0
	v_lshlrev_b64_e32 v[6:7], 1, v[6:7]
	v_add3_u32 v27, v56, v27, v55
	v_add3_u32 v41, v56, v41, v55
	v_add_co_u32 v56, vcc_lo, s8, v4
	v_add3_u32 v29, v58, v29, v57
	v_add3_u32 v43, v58, v43, v57
	s_wait_alu 0xfffd
	v_add_co_ci_u32_e64 v57, null, s9, v5, vcc_lo
	v_add_co_u32 v58, vcc_lo, s10, v4
	v_add3_u32 v31, v60, v31, v59
	v_add3_u32 v45, v60, v45, v59
	s_wait_alu 0xfffd
	v_add_co_ci_u32_e64 v59, null, s11, v5, vcc_lo
	v_add_co_u32 v60, vcc_lo, s8, v6
	v_mul_lo_u32 v14, s6, v14
	v_add3_u32 v9, v9, v13, v12
	v_add3_u32 v33, v62, v33, v61
	;; [unrolled: 1-line block ×3, first 2 shown]
	s_wait_alu 0xfffd
	v_add_co_ci_u32_e64 v61, null, s9, v7, vcc_lo
	v_add_co_u32 v12, vcc_lo, v10, 4
	s_wait_kmcnt 0x0
	s_lshl_b32 s18, s2, 6
	v_add_co_u32 v62, s2, s10, v6
	s_wait_alu 0xfffd
	v_add_co_ci_u32_e64 v6, null, 0, v11, vcc_lo
	v_lshlrev_b64_e32 v[4:5], 1, v[8:9]
	v_add_co_u32 v8, vcc_lo, v10, 3
	s_wait_alu 0xfffd
	v_add_co_ci_u32_e64 v9, null, 0, v11, vcc_lo
	v_add3_u32 v25, v17, v25, v14
	v_add3_u32 v39, v17, v39, v14
	s_wait_alu 0xf1ff
	v_add_co_ci_u32_e64 v63, null, s11, v7, s2
	v_mul_lo_u32 v13, s7, v12
	v_mul_lo_u32 v14, s6, v6
	v_mad_co_u64_u32 v[6:7], null, s6, v12, 0
	v_mul_lo_u32 v12, s7, v8
	v_mul_lo_u32 v15, s6, v9
	v_mad_co_u64_u32 v[8:9], null, s6, v8, 0
	v_add_co_u32 v64, vcc_lo, s8, v4
	s_wait_alu 0xfffd
	v_add_co_ci_u32_e64 v65, null, s9, v5, vcc_lo
	v_add3_u32 v7, v7, v14, v13
	v_add_co_u32 v66, vcc_lo, s10, v4
	s_wait_alu 0xfffd
	v_add_co_ci_u32_e64 v67, null, s11, v5, vcc_lo
	v_add_co_u32 v10, vcc_lo, v10, 2
	v_add3_u32 v9, v9, v15, v12
	s_wait_alu 0xfffd
	v_add_co_ci_u32_e64 v11, null, 0, v11, vcc_lo
	v_lshlrev_b64_e32 v[4:5], 1, v[6:7]
	v_mul_lo_u32 v12, s7, v10
	v_lshlrev_b64_e32 v[6:7], 1, v[8:9]
	s_delay_alu instid0(VALU_DEP_4)
	v_mul_lo_u32 v11, s6, v11
	v_mad_co_u64_u32 v[8:9], null, s6, v10, 0
	v_add_co_u32 v68, vcc_lo, s8, v4
	s_wait_alu 0xfffd
	v_add_co_ci_u32_e64 v69, null, s9, v5, vcc_lo
	v_add_co_u32 v70, vcc_lo, s10, v4
	s_wait_alu 0xfffd
	v_add_co_ci_u32_e64 v71, null, s11, v5, vcc_lo
	;; [unrolled: 3-line block ×3, first 2 shown]
	v_add3_u32 v9, v9, v11, v12
	v_add_co_u32 v74, vcc_lo, s10, v6
	s_wait_alu 0xfffd
	v_add_co_ci_u32_e64 v75, null, s11, v7, vcc_lo
	v_add_co_u32 v2, vcc_lo, v2, s6
	s_wait_alu 0xfffd
	v_add_co_ci_u32_e64 v3, null, s7, v3, vcc_lo
	v_lshlrev_b64_e32 v[4:5], 1, v[8:9]
	s_wait_alu 0xfffe
	s_mul_u64 s[20:21], s[6:7], s[18:19]
	s_delay_alu instid0(VALU_DEP_2) | instskip(NEXT) | instid1(VALU_DEP_2)
	v_lshlrev_b64_e32 v[2:3], 1, v[2:3]
	v_add_co_u32 v76, vcc_lo, s8, v4
	s_wait_alu 0xfffd
	v_add_co_ci_u32_e64 v77, null, s9, v5, vcc_lo
	v_add_co_u32 v78, vcc_lo, s10, v4
	s_wait_alu 0xfffd
	v_add_co_ci_u32_e64 v79, null, s11, v5, vcc_lo
	v_add_co_u32 v80, vcc_lo, s8, v2
	s_wait_alu 0xfffd
	v_add_co_ci_u32_e64 v81, null, s9, v3, vcc_lo
	v_add_co_u32 v82, vcc_lo, s10, v2
	s_wait_alu 0xfffd
	v_add_co_ci_u32_e64 v83, null, s11, v3, vcc_lo
	s_add_nc_u64 s[8:9], s[0:1], 64
	s_wait_alu 0xfffe
	s_lshl_b64 s[10:11], s[20:21], 1
	s_add_nc_u64 s[20:21], s[16:17], 63
.LBB101_53:                             ; =>This Inner Loop Header: Depth=1
	s_wait_alu 0xfffe
	v_cmp_ge_i64_e64 s2, s[20:21], s[4:5]
	v_add_co_u32 v86, s22, v49, s20
	s_wait_alu 0xf1ff
	v_add_co_ci_u32_e64 v87, null, 0, s21, s22
                                        ; implicit-def: $vgpr55
                                        ; implicit-def: $vgpr10
	s_and_b32 vcc_lo, exec_lo, s2
	s_mov_b32 s2, -1
	s_wait_alu 0xfffe
	s_cbranch_vccz .LBB101_75
; %bb.54:                               ;   in Loop: Header=BB101_53 Depth=1
	s_load_b32 s2, s[8:9], 0xc
	v_dual_mov_b32 v88, 0 :: v_dual_mov_b32 v55, 0
	s_wait_kmcnt 0x0
	s_and_b32 s2, s2, 0xffff
	s_wait_alu 0xfffe
	v_mad_u32_u24 v2, v48, s2, v50
	s_mov_b32 s2, exec_lo
	s_delay_alu instid0(VALU_DEP_1) | instskip(NEXT) | instid1(VALU_DEP_1)
	v_and_b32_e32 v2, 31, v2
	v_cmpx_gt_u32_e32 8, v2
	s_cbranch_execz .LBB101_58
; %bb.55:                               ;   in Loop: Header=BB101_53 Depth=1
	v_add_co_u32 v2, vcc_lo, v86, v2
	s_wait_alu 0xfffd
	v_add_co_ci_u32_e64 v3, null, 0, v87, vcc_lo
	v_dual_mov_b32 v55, 0 :: v_dual_mov_b32 v88, 0
	s_delay_alu instid0(VALU_DEP_3) | instskip(SKIP_1) | instid1(VALU_DEP_3)
	v_add_co_u32 v2, vcc_lo, 0xffffffc1, v2
	s_wait_alu 0xfffd
	v_add_co_ci_u32_e64 v3, null, -1, v3, vcc_lo
	s_mov_b32 s22, exec_lo
	v_cmpx_gt_i64_e64 s[4:5], v[2:3]
	s_cbranch_execz .LBB101_57
; %bb.56:                               ;   in Loop: Header=BB101_53 Depth=1
	v_lshlrev_b64_e32 v[2:3], 2, v[2:3]
	s_delay_alu instid0(VALU_DEP_1) | instskip(SKIP_1) | instid1(VALU_DEP_2)
	v_add_co_u32 v4, vcc_lo, s12, v2
	s_wait_alu 0xfffd
	v_add_co_ci_u32_e64 v5, null, s13, v3, vcc_lo
	v_add_co_u32 v2, vcc_lo, s14, v2
	s_wait_alu 0xfffd
	v_add_co_ci_u32_e64 v3, null, s15, v3, vcc_lo
	global_load_b32 v55, v[4:5], off
	global_load_b32 v88, v[2:3], off
.LBB101_57:                             ;   in Loop: Header=BB101_53 Depth=1
	s_wait_alu 0xfffe
	s_or_b32 exec_lo, exec_lo, s22
.LBB101_58:                             ;   in Loop: Header=BB101_53 Depth=1
	s_wait_alu 0xfffe
	s_or_b32 exec_lo, exec_lo, s2
	v_add_co_u32 v9, vcc_lo, 0xffffffc1, v86
	s_wait_alu 0xfffd
	v_add_co_ci_u32_e64 v10, null, -1, v87, vcc_lo
	v_mov_b32_e32 v8, v1
	v_dual_mov_b32 v2, v1 :: v_dual_mov_b32 v3, v1
	v_dual_mov_b32 v4, v1 :: v_dual_mov_b32 v5, v1
	;; [unrolled: 1-line block ×3, first 2 shown]
	v_cmp_gt_i64_e32 vcc_lo, s[4:5], v[9:10]
	s_delay_alu instid0(VALU_DEP_3) | instskip(NEXT) | instid1(VALU_DEP_3)
	v_dual_mov_b32 v17, v8 :: v_dual_mov_b32 v14, v5
	v_dual_mov_b32 v15, v6 :: v_dual_mov_b32 v16, v7
	;; [unrolled: 1-line block ×4, first 2 shown]
	v_mov_b32_e32 v9, v8
	v_mov_b32_e32 v8, v7
	;; [unrolled: 1-line block ×8, first 2 shown]
	s_and_saveexec_b32 s2, vcc_lo
	s_cbranch_execz .LBB101_60
; %bb.59:                               ;   in Loop: Header=BB101_53 Depth=1
	v_add_co_u32 v2, vcc_lo, v51, v18
	s_wait_alu 0xfffd
	v_add_co_ci_u32_e64 v3, null, v52, v19, vcc_lo
	v_add_co_u32 v4, vcc_lo, v53, v18
	s_wait_alu 0xfffd
	v_add_co_ci_u32_e64 v5, null, v54, v19, vcc_lo
	global_load_u16 v2, v[2:3], off
	global_load_u16 v10, v[4:5], off
	v_dual_mov_b32 v3, v1 :: v_dual_mov_b32 v4, v1
	v_dual_mov_b32 v5, v1 :: v_dual_mov_b32 v6, v1
	v_dual_mov_b32 v7, v1 :: v_dual_mov_b32 v8, v1
	v_dual_mov_b32 v9, v1 :: v_dual_mov_b32 v12, v1
	v_dual_mov_b32 v11, v1 :: v_dual_mov_b32 v14, v1
	v_dual_mov_b32 v13, v1 :: v_dual_mov_b32 v16, v1
	v_mov_b32_e32 v15, v1
	s_wait_loadcnt 0x1
	v_dual_mov_b32 v17, v1 :: v_dual_lshlrev_b32 v2, 16, v2
	s_wait_loadcnt 0x0
	v_lshlrev_b32_e32 v10, 16, v10
.LBB101_60:                             ;   in Loop: Header=BB101_53 Depth=1
	s_wait_alu 0xfffe
	s_or_b32 exec_lo, exec_lo, s2
	v_add_co_u32 v89, vcc_lo, 0xffffffc2, v86
	s_wait_alu 0xfffd
	v_add_co_ci_u32_e64 v90, null, -1, v87, vcc_lo
	s_mov_b32 s2, exec_lo
	v_cmpx_gt_i64_e64 s[4:5], v[89:90]
	s_cbranch_execz .LBB101_62
; %bb.61:                               ;   in Loop: Header=BB101_53 Depth=1
	v_add_co_u32 v89, vcc_lo, v80, v18
	s_wait_alu 0xfffd
	v_add_co_ci_u32_e64 v90, null, v81, v19, vcc_lo
	v_add_co_u32 v91, vcc_lo, v82, v18
	s_wait_alu 0xfffd
	v_add_co_ci_u32_e64 v92, null, v83, v19, vcc_lo
	global_load_u16 v3, v[89:90], off
	global_load_u16 v11, v[91:92], off
	s_wait_loadcnt 0x1
	v_lshlrev_b32_e32 v3, 16, v3
	s_wait_loadcnt 0x0
	v_lshlrev_b32_e32 v11, 16, v11
.LBB101_62:                             ;   in Loop: Header=BB101_53 Depth=1
	s_wait_alu 0xfffe
	s_or_b32 exec_lo, exec_lo, s2
	v_add_co_u32 v89, vcc_lo, 0xffffffc3, v86
	s_wait_alu 0xfffd
	v_add_co_ci_u32_e64 v90, null, -1, v87, vcc_lo
	s_mov_b32 s2, exec_lo
	v_cmpx_gt_i64_e64 s[4:5], v[89:90]
	s_cbranch_execz .LBB101_64
; %bb.63:                               ;   in Loop: Header=BB101_53 Depth=1
	v_add_co_u32 v89, vcc_lo, v76, v18
	s_wait_alu 0xfffd
	v_add_co_ci_u32_e64 v90, null, v77, v19, vcc_lo
	v_add_co_u32 v91, vcc_lo, v78, v18
	s_wait_alu 0xfffd
	v_add_co_ci_u32_e64 v92, null, v79, v19, vcc_lo
	global_load_u16 v4, v[89:90], off
	global_load_u16 v12, v[91:92], off
	s_wait_loadcnt 0x1
	v_lshlrev_b32_e32 v4, 16, v4
	s_wait_loadcnt 0x0
	v_lshlrev_b32_e32 v12, 16, v12
.LBB101_64:                             ;   in Loop: Header=BB101_53 Depth=1
	;; [unrolled: 22-line block ×7, first 2 shown]
	s_wait_alu 0xfffe
	s_or_b32 exec_lo, exec_lo, s2
	s_wait_loadcnt 0x1
	ds_bpermute_b32 v90, v1, v55
	s_wait_loadcnt 0x0
	ds_bpermute_b32 v89, v1, v88
	s_mov_b32 s2, 0
	s_wait_dscnt 0x1
	v_sub_f32_e32 v10, v10, v90
	ds_bpermute_b32 v90, v1, v55 offset:4
	s_wait_dscnt 0x0
	v_sub_f32_e32 v11, v11, v90
	s_delay_alu instid0(VALU_DEP_1) | instskip(NEXT) | instid1(VALU_DEP_1)
	v_dual_mul_f32 v11, v3, v11 :: v_dual_mul_f32 v10, v2, v10
	v_fma_f32 v10, v10, v89, v84
	ds_bpermute_b32 v89, v1, v88 offset:4
	s_wait_dscnt 0x0
	v_fmac_f32_e32 v10, v11, v89
	ds_bpermute_b32 v11, v1, v55 offset:8
	s_wait_dscnt 0x0
	v_dual_sub_f32 v11, v12, v11 :: v_dual_add_f32 v2, v85, v2
	s_delay_alu instid0(VALU_DEP_1) | instskip(SKIP_4) | instid1(VALU_DEP_1)
	v_dual_mul_f32 v11, v4, v11 :: v_dual_add_f32 v2, v3, v2
	ds_bpermute_b32 v3, v1, v88 offset:8
	v_add_f32_e32 v2, v4, v2
	ds_bpermute_b32 v4, v1, v55 offset:12
	v_add_f32_e32 v2, v5, v2
	v_add_f32_e32 v2, v6, v2
	s_delay_alu instid0(VALU_DEP_1)
	v_add_f32_e32 v2, v7, v2
	s_wait_dscnt 0x1
	v_fmac_f32_e32 v10, v11, v3
	ds_bpermute_b32 v3, v1, v88 offset:12
	v_add_f32_e32 v2, v8, v2
	s_wait_dscnt 0x1
	v_sub_f32_e32 v4, v13, v4
	s_delay_alu instid0(VALU_DEP_1) | instskip(SKIP_1) | instid1(VALU_DEP_1)
	v_mul_f32_e32 v4, v5, v4
	s_wait_dscnt 0x0
	v_fmac_f32_e32 v10, v4, v3
	ds_bpermute_b32 v4, v1, v55 offset:16
	ds_bpermute_b32 v3, v1, v88 offset:16
	s_wait_dscnt 0x1
	v_sub_f32_e32 v4, v14, v4
	s_delay_alu instid0(VALU_DEP_1) | instskip(SKIP_1) | instid1(VALU_DEP_1)
	v_mul_f32_e32 v4, v6, v4
	s_wait_dscnt 0x0
	v_fmac_f32_e32 v10, v4, v3
	ds_bpermute_b32 v4, v1, v55 offset:20
	ds_bpermute_b32 v3, v1, v88 offset:20
	;; [unrolled: 8-line block ×4, first 2 shown]
	v_add_f32_e32 v55, v9, v2
	s_wait_dscnt 0x1
	v_sub_f32_e32 v4, v17, v4
	s_delay_alu instid0(VALU_DEP_1) | instskip(SKIP_1) | instid1(VALU_DEP_1)
	v_mul_f32_e32 v4, v9, v4
	s_wait_dscnt 0x0
	v_fmac_f32_e32 v10, v4, v3
.LBB101_75:                             ;   in Loop: Header=BB101_53 Depth=1
	s_wait_alu 0xfffe
	s_and_b32 vcc_lo, exec_lo, s2
	s_wait_alu 0xfffe
	s_cbranch_vccz .LBB101_81
; %bb.76:                               ;   in Loop: Header=BB101_53 Depth=1
	s_load_b32 s2, s[8:9], 0x0
	v_dual_mov_b32 v4, 0 :: v_dual_mov_b32 v5, 0
	s_wait_kmcnt 0x0
	s_cmp_lt_u32 ttmp9, s2
	s_cselect_b32 s2, 12, 18
	s_wait_alu 0xfffe
	s_add_nc_u64 s[22:23], s[8:9], s[2:3]
	s_load_u16 s2, s[22:23], 0x0
	s_wait_kmcnt 0x0
	v_mad_u32_u24 v2, v48, s2, v50
	s_mov_b32 s2, exec_lo
	s_delay_alu instid0(VALU_DEP_1) | instskip(NEXT) | instid1(VALU_DEP_1)
	v_and_b32_e32 v2, 31, v2
	v_cmpx_gt_u32_e32 8, v2
	s_cbranch_execz .LBB101_80
; %bb.77:                               ;   in Loop: Header=BB101_53 Depth=1
	v_add_co_u32 v2, vcc_lo, v86, v2
	s_wait_alu 0xfffd
	v_add_co_ci_u32_e64 v3, null, 0, v87, vcc_lo
	v_dual_mov_b32 v4, 0 :: v_dual_mov_b32 v5, 0
	s_delay_alu instid0(VALU_DEP_3) | instskip(SKIP_1) | instid1(VALU_DEP_3)
	v_add_co_u32 v2, vcc_lo, 0xffffffc1, v2
	s_wait_alu 0xfffd
	v_add_co_ci_u32_e64 v3, null, -1, v3, vcc_lo
	s_mov_b32 s22, exec_lo
	v_cmpx_gt_i64_e64 s[4:5], v[2:3]
	s_cbranch_execz .LBB101_79
; %bb.78:                               ;   in Loop: Header=BB101_53 Depth=1
	v_lshlrev_b64_e32 v[2:3], 2, v[2:3]
	s_delay_alu instid0(VALU_DEP_1) | instskip(SKIP_1) | instid1(VALU_DEP_2)
	v_add_co_u32 v4, vcc_lo, s12, v2
	s_wait_alu 0xfffd
	v_add_co_ci_u32_e64 v5, null, s13, v3, vcc_lo
	v_add_co_u32 v2, vcc_lo, s14, v2
	s_wait_alu 0xfffd
	v_add_co_ci_u32_e64 v3, null, s15, v3, vcc_lo
	global_load_b32 v4, v[4:5], off
	global_load_b32 v5, v[2:3], off
.LBB101_79:                             ;   in Loop: Header=BB101_53 Depth=1
	s_wait_alu 0xfffe
	s_or_b32 exec_lo, exec_lo, s22
.LBB101_80:                             ;   in Loop: Header=BB101_53 Depth=1
	s_wait_alu 0xfffe
	s_or_b32 exec_lo, exec_lo, s2
	v_add_co_u32 v2, vcc_lo, v51, v18
	s_wait_alu 0xfffd
	v_add_co_ci_u32_e64 v3, null, v52, v19, vcc_lo
	s_wait_loadcnt 0x1
	ds_bpermute_b32 v88, v1, v4
	global_load_u16 v2, v[2:3], off
	s_wait_loadcnt 0x0
	v_lshlrev_b32_e32 v6, 16, v2
	v_add_co_u32 v2, vcc_lo, v53, v18
	s_wait_alu 0xfffd
	v_add_co_ci_u32_e64 v3, null, v54, v19, vcc_lo
	global_load_u16 v2, v[2:3], off
	s_wait_loadcnt 0x0
	v_lshlrev_b32_e32 v7, 16, v2
	v_add_co_u32 v2, vcc_lo, v20, v18
	s_wait_alu 0xfffd
	v_add_co_ci_u32_e64 v3, null, v21, v19, vcc_lo
	s_wait_dscnt 0x0
	v_sub_f32_e32 v7, v7, v88
	global_load_u16 v2, v[2:3], off
	v_mul_f32_e32 v7, v7, v6
	s_wait_loadcnt 0x0
	v_lshlrev_b32_e32 v8, 16, v2
	v_add_co_u32 v2, vcc_lo, v34, v18
	s_wait_alu 0xfffd
	v_add_co_ci_u32_e64 v3, null, v35, v19, vcc_lo
	global_load_u16 v2, v[2:3], off
	s_wait_loadcnt 0x0
	v_lshlrev_b32_e32 v9, 16, v2
	v_add_co_u32 v2, vcc_lo, v22, v18
	s_wait_alu 0xfffd
	v_add_co_ci_u32_e64 v3, null, v23, v19, vcc_lo
	global_load_u16 v2, v[2:3], off
	;; [unrolled: 6-line block ×13, first 2 shown]
	ds_bpermute_b32 v3, v1, v5
	s_wait_dscnt 0x0
	v_fmac_f32_e32 v84, v7, v3
	ds_bpermute_b32 v7, v1, v4 offset:4
	v_add_f32_e32 v3, v85, v6
	ds_bpermute_b32 v6, v1, v5 offset:4
	s_wait_dscnt 0x1
	v_sub_f32_e32 v7, v9, v7
	v_add_f32_e32 v3, v3, v8
	s_delay_alu instid0(VALU_DEP_2) | instskip(NEXT) | instid1(VALU_DEP_2)
	v_mul_f32_e32 v7, v7, v8
	v_add_f32_e32 v3, v3, v10
	s_wait_dscnt 0x0
	s_delay_alu instid0(VALU_DEP_2)
	v_fmac_f32_e32 v84, v7, v6
	ds_bpermute_b32 v7, v1, v4 offset:8
	ds_bpermute_b32 v6, v1, v5 offset:8
	v_add_f32_e32 v3, v3, v12
	s_wait_dscnt 0x1
	v_sub_f32_e32 v7, v11, v7
	s_delay_alu instid0(VALU_DEP_2) | instskip(NEXT) | instid1(VALU_DEP_2)
	v_add_f32_e32 v3, v3, v14
	v_mul_f32_e32 v7, v7, v10
	s_wait_dscnt 0x0
	s_delay_alu instid0(VALU_DEP_1)
	v_fmac_f32_e32 v84, v7, v6
	ds_bpermute_b32 v7, v1, v4 offset:12
	ds_bpermute_b32 v6, v1, v5 offset:12
	s_wait_dscnt 0x1
	v_sub_f32_e32 v7, v13, v7
	v_add_f32_e32 v3, v3, v16
	s_delay_alu instid0(VALU_DEP_2) | instskip(NEXT) | instid1(VALU_DEP_2)
	v_mul_f32_e32 v7, v7, v12
	v_add_f32_e32 v3, v3, v55
	s_wait_dscnt 0x0
	s_delay_alu instid0(VALU_DEP_2) | instskip(SKIP_4) | instid1(VALU_DEP_1)
	v_fmac_f32_e32 v84, v7, v6
	ds_bpermute_b32 v7, v1, v4 offset:16
	ds_bpermute_b32 v6, v1, v5 offset:16
	s_wait_dscnt 0x1
	v_sub_f32_e32 v7, v15, v7
	v_mul_f32_e32 v7, v7, v14
	s_wait_dscnt 0x0
	s_delay_alu instid0(VALU_DEP_1) | instskip(SKIP_4) | instid1(VALU_DEP_1)
	v_fmac_f32_e32 v84, v7, v6
	ds_bpermute_b32 v7, v1, v4 offset:20
	ds_bpermute_b32 v6, v1, v5 offset:20
	s_wait_dscnt 0x1
	v_sub_f32_e32 v7, v17, v7
	v_mul_f32_e32 v7, v7, v16
	s_wait_dscnt 0x0
	s_delay_alu instid0(VALU_DEP_1)
	v_fmac_f32_e32 v84, v7, v6
	ds_bpermute_b32 v7, v1, v4 offset:24
	ds_bpermute_b32 v4, v1, v4 offset:28
	;; [unrolled: 1-line block ×4, first 2 shown]
	s_wait_dscnt 0x3
	v_sub_f32_e32 v7, v86, v7
	s_delay_alu instid0(VALU_DEP_1) | instskip(SKIP_2) | instid1(VALU_DEP_2)
	v_mul_f32_e32 v7, v7, v55
	v_add_f32_e32 v55, v3, v87
	s_wait_dscnt 0x1
	v_fmac_f32_e32 v84, v7, v6
	s_wait_loadcnt 0x0
	v_lshlrev_b32_e32 v2, 16, v2
	s_delay_alu instid0(VALU_DEP_1) | instskip(NEXT) | instid1(VALU_DEP_1)
	v_sub_f32_e32 v2, v2, v4
	v_mul_f32_e32 v2, v2, v87
	s_wait_dscnt 0x0
	s_delay_alu instid0(VALU_DEP_1) | instskip(NEXT) | instid1(VALU_DEP_1)
	v_fmac_f32_e32 v84, v2, v5
	v_mov_b32_e32 v10, v84
.LBB101_81:                             ;   in Loop: Header=BB101_53 Depth=1
	v_add_co_u32 v51, vcc_lo, v51, s10
	s_wait_alu 0xfffd
	v_add_co_ci_u32_e64 v52, null, s11, v52, vcc_lo
	v_add_co_u32 v53, vcc_lo, v53, s10
	s_wait_alu 0xfffd
	v_add_co_ci_u32_e64 v54, null, s11, v54, vcc_lo
	;; [unrolled: 3-line block ×27, first 2 shown]
	v_add_co_u32 v78, vcc_lo, v78, s10
	s_add_nc_u64 s[16:17], s[16:17], s[18:19]
	s_wait_alu 0xfffd
	v_add_co_ci_u32_e64 v79, null, s11, v79, vcc_lo
	v_add_co_u32 v80, vcc_lo, v80, s10
	s_wait_alu 0xfffe
	v_cmp_ge_i64_e64 s2, s[16:17], s[4:5]
	s_wait_alu 0xfffd
	v_add_co_ci_u32_e64 v81, null, s11, v81, vcc_lo
	v_add_co_u32 v82, vcc_lo, v82, s10
	s_wait_alu 0xfffd
	v_add_co_ci_u32_e64 v83, null, s11, v83, vcc_lo
	s_and_b32 vcc_lo, exec_lo, s2
	s_add_nc_u64 s[20:21], s[20:21], s[18:19]
	s_wait_alu 0xfffe
	s_cbranch_vccnz .LBB101_83
; %bb.82:                               ;   in Loop: Header=BB101_53 Depth=1
	v_dual_mov_b32 v85, v55 :: v_dual_mov_b32 v84, v10
	s_branch .LBB101_53
.LBB101_83:
	v_and_b32_e32 v8, 0x3ff, v0
	v_bfe_u32 v0, v0, 10, 10
	s_mov_b32 s2, exec_lo
	s_delay_alu instid0(VALU_DEP_1) | instskip(NEXT) | instid1(VALU_DEP_1)
	v_mad_u32_u24 v1, 0x41, v0, v8
	v_lshl_add_u32 v2, v1, 2, 0
	v_sub_nc_u32_e32 v3, v1, v0
	ds_store_b32 v2, v10
	ds_store_b32 v2, v55 offset:2080
	s_wait_dscnt 0x0
	s_barrier_signal -1
	s_barrier_wait -1
	global_inv scope:SCOPE_SE
	v_cmpx_gt_u32_e32 0x800, v3
	s_cbranch_execz .LBB101_115
; %bb.84:
	s_load_b128 s[8:11], s[0:1], 0x30
	v_and_b32_e32 v0, 31, v8
	v_lshrrev_b32_e32 v2, 5, v3
                                        ; implicit-def: $vgpr1
	s_delay_alu instid0(VALU_DEP_2)
	v_cmp_gt_u32_e64 s0, 8, v0
	v_mul_u32_u24_e32 v4, 0x41, v0
                                        ; implicit-def: $vgpr0
	s_and_saveexec_b32 s1, s0
	s_cbranch_execz .LBB101_86
; %bb.85:
	s_delay_alu instid0(VALU_DEP_1) | instskip(NEXT) | instid1(VALU_DEP_1)
	v_add_nc_u32_e32 v0, v2, v4
	v_lshl_add_u32 v0, v0, 2, 0
	ds_load_b32 v1, v0
	ds_load_b32 v0, v0 offset:2080
.LBB101_86:
	s_or_b32 exec_lo, exec_lo, s1
	v_mbcnt_lo_u32_b32 v7, -1, 0
	s_mov_b32 s2, ttmp9
	s_mov_b32 s3, 0
	v_cmp_eq_u32_e64 s1, 0, v8
	s_wait_alu 0xfffe
	s_lshl_b64 s[2:3], s[2:3], 6
	v_xor_b32_e32 v5, 4, v7
	v_xor_b32_e32 v6, 2, v7
	;; [unrolled: 1-line block ×3, first 2 shown]
	s_wait_kmcnt 0x0
	s_cmp_lg_u64 s[8:9], 0
	s_cselect_b32 s5, -1, 0
	v_cmp_gt_i32_e32 vcc_lo, 32, v5
	s_cmp_lg_u64 s[10:11], 0
	s_cselect_b32 s4, -1, 0
	s_wait_alu 0xfffd
	v_cndmask_b32_e32 v5, v7, v5, vcc_lo
	v_cmp_gt_i32_e32 vcc_lo, 32, v6
	s_wait_alu 0xfffd
	v_cndmask_b32_e32 v6, v7, v6, vcc_lo
	v_cmp_gt_i32_e32 vcc_lo, 32, v11
	s_delay_alu instid0(VALU_DEP_2)
	v_lshlrev_b32_e32 v6, 2, v6
	v_lshlrev_b32_e32 v5, 2, v5
	s_wait_dscnt 0x0
	ds_bpermute_b32 v10, v5, v0
	s_wait_dscnt 0x0
	v_add_f32_e32 v0, v0, v10
	ds_bpermute_b32 v9, v5, v1
	ds_bpermute_b32 v10, v6, v0
	s_wait_alu 0xfffd
	v_cndmask_b32_e32 v7, v7, v11, vcc_lo
	s_wait_dscnt 0x0
	v_dual_add_f32 v1, v1, v9 :: v_dual_add_f32 v10, v0, v10
	ds_bpermute_b32 v9, v6, v1
	v_lshlrev_b32_e32 v7, 2, v7
	s_wait_alu 0xfffe
	v_or_b32_e32 v0, s2, v2
	ds_bpermute_b32 v12, v7, v10
	s_wait_dscnt 0x1
	v_add_f32_e32 v9, v1, v9
	ds_bpermute_b32 v11, v7, v9
	s_wait_dscnt 0x0
	v_dual_mov_b32 v1, s3 :: v_dual_add_f32 v8, v9, v11
	s_delay_alu instid0(VALU_DEP_1)
	v_cmp_gt_i64_e32 vcc_lo, s[6:7], v[0:1]
	v_add_f32_e32 v9, v10, v12
	s_and_b32 s13, s1, vcc_lo
	s_wait_alu 0xfffe
	s_and_saveexec_b32 s12, s13
	s_cbranch_execz .LBB101_91
; %bb.87:
	v_lshlrev_b64_e32 v[0:1], 1, v[0:1]
	s_and_not1_b32 vcc_lo, exec_lo, s5
	s_wait_alu 0xfffe
	s_cbranch_vccnz .LBB101_89
; %bb.88:
	v_bfe_u32 v10, v8, 16, 1
	v_cmp_o_f32_e32 vcc_lo, v8, v8
	s_delay_alu instid0(VALU_DEP_2) | instskip(NEXT) | instid1(VALU_DEP_1)
	v_add3_u32 v10, v8, v10, 0x7fff
	v_lshrrev_b32_e32 v10, 16, v10
	s_wait_alu 0xfffd
	s_delay_alu instid0(VALU_DEP_1)
	v_cndmask_b32_e32 v12, 0x7fc0, v10, vcc_lo
	v_add_co_u32 v10, vcc_lo, s8, v0
	s_wait_alu 0xfffd
	v_add_co_ci_u32_e64 v11, null, s9, v1, vcc_lo
	global_store_b16 v[10:11], v12, off
.LBB101_89:
	s_and_not1_b32 vcc_lo, exec_lo, s4
	s_wait_alu 0xfffe
	s_cbranch_vccnz .LBB101_91
; %bb.90:
	v_bfe_u32 v10, v9, 16, 1
	v_cmp_o_f32_e32 vcc_lo, v9, v9
	s_delay_alu instid0(VALU_DEP_2) | instskip(NEXT) | instid1(VALU_DEP_1)
	v_add3_u32 v10, v9, v10, 0x7fff
	v_lshrrev_b32_e32 v10, 16, v10
	s_wait_alu 0xfffd
	s_delay_alu instid0(VALU_DEP_1)
	v_cndmask_b32_e32 v10, 0x7fc0, v10, vcc_lo
	v_add_co_u32 v0, vcc_lo, s10, v0
	s_wait_alu 0xfffd
	v_add_co_ci_u32_e64 v1, null, s11, v1, vcc_lo
	global_store_b16 v[0:1], v10, off
.LBB101_91:
	s_wait_alu 0xfffe
	s_or_b32 exec_lo, exec_lo, s12
	v_cmp_gt_u32_e32 vcc_lo, 0x600, v3
	s_and_b32 exec_lo, exec_lo, vcc_lo
	s_cbranch_execz .LBB101_115
; %bb.92:
	s_and_saveexec_b32 s12, s0
	s_cbranch_execz .LBB101_94
; %bb.93:
	v_add_nc_u32_e32 v0, v2, v4
	s_delay_alu instid0(VALU_DEP_1)
	v_lshl_add_u32 v0, v0, 2, 0
	ds_load_b32 v8, v0 offset:64
	ds_load_b32 v9, v0 offset:2144
.LBB101_94:
	s_wait_alu 0xfffe
	s_or_b32 exec_lo, exec_lo, s12
	s_wait_dscnt 0x1
	ds_bpermute_b32 v0, v5, v8
	s_wait_dscnt 0x1
	ds_bpermute_b32 v1, v5, v9
	s_wait_dscnt 0x0
	v_dual_add_f32 v0, v8, v0 :: v_dual_add_f32 v1, v9, v1
	ds_bpermute_b32 v8, v6, v0
	ds_bpermute_b32 v9, v6, v1
	s_wait_dscnt 0x0
	v_dual_add_f32 v8, v0, v8 :: v_dual_add_f32 v9, v1, v9
	ds_bpermute_b32 v10, v7, v8
	ds_bpermute_b32 v11, v7, v9
	v_add_nc_u32_e32 v0, 16, v2
	s_delay_alu instid0(VALU_DEP_1) | instskip(SKIP_2) | instid1(VALU_DEP_1)
	v_add_co_u32 v0, s12, s2, v0
	s_wait_alu 0xf1ff
	v_add_co_ci_u32_e64 v1, null, s3, 0, s12
	v_cmp_gt_i64_e32 vcc_lo, s[6:7], v[0:1]
	s_and_b32 s13, s1, vcc_lo
	s_wait_dscnt 0x0
	v_dual_add_f32 v0, v8, v10 :: v_dual_add_f32 v1, v9, v11
	s_wait_alu 0xfffe
	s_and_saveexec_b32 s12, s13
	s_cbranch_execz .LBB101_99
; %bb.95:
	s_and_not1_b32 vcc_lo, exec_lo, s5
	s_wait_alu 0xfffe
	s_cbranch_vccnz .LBB101_97
; %bb.96:
	v_bfe_u32 v8, v0, 16, 1
	v_cmp_o_f32_e32 vcc_lo, v0, v0
	s_delay_alu instid0(VALU_DEP_2) | instskip(SKIP_3) | instid1(VALU_DEP_3)
	v_add3_u32 v10, v0, v8, 0x7fff
	v_add_co_u32 v8, s13, s2, v2
	s_wait_alu 0xf1ff
	v_add_co_ci_u32_e64 v9, null, s3, 0, s13
	v_lshrrev_b32_e32 v10, 16, v10
	s_delay_alu instid0(VALU_DEP_2) | instskip(SKIP_1) | instid1(VALU_DEP_2)
	v_lshlrev_b64_e32 v[8:9], 1, v[8:9]
	s_wait_alu 0xfffd
	v_cndmask_b32_e32 v10, 0x7fc0, v10, vcc_lo
	s_delay_alu instid0(VALU_DEP_2) | instskip(SKIP_1) | instid1(VALU_DEP_3)
	v_add_co_u32 v8, vcc_lo, s8, v8
	s_wait_alu 0xfffd
	v_add_co_ci_u32_e64 v9, null, s9, v9, vcc_lo
	global_store_b16 v[8:9], v10, off offset:32
.LBB101_97:
	s_and_not1_b32 vcc_lo, exec_lo, s4
	s_wait_alu 0xfffe
	s_cbranch_vccnz .LBB101_99
; %bb.98:
	v_bfe_u32 v8, v1, 16, 1
	v_cmp_o_f32_e32 vcc_lo, v1, v1
	s_delay_alu instid0(VALU_DEP_2) | instskip(SKIP_3) | instid1(VALU_DEP_3)
	v_add3_u32 v10, v1, v8, 0x7fff
	v_add_co_u32 v8, s13, s2, v2
	s_wait_alu 0xf1ff
	v_add_co_ci_u32_e64 v9, null, s3, 0, s13
	v_lshrrev_b32_e32 v10, 16, v10
	s_delay_alu instid0(VALU_DEP_2) | instskip(SKIP_1) | instid1(VALU_DEP_2)
	v_lshlrev_b64_e32 v[8:9], 1, v[8:9]
	s_wait_alu 0xfffd
	v_cndmask_b32_e32 v10, 0x7fc0, v10, vcc_lo
	s_delay_alu instid0(VALU_DEP_2) | instskip(SKIP_1) | instid1(VALU_DEP_3)
	v_add_co_u32 v8, vcc_lo, s10, v8
	s_wait_alu 0xfffd
	v_add_co_ci_u32_e64 v9, null, s11, v9, vcc_lo
	global_store_b16 v[8:9], v10, off offset:32
.LBB101_99:
	s_wait_alu 0xfffe
	s_or_b32 exec_lo, exec_lo, s12
	v_cmp_gt_u32_e32 vcc_lo, 0x400, v3
	s_and_b32 exec_lo, exec_lo, vcc_lo
	s_cbranch_execz .LBB101_115
; %bb.100:
	s_and_saveexec_b32 s12, s0
	s_cbranch_execz .LBB101_102
; %bb.101:
	v_add_nc_u32_e32 v0, v2, v4
	s_delay_alu instid0(VALU_DEP_1)
	v_lshl_add_u32 v1, v0, 2, 0
	ds_load_b32 v0, v1 offset:128
	ds_load_b32 v1, v1 offset:2208
.LBB101_102:
	s_wait_alu 0xfffe
	s_or_b32 exec_lo, exec_lo, s12
	s_wait_dscnt 0x1
	ds_bpermute_b32 v8, v5, v0
	s_wait_dscnt 0x1
	ds_bpermute_b32 v9, v5, v1
	s_wait_dscnt 0x0
	v_dual_add_f32 v0, v0, v8 :: v_dual_add_f32 v1, v1, v9
	ds_bpermute_b32 v8, v6, v0
	ds_bpermute_b32 v9, v6, v1
	s_wait_dscnt 0x0
	v_dual_add_f32 v8, v0, v8 :: v_dual_add_f32 v9, v1, v9
	v_dual_mov_b32 v1, s3 :: v_dual_add_nc_u32 v0, 32, v2
	ds_bpermute_b32 v10, v7, v8
	ds_bpermute_b32 v11, v7, v9
	v_or_b32_e32 v0, s2, v0
	s_delay_alu instid0(VALU_DEP_1)
	v_cmp_gt_i64_e32 vcc_lo, s[6:7], v[0:1]
	s_and_b32 s13, s1, vcc_lo
	s_wait_dscnt 0x0
	v_dual_add_f32 v0, v8, v10 :: v_dual_add_f32 v1, v9, v11
	s_wait_alu 0xfffe
	s_and_saveexec_b32 s12, s13
	s_cbranch_execz .LBB101_107
; %bb.103:
	s_and_not1_b32 vcc_lo, exec_lo, s5
	s_wait_alu 0xfffe
	s_cbranch_vccnz .LBB101_105
; %bb.104:
	v_bfe_u32 v8, v0, 16, 1
	v_cmp_o_f32_e32 vcc_lo, v0, v0
	s_delay_alu instid0(VALU_DEP_2) | instskip(SKIP_3) | instid1(VALU_DEP_3)
	v_add3_u32 v10, v0, v8, 0x7fff
	v_add_co_u32 v8, s13, s2, v2
	s_wait_alu 0xf1ff
	v_add_co_ci_u32_e64 v9, null, s3, 0, s13
	v_lshrrev_b32_e32 v10, 16, v10
	s_delay_alu instid0(VALU_DEP_2) | instskip(SKIP_1) | instid1(VALU_DEP_2)
	v_lshlrev_b64_e32 v[8:9], 1, v[8:9]
	s_wait_alu 0xfffd
	v_cndmask_b32_e32 v10, 0x7fc0, v10, vcc_lo
	s_delay_alu instid0(VALU_DEP_2) | instskip(SKIP_1) | instid1(VALU_DEP_3)
	v_add_co_u32 v8, vcc_lo, s8, v8
	s_wait_alu 0xfffd
	v_add_co_ci_u32_e64 v9, null, s9, v9, vcc_lo
	global_store_b16 v[8:9], v10, off offset:64
.LBB101_105:
	s_and_not1_b32 vcc_lo, exec_lo, s4
	s_wait_alu 0xfffe
	s_cbranch_vccnz .LBB101_107
; %bb.106:
	v_bfe_u32 v8, v1, 16, 1
	v_cmp_o_f32_e32 vcc_lo, v1, v1
	s_delay_alu instid0(VALU_DEP_2) | instskip(SKIP_3) | instid1(VALU_DEP_3)
	v_add3_u32 v10, v1, v8, 0x7fff
	v_add_co_u32 v8, s13, s2, v2
	s_wait_alu 0xf1ff
	v_add_co_ci_u32_e64 v9, null, s3, 0, s13
	v_lshrrev_b32_e32 v10, 16, v10
	s_delay_alu instid0(VALU_DEP_2) | instskip(SKIP_1) | instid1(VALU_DEP_2)
	v_lshlrev_b64_e32 v[8:9], 1, v[8:9]
	s_wait_alu 0xfffd
	v_cndmask_b32_e32 v10, 0x7fc0, v10, vcc_lo
	s_delay_alu instid0(VALU_DEP_2) | instskip(SKIP_1) | instid1(VALU_DEP_3)
	v_add_co_u32 v8, vcc_lo, s10, v8
	s_wait_alu 0xfffd
	v_add_co_ci_u32_e64 v9, null, s11, v9, vcc_lo
	global_store_b16 v[8:9], v10, off offset:64
.LBB101_107:
	s_wait_alu 0xfffe
	s_or_b32 exec_lo, exec_lo, s12
	v_cmp_gt_u32_e32 vcc_lo, 0x200, v3
	s_and_b32 exec_lo, exec_lo, vcc_lo
	s_cbranch_execz .LBB101_115
; %bb.108:
	s_and_saveexec_b32 s12, s0
	s_cbranch_execz .LBB101_110
; %bb.109:
	v_add_nc_u32_e32 v0, v2, v4
	s_delay_alu instid0(VALU_DEP_1)
	v_lshl_add_u32 v1, v0, 2, 0
	ds_load_b32 v0, v1 offset:192
	ds_load_b32 v1, v1 offset:2272
.LBB101_110:
	s_wait_alu 0xfffe
	s_or_b32 exec_lo, exec_lo, s12
	s_wait_dscnt 0x1
	ds_bpermute_b32 v3, v5, v0
	s_wait_dscnt 0x1
	ds_bpermute_b32 v4, v5, v1
	s_wait_dscnt 0x1
	v_dual_add_f32 v0, v0, v3 :: v_dual_add_nc_u32 v5, 48, v2
	s_wait_dscnt 0x0
	v_add_f32_e32 v1, v1, v4
	ds_bpermute_b32 v3, v6, v0
	ds_bpermute_b32 v4, v6, v1
	v_mov_b32_e32 v6, s3
	v_or_b32_e32 v5, s2, v5
	s_delay_alu instid0(VALU_DEP_1)
	v_cmp_gt_i64_e32 vcc_lo, s[6:7], v[5:6]
	s_and_b32 s0, s1, vcc_lo
	s_wait_dscnt 0x0
	v_dual_add_f32 v3, v0, v3 :: v_dual_add_f32 v0, v1, v4
	ds_bpermute_b32 v4, v7, v3
	ds_bpermute_b32 v1, v7, v0
	s_and_b32 exec_lo, exec_lo, s0
	s_cbranch_execz .LBB101_115
; %bb.111:
	s_and_not1_b32 vcc_lo, exec_lo, s5
	s_wait_alu 0xfffe
	s_cbranch_vccnz .LBB101_113
; %bb.112:
	s_wait_dscnt 0x1
	v_add_f32_e32 v5, v3, v4
	s_delay_alu instid0(VALU_DEP_1) | instskip(SKIP_1) | instid1(VALU_DEP_2)
	v_bfe_u32 v3, v5, 16, 1
	v_cmp_o_f32_e32 vcc_lo, v5, v5
	v_add3_u32 v6, v5, v3, 0x7fff
	v_add_co_u32 v3, s0, s2, v2
	s_delay_alu instid0(VALU_DEP_1) | instskip(NEXT) | instid1(VALU_DEP_3)
	v_add_co_ci_u32_e64 v4, null, s3, 0, s0
	v_lshrrev_b32_e32 v6, 16, v6
	s_delay_alu instid0(VALU_DEP_2) | instskip(SKIP_1) | instid1(VALU_DEP_2)
	v_lshlrev_b64_e32 v[3:4], 1, v[3:4]
	s_wait_alu 0xfffd
	v_cndmask_b32_e32 v5, 0x7fc0, v6, vcc_lo
	s_delay_alu instid0(VALU_DEP_2) | instskip(SKIP_1) | instid1(VALU_DEP_3)
	v_add_co_u32 v3, vcc_lo, s8, v3
	s_wait_alu 0xfffd
	v_add_co_ci_u32_e64 v4, null, s9, v4, vcc_lo
	global_store_b16 v[3:4], v5, off offset:96
.LBB101_113:
	s_and_not1_b32 vcc_lo, exec_lo, s4
	s_wait_alu 0xfffe
	s_cbranch_vccnz .LBB101_115
; %bb.114:
	s_wait_dscnt 0x0
	v_add_f32_e32 v3, v0, v1
	s_delay_alu instid0(VALU_DEP_1) | instskip(SKIP_1) | instid1(VALU_DEP_2)
	v_bfe_u32 v0, v3, 16, 1
	v_cmp_o_f32_e32 vcc_lo, v3, v3
	v_add3_u32 v4, v3, v0, 0x7fff
	v_add_co_u32 v0, s0, s2, v2
	s_wait_alu 0xf1ff
	v_add_co_ci_u32_e64 v1, null, s3, 0, s0
	s_delay_alu instid0(VALU_DEP_3) | instskip(NEXT) | instid1(VALU_DEP_2)
	v_lshrrev_b32_e32 v2, 16, v4
	v_lshlrev_b64_e32 v[0:1], 1, v[0:1]
	s_wait_alu 0xfffd
	s_delay_alu instid0(VALU_DEP_2) | instskip(NEXT) | instid1(VALU_DEP_2)
	v_cndmask_b32_e32 v2, 0x7fc0, v2, vcc_lo
	v_add_co_u32 v0, vcc_lo, s10, v0
	s_wait_alu 0xfffd
	s_delay_alu instid0(VALU_DEP_3)
	v_add_co_ci_u32_e64 v1, null, s11, v1, vcc_lo
	global_store_b16 v[0:1], v2, off offset:96
.LBB101_115:
	s_endpgm
	.section	.rodata,"a",@progbits
	.p2align	6, 0x0
	.amdhsa_kernel _ZN2at6native12_GLOBAL__N_135GammaBetaBackwardCUDAKernelTemplateIN3c108BFloat16EfLj64ELj8ELj64ELb0ELb0ELb0EEEvllPKT_S7_PKT0_SA_PS5_SB_
		.amdhsa_group_segment_fixed_size 0
		.amdhsa_private_segment_fixed_size 0
		.amdhsa_kernarg_size 320
		.amdhsa_user_sgpr_count 2
		.amdhsa_user_sgpr_dispatch_ptr 0
		.amdhsa_user_sgpr_queue_ptr 0
		.amdhsa_user_sgpr_kernarg_segment_ptr 1
		.amdhsa_user_sgpr_dispatch_id 0
		.amdhsa_user_sgpr_private_segment_size 0
		.amdhsa_wavefront_size32 1
		.amdhsa_uses_dynamic_stack 0
		.amdhsa_enable_private_segment 0
		.amdhsa_system_sgpr_workgroup_id_x 1
		.amdhsa_system_sgpr_workgroup_id_y 1
		.amdhsa_system_sgpr_workgroup_id_z 0
		.amdhsa_system_sgpr_workgroup_info 0
		.amdhsa_system_vgpr_workitem_id 1
		.amdhsa_next_free_vgpr 93
		.amdhsa_next_free_sgpr 36
		.amdhsa_reserve_vcc 1
		.amdhsa_float_round_mode_32 0
		.amdhsa_float_round_mode_16_64 0
		.amdhsa_float_denorm_mode_32 3
		.amdhsa_float_denorm_mode_16_64 3
		.amdhsa_fp16_overflow 0
		.amdhsa_workgroup_processor_mode 1
		.amdhsa_memory_ordered 1
		.amdhsa_forward_progress 1
		.amdhsa_inst_pref_size 93
		.amdhsa_round_robin_scheduling 0
		.amdhsa_exception_fp_ieee_invalid_op 0
		.amdhsa_exception_fp_denorm_src 0
		.amdhsa_exception_fp_ieee_div_zero 0
		.amdhsa_exception_fp_ieee_overflow 0
		.amdhsa_exception_fp_ieee_underflow 0
		.amdhsa_exception_fp_ieee_inexact 0
		.amdhsa_exception_int_div_zero 0
	.end_amdhsa_kernel
	.section	.text._ZN2at6native12_GLOBAL__N_135GammaBetaBackwardCUDAKernelTemplateIN3c108BFloat16EfLj64ELj8ELj64ELb0ELb0ELb0EEEvllPKT_S7_PKT0_SA_PS5_SB_,"axG",@progbits,_ZN2at6native12_GLOBAL__N_135GammaBetaBackwardCUDAKernelTemplateIN3c108BFloat16EfLj64ELj8ELj64ELb0ELb0ELb0EEEvllPKT_S7_PKT0_SA_PS5_SB_,comdat
.Lfunc_end101:
	.size	_ZN2at6native12_GLOBAL__N_135GammaBetaBackwardCUDAKernelTemplateIN3c108BFloat16EfLj64ELj8ELj64ELb0ELb0ELb0EEEvllPKT_S7_PKT0_SA_PS5_SB_, .Lfunc_end101-_ZN2at6native12_GLOBAL__N_135GammaBetaBackwardCUDAKernelTemplateIN3c108BFloat16EfLj64ELj8ELj64ELb0ELb0ELb0EEEvllPKT_S7_PKT0_SA_PS5_SB_
                                        ; -- End function
	.set _ZN2at6native12_GLOBAL__N_135GammaBetaBackwardCUDAKernelTemplateIN3c108BFloat16EfLj64ELj8ELj64ELb0ELb0ELb0EEEvllPKT_S7_PKT0_SA_PS5_SB_.num_vgpr, 93
	.set _ZN2at6native12_GLOBAL__N_135GammaBetaBackwardCUDAKernelTemplateIN3c108BFloat16EfLj64ELj8ELj64ELb0ELb0ELb0EEEvllPKT_S7_PKT0_SA_PS5_SB_.num_agpr, 0
	.set _ZN2at6native12_GLOBAL__N_135GammaBetaBackwardCUDAKernelTemplateIN3c108BFloat16EfLj64ELj8ELj64ELb0ELb0ELb0EEEvllPKT_S7_PKT0_SA_PS5_SB_.numbered_sgpr, 36
	.set _ZN2at6native12_GLOBAL__N_135GammaBetaBackwardCUDAKernelTemplateIN3c108BFloat16EfLj64ELj8ELj64ELb0ELb0ELb0EEEvllPKT_S7_PKT0_SA_PS5_SB_.num_named_barrier, 0
	.set _ZN2at6native12_GLOBAL__N_135GammaBetaBackwardCUDAKernelTemplateIN3c108BFloat16EfLj64ELj8ELj64ELb0ELb0ELb0EEEvllPKT_S7_PKT0_SA_PS5_SB_.private_seg_size, 0
	.set _ZN2at6native12_GLOBAL__N_135GammaBetaBackwardCUDAKernelTemplateIN3c108BFloat16EfLj64ELj8ELj64ELb0ELb0ELb0EEEvllPKT_S7_PKT0_SA_PS5_SB_.uses_vcc, 1
	.set _ZN2at6native12_GLOBAL__N_135GammaBetaBackwardCUDAKernelTemplateIN3c108BFloat16EfLj64ELj8ELj64ELb0ELb0ELb0EEEvllPKT_S7_PKT0_SA_PS5_SB_.uses_flat_scratch, 0
	.set _ZN2at6native12_GLOBAL__N_135GammaBetaBackwardCUDAKernelTemplateIN3c108BFloat16EfLj64ELj8ELj64ELb0ELb0ELb0EEEvllPKT_S7_PKT0_SA_PS5_SB_.has_dyn_sized_stack, 0
	.set _ZN2at6native12_GLOBAL__N_135GammaBetaBackwardCUDAKernelTemplateIN3c108BFloat16EfLj64ELj8ELj64ELb0ELb0ELb0EEEvllPKT_S7_PKT0_SA_PS5_SB_.has_recursion, 0
	.set _ZN2at6native12_GLOBAL__N_135GammaBetaBackwardCUDAKernelTemplateIN3c108BFloat16EfLj64ELj8ELj64ELb0ELb0ELb0EEEvllPKT_S7_PKT0_SA_PS5_SB_.has_indirect_call, 0
	.section	.AMDGPU.csdata,"",@progbits
; Kernel info:
; codeLenInByte = 11816
; TotalNumSgprs: 38
; NumVgprs: 93
; ScratchSize: 0
; MemoryBound: 0
; FloatMode: 240
; IeeeMode: 1
; LDSByteSize: 0 bytes/workgroup (compile time only)
; SGPRBlocks: 0
; VGPRBlocks: 11
; NumSGPRsForWavesPerEU: 38
; NumVGPRsForWavesPerEU: 93
; Occupancy: 16
; WaveLimiterHint : 0
; COMPUTE_PGM_RSRC2:SCRATCH_EN: 0
; COMPUTE_PGM_RSRC2:USER_SGPR: 2
; COMPUTE_PGM_RSRC2:TRAP_HANDLER: 0
; COMPUTE_PGM_RSRC2:TGID_X_EN: 1
; COMPUTE_PGM_RSRC2:TGID_Y_EN: 1
; COMPUTE_PGM_RSRC2:TGID_Z_EN: 0
; COMPUTE_PGM_RSRC2:TIDIG_COMP_CNT: 1
	.section	.text._ZN2at6native12_GLOBAL__N_135GammaBetaBackwardCUDAKernelTemplateIN3c108BFloat16EfLj64ELj16ELj128ELb0ELb1ELb0EEEvllPKT_S7_PKT0_SA_PS5_SB_,"axG",@progbits,_ZN2at6native12_GLOBAL__N_135GammaBetaBackwardCUDAKernelTemplateIN3c108BFloat16EfLj64ELj16ELj128ELb0ELb1ELb0EEEvllPKT_S7_PKT0_SA_PS5_SB_,comdat
	.globl	_ZN2at6native12_GLOBAL__N_135GammaBetaBackwardCUDAKernelTemplateIN3c108BFloat16EfLj64ELj16ELj128ELb0ELb1ELb0EEEvllPKT_S7_PKT0_SA_PS5_SB_ ; -- Begin function _ZN2at6native12_GLOBAL__N_135GammaBetaBackwardCUDAKernelTemplateIN3c108BFloat16EfLj64ELj16ELj128ELb0ELb1ELb0EEEvllPKT_S7_PKT0_SA_PS5_SB_
	.p2align	8
	.type	_ZN2at6native12_GLOBAL__N_135GammaBetaBackwardCUDAKernelTemplateIN3c108BFloat16EfLj64ELj16ELj128ELb0ELb1ELb0EEEvllPKT_S7_PKT0_SA_PS5_SB_,@function
_ZN2at6native12_GLOBAL__N_135GammaBetaBackwardCUDAKernelTemplateIN3c108BFloat16EfLj64ELj16ELj128ELb0ELb1ELb0EEEvllPKT_S7_PKT0_SA_PS5_SB_: ; @_ZN2at6native12_GLOBAL__N_135GammaBetaBackwardCUDAKernelTemplateIN3c108BFloat16EfLj64ELj16ELj128ELb0ELb1ELb0EEEvllPKT_S7_PKT0_SA_PS5_SB_
; %bb.0:
	s_load_b128 s[16:19], s[0:1], 0x0
	s_lshl_b32 s2, ttmp7, 7
	s_mov_b32 s3, 0
	v_bfe_u32 v7, v0, 10, 10
	s_wait_kmcnt 0x0
	v_cmp_gt_i64_e64 s4, s[16:17], s[2:3]
	s_and_b32 vcc_lo, exec_lo, s4
	s_cbranch_vccnz .LBB102_2
; %bb.1:
	v_bfe_u32 v1, v0, 10, 10
	s_mov_b32 s4, s3
	s_branch .LBB102_3
.LBB102_2:
	s_mov_b32 s4, -1
                                        ; implicit-def: $vgpr1
.LBB102_3:
	s_load_b128 s[12:15], s[0:1], 0x30
	v_dual_mov_b32 v17, 0 :: v_dual_and_b32 v6, 0x3ff, v0
	v_mov_b32_e32 v0, 0
	s_and_not1_b32 vcc_lo, exec_lo, s4
	s_cbranch_vccnz .LBB102_11
; %bb.4:
	s_load_b32 s20, s[0:1], 0x4c
	v_dual_mov_b32 v1, 0 :: v_dual_lshlrev_b32 v0, 3, v7
	s_clause 0x1
	s_load_b32 s22, s[0:1], 0x44
	s_load_b256 s[4:11], s[0:1], 0x10
	s_mov_b32 s21, 0
	v_dual_mov_b32 v8, 8 :: v_dual_mov_b32 v9, 4
	v_add_co_u32 v2, s0, v0, s2
	s_delay_alu instid0(VALU_DEP_1) | instskip(SKIP_1) | instid1(VALU_DEP_3)
	v_add_co_ci_u32_e64 v3, null, 0, 0, s0
	v_lshl_add_u32 v0, ttmp9, 6, v6
	v_mul_lo_u32 v14, s19, v2
	v_mad_co_u64_u32 v[4:5], null, s18, v2, 0
	s_delay_alu instid0(VALU_DEP_4) | instskip(NEXT) | instid1(VALU_DEP_4)
	v_mul_lo_u32 v17, s18, v3
	v_lshlrev_b64_e32 v[15:16], 1, v[0:1]
	v_dual_mov_b32 v10, 12 :: v_dual_mov_b32 v11, 16
	v_mov_b32_e32 v0, 0
	s_wait_kmcnt 0x0
	s_and_b32 s0, s20, 0xffff
	s_wait_alu 0xfffe
	v_mad_u32_u24 v13, v7, s0, v6
	v_mov_b32_e32 v12, 20
	v_add3_u32 v5, v5, v17, v14
	s_lshl_b32 s20, s22, 7
	s_delay_alu instid0(VALU_DEP_3) | instskip(SKIP_1) | instid1(VALU_DEP_3)
	v_dual_mov_b32 v14, 28 :: v_dual_and_b32 v19, 31, v13
	v_mov_b32_e32 v13, 24
	v_lshlrev_b64_e32 v[17:18], 1, v[4:5]
	s_mul_u64 s[24:25], s[18:19], s[20:21]
	s_lshl_b64 s[22:23], s[20:21], 2
	v_add_co_u32 v2, vcc_lo, v2, v19
	s_delay_alu instid0(VALU_DEP_1) | instskip(NEXT) | instid1(VALU_DEP_3)
	v_add_co_ci_u32_e64 v3, null, 0, v3, vcc_lo
	v_add_co_u32 v15, vcc_lo, v17, v15
	v_cmp_gt_u32_e64 s0, 8, v19
	s_delay_alu instid0(VALU_DEP_3)
	v_lshlrev_b64_e32 v[4:5], 2, v[2:3]
	s_wait_alu 0xfffd
	v_add_co_ci_u32_e64 v16, null, v18, v16, vcc_lo
	v_mov_b32_e32 v17, 0
	s_lshl_b64 s[24:25], s[24:25], 1
	s_lshl_b64 s[18:19], s[18:19], 1
	s_branch .LBB102_7
.LBB102_5:                              ;   in Loop: Header=BB102_7 Depth=1
	s_or_b32 exec_lo, exec_lo, s26
.LBB102_6:                              ;   in Loop: Header=BB102_7 Depth=1
	s_wait_alu 0xfffe
	s_or_b32 exec_lo, exec_lo, s1
	v_add_co_u32 v20, vcc_lo, s4, v15
	s_wait_alu 0xfffd
	v_add_co_ci_u32_e64 v21, null, s5, v16, vcc_lo
	v_add_co_u32 v22, vcc_lo, s6, v15
	s_wait_alu 0xfffd
	v_add_co_ci_u32_e64 v23, null, s7, v16, vcc_lo
	;; [unrolled: 3-line block ×5, first 2 shown]
	global_load_u16 v30, v[20:21], off
	global_load_u16 v31, v[22:23], off
	;; [unrolled: 1-line block ×5, first 2 shown]
	v_add_co_u32 v20, vcc_lo, v26, s18
	s_wait_alu 0xfffd
	v_add_co_ci_u32_e64 v21, null, s19, v27, vcc_lo
	v_add_co_u32 v22, vcc_lo, v28, s18
	s_wait_alu 0xfffd
	v_add_co_ci_u32_e64 v23, null, s19, v29, vcc_lo
	;; [unrolled: 3-line block ×5, first 2 shown]
	global_load_u16 v35, v[20:21], off
	global_load_u16 v36, v[22:23], off
	;; [unrolled: 1-line block ×5, first 2 shown]
	v_add_co_u32 v20, vcc_lo, v26, s18
	s_wait_alu 0xfffd
	v_add_co_ci_u32_e64 v21, null, s19, v27, vcc_lo
	v_add_co_u32 v22, vcc_lo, v28, s18
	s_wait_alu 0xfffd
	v_add_co_ci_u32_e64 v23, null, s19, v29, vcc_lo
	;; [unrolled: 3-line block ×4, first 2 shown]
	global_load_u16 v28, v[20:21], off
	global_load_u16 v29, v[22:23], off
	;; [unrolled: 1-line block ×4, first 2 shown]
	v_add_co_u32 v20, vcc_lo, v26, s18
	s_wait_alu 0xfffd
	v_add_co_ci_u32_e64 v21, null, s19, v27, vcc_lo
	v_add_co_u32 v22, vcc_lo, v24, s18
	s_wait_alu 0xfffd
	v_add_co_ci_u32_e64 v23, null, s19, v25, vcc_lo
	global_load_u16 v20, v[20:21], off
	global_load_u16 v21, v[22:23], off
	s_wait_loadcnt 0x11
	ds_bpermute_b32 v25, v9, v18
	ds_bpermute_b32 v22, v1, v18
	s_wait_loadcnt 0x10
	ds_bpermute_b32 v23, v1, v19
	ds_bpermute_b32 v27, v8, v18
	;; [unrolled: 1-line block ×14, first 2 shown]
	v_add_co_u32 v4, vcc_lo, v4, s22
	s_add_nc_u64 s[2:3], s[2:3], s[20:21]
	s_wait_alu 0xfffd
	v_add_co_ci_u32_e64 v5, null, s23, v5, vcc_lo
	v_add_co_u32 v2, vcc_lo, v2, s20
	s_wait_alu 0xfffe
	v_cmp_lt_i64_e64 s1, s[2:3], s[16:17]
	s_wait_alu 0xfffd
	v_add_co_ci_u32_e64 v3, null, 0, v3, vcc_lo
	v_add_co_u32 v15, vcc_lo, v15, s24
	s_wait_alu 0xfffd
	v_add_co_ci_u32_e64 v16, null, s25, v16, vcc_lo
	s_and_b32 vcc_lo, exec_lo, s1
	s_wait_loadcnt 0xc
	v_lshlrev_b32_e32 v33, 16, v33
	s_wait_dscnt 0xf
	s_delay_alu instid0(VALU_DEP_1) | instskip(SKIP_1) | instid1(VALU_DEP_2)
	v_dual_sub_f32 v25, v33, v25 :: v_dual_lshlrev_b32 v30, 16, v30
	v_lshlrev_b32_e32 v31, 16, v31
	v_add_f32_e32 v17, v17, v30
	s_wait_dscnt 0xe
	s_delay_alu instid0(VALU_DEP_2) | instskip(NEXT) | instid1(VALU_DEP_1)
	v_sub_f32_e32 v22, v31, v22
	v_dual_mul_f32 v22, v22, v30 :: v_dual_lshlrev_b32 v31, 16, v32
	s_wait_loadcnt 0xa
	v_lshlrev_b32_e32 v32, 16, v35
	v_lshlrev_b32_e32 v30, 16, v34
	s_wait_dscnt 0xd
	v_fmac_f32_e32 v0, v22, v23
	s_wait_loadcnt 0x8
	v_dual_mul_f32 v22, v25, v31 :: v_dual_lshlrev_b32 v25, 16, v37
	s_wait_dscnt 0xc
	v_sub_f32_e32 v23, v32, v27
	v_add_f32_e32 v17, v17, v31
	v_lshlrev_b32_e32 v27, 16, v36
	s_wait_dscnt 0xb
	v_fmac_f32_e32 v0, v22, v24
	s_wait_loadcnt 0x6
	v_lshlrev_b32_e32 v24, 16, v39
	s_wait_dscnt 0xa
	v_dual_mul_f32 v22, v23, v30 :: v_dual_sub_f32 v23, v25, v43
	v_add_f32_e32 v17, v17, v30
	v_lshlrev_b32_e32 v25, 16, v38
	s_wait_dscnt 0x9
	s_delay_alu instid0(VALU_DEP_3)
	v_fmac_f32_e32 v0, v22, v26
	s_wait_dscnt 0x8
	v_dual_mul_f32 v22, v23, v27 :: v_dual_sub_f32 v23, v24, v45
	s_wait_loadcnt 0x5
	v_lshlrev_b32_e32 v26, 16, v28
	s_wait_loadcnt 0x4
	v_dual_add_f32 v17, v17, v27 :: v_dual_lshlrev_b32 v24, 16, v29
	s_wait_dscnt 0x7
	v_fmac_f32_e32 v0, v22, v42
	s_wait_dscnt 0x5
	s_delay_alu instid0(VALU_DEP_2) | instskip(SKIP_3) | instid1(VALU_DEP_3)
	v_dual_mul_f32 v22, v23, v25 :: v_dual_sub_f32 v23, v24, v47
	v_add_f32_e32 v17, v17, v25
	s_wait_loadcnt 0x3
	v_lshlrev_b32_e32 v25, 16, v40
	v_fmac_f32_e32 v0, v22, v44
	s_wait_loadcnt 0x2
	v_dual_add_f32 v17, v17, v26 :: v_dual_lshlrev_b32 v24, 16, v41
	v_mul_f32_e32 v22, v23, v26
	s_wait_loadcnt_dscnt 0x104
	s_delay_alu instid0(VALU_DEP_2)
	v_dual_sub_f32 v23, v24, v49 :: v_dual_lshlrev_b32 v20, 16, v20
	s_wait_loadcnt 0x0
	v_lshlrev_b32_e32 v21, 16, v21
	s_wait_dscnt 0x3
	v_dual_add_f32 v17, v17, v25 :: v_dual_fmac_f32 v0, v22, v46
	s_wait_dscnt 0x2
	v_sub_f32_e32 v18, v20, v18
	v_mul_f32_e32 v22, v23, v25
	s_delay_alu instid0(VALU_DEP_3) | instskip(NEXT) | instid1(VALU_DEP_3)
	v_add_f32_e32 v17, v17, v21
	v_mul_f32_e32 v18, v18, v21
	s_wait_dscnt 0x1
	s_delay_alu instid0(VALU_DEP_3) | instskip(SKIP_1) | instid1(VALU_DEP_1)
	v_fmac_f32_e32 v0, v22, v48
	s_wait_dscnt 0x0
	v_fmac_f32_e32 v0, v18, v19
	s_wait_alu 0xfffe
	s_cbranch_vccz .LBB102_10
.LBB102_7:                              ; =>This Inner Loop Header: Depth=1
	v_dual_mov_b32 v19, 0 :: v_dual_mov_b32 v18, 0
	s_and_saveexec_b32 s1, s0
	s_cbranch_execz .LBB102_6
; %bb.8:                                ;   in Loop: Header=BB102_7 Depth=1
	v_dual_mov_b32 v18, 0 :: v_dual_mov_b32 v19, 0
	s_mov_b32 s26, exec_lo
	v_cmpx_gt_i64_e64 s[16:17], v[2:3]
	s_cbranch_execz .LBB102_5
; %bb.9:                                ;   in Loop: Header=BB102_7 Depth=1
	v_add_co_u32 v18, vcc_lo, s8, v4
	s_wait_alu 0xfffd
	v_add_co_ci_u32_e64 v19, null, s9, v5, vcc_lo
	v_add_co_u32 v20, vcc_lo, s10, v4
	s_wait_alu 0xfffd
	v_add_co_ci_u32_e64 v21, null, s11, v5, vcc_lo
	global_load_b32 v18, v[18:19], off
	global_load_b32 v19, v[20:21], off
	s_branch .LBB102_5
.LBB102_10:
	v_mov_b32_e32 v1, v7
.LBB102_11:
	s_delay_alu instid0(VALU_DEP_1) | instskip(SKIP_1) | instid1(VALU_DEP_1)
	v_mad_u32_u24 v2, 0x41, v1, v6
	s_mov_b32 s0, exec_lo
	v_lshl_add_u32 v4, v2, 2, 0
	v_sub_nc_u32_e32 v3, v2, v1
	ds_store_b32 v4, v0
	ds_store_b32 v4, v17 offset:4160
	s_wait_dscnt 0x0
	s_barrier_signal -1
	s_barrier_wait -1
	global_inv scope:SCOPE_SE
	v_cmpx_gt_u32_e32 0x800, v3
	s_cbranch_execz .LBB102_27
; %bb.12:
	v_and_b32_e32 v0, 31, v6
	v_lshrrev_b32_e32 v2, 5, v3
                                        ; implicit-def: $vgpr1
	s_delay_alu instid0(VALU_DEP_2)
	v_cmp_gt_u32_e64 s0, 16, v0
	v_mul_u32_u24_e32 v4, 0x41, v0
                                        ; implicit-def: $vgpr0
	s_wait_alu 0xfffe
	s_and_saveexec_b32 s1, s0
	s_cbranch_execz .LBB102_14
; %bb.13:
	s_delay_alu instid0(VALU_DEP_1) | instskip(NEXT) | instid1(VALU_DEP_1)
	v_add_nc_u32_e32 v0, v2, v4
	v_lshl_add_u32 v0, v0, 2, 0
	ds_load_b32 v1, v0
	ds_load_b32 v0, v0 offset:4160
.LBB102_14:
	s_wait_alu 0xfffe
	s_or_b32 exec_lo, exec_lo, s1
	v_mbcnt_lo_u32_b32 v9, -1, 0
	v_cmp_eq_u32_e64 s1, 0, v6
	s_mov_b32 s2, ttmp9
	s_mov_b32 s3, 0
	s_wait_alu 0xfffe
	s_lshl_b64 s[2:3], s[2:3], 6
	v_xor_b32_e32 v5, 8, v9
	v_xor_b32_e32 v7, 4, v9
	;; [unrolled: 1-line block ×3, first 2 shown]
	s_wait_kmcnt 0x0
	s_cmp_lg_u64 s[12:13], 0
	v_cmp_gt_i32_e32 vcc_lo, 32, v5
	s_cselect_b32 s5, -1, 0
	s_cmp_lg_u64 s[14:15], 0
	s_cselect_b32 s4, -1, 0
	s_wait_alu 0xfffd
	v_cndmask_b32_e32 v5, v9, v5, vcc_lo
	v_cmp_gt_i32_e32 vcc_lo, 32, v7
	s_delay_alu instid0(VALU_DEP_2)
	v_lshlrev_b32_e32 v5, 2, v5
	s_wait_alu 0xfffd
	v_cndmask_b32_e32 v7, v9, v7, vcc_lo
	s_wait_dscnt 0x1
	ds_bpermute_b32 v8, v5, v1
	s_wait_dscnt 0x0
	v_add_f32_e32 v1, v1, v8
	v_xor_b32_e32 v8, 2, v9
	s_delay_alu instid0(VALU_DEP_1)
	v_cmp_gt_i32_e32 vcc_lo, 32, v8
	s_wait_alu 0xfffd
	v_cndmask_b32_e32 v8, v9, v8, vcc_lo
	ds_bpermute_b32 v10, v5, v0
	v_cmp_gt_i32_e32 vcc_lo, 32, v12
	v_lshlrev_b32_e32 v8, 2, v8
	v_lshlrev_b32_e32 v7, 2, v7
	s_wait_alu 0xfffd
	v_cndmask_b32_e32 v9, v9, v12, vcc_lo
	s_wait_dscnt 0x0
	s_delay_alu instid0(VALU_DEP_1)
	v_dual_add_f32 v0, v0, v10 :: v_dual_lshlrev_b32 v9, 2, v9
	ds_bpermute_b32 v10, v7, v1
	s_wait_dscnt 0x0
	v_add_f32_e32 v1, v1, v10
	ds_bpermute_b32 v10, v8, v1
	s_wait_dscnt 0x0
	v_add_f32_e32 v1, v1, v10
	;; [unrolled: 3-line block ×6, first 2 shown]
	s_and_saveexec_b32 s6, s1
	s_cbranch_execz .LBB102_19
; %bb.15:
	s_wait_alu 0xfffe
	v_mov_b32_e32 v1, s3
	v_or_b32_e32 v0, s2, v2
	s_and_not1_b32 vcc_lo, exec_lo, s5
	s_delay_alu instid0(VALU_DEP_1)
	v_lshlrev_b64_e32 v[0:1], 1, v[0:1]
	s_wait_alu 0xfffe
	s_cbranch_vccnz .LBB102_17
; %bb.16:
	v_bfe_u32 v11, v6, 16, 1
	v_cmp_o_f32_e32 vcc_lo, v6, v6
	s_delay_alu instid0(VALU_DEP_2) | instskip(NEXT) | instid1(VALU_DEP_1)
	v_add3_u32 v11, v6, v11, 0x7fff
	v_lshrrev_b32_e32 v11, 16, v11
	s_wait_alu 0xfffd
	s_delay_alu instid0(VALU_DEP_1)
	v_cndmask_b32_e32 v13, 0x7fc0, v11, vcc_lo
	v_add_co_u32 v11, vcc_lo, s12, v0
	s_wait_alu 0xfffd
	v_add_co_ci_u32_e64 v12, null, s13, v1, vcc_lo
	global_store_b16 v[11:12], v13, off
.LBB102_17:
	s_and_not1_b32 vcc_lo, exec_lo, s4
	s_wait_alu 0xfffe
	s_cbranch_vccnz .LBB102_19
; %bb.18:
	v_bfe_u32 v11, v10, 16, 1
	v_cmp_o_f32_e32 vcc_lo, v10, v10
	s_delay_alu instid0(VALU_DEP_2) | instskip(NEXT) | instid1(VALU_DEP_1)
	v_add3_u32 v11, v10, v11, 0x7fff
	v_lshrrev_b32_e32 v11, 16, v11
	s_wait_alu 0xfffd
	s_delay_alu instid0(VALU_DEP_1)
	v_cndmask_b32_e32 v11, 0x7fc0, v11, vcc_lo
	v_add_co_u32 v0, vcc_lo, s14, v0
	s_wait_alu 0xfffd
	v_add_co_ci_u32_e64 v1, null, s15, v1, vcc_lo
	global_store_b16 v[0:1], v11, off
.LBB102_19:
	s_wait_alu 0xfffe
	s_or_b32 exec_lo, exec_lo, s6
	v_cmp_gt_u32_e32 vcc_lo, 0x400, v3
	s_and_b32 exec_lo, exec_lo, vcc_lo
	s_cbranch_execz .LBB102_27
; %bb.20:
	s_and_saveexec_b32 s6, s0
	s_cbranch_execz .LBB102_22
; %bb.21:
	v_add_nc_u32_e32 v0, v2, v4
	s_delay_alu instid0(VALU_DEP_1)
	v_lshl_add_u32 v0, v0, 2, 0
	ds_load_b32 v6, v0 offset:128
	ds_load_b32 v10, v0 offset:4288
.LBB102_22:
	s_wait_alu 0xfffe
	s_or_b32 exec_lo, exec_lo, s6
	s_wait_dscnt 0x1
	ds_bpermute_b32 v0, v5, v6
	s_wait_dscnt 0x1
	ds_bpermute_b32 v1, v5, v10
	s_wait_dscnt 0x1
	v_add_f32_e32 v0, v6, v0
	ds_bpermute_b32 v3, v7, v0
	s_wait_dscnt 0x0
	v_dual_add_f32 v1, v10, v1 :: v_dual_add_f32 v0, v0, v3
	ds_bpermute_b32 v4, v7, v1
	ds_bpermute_b32 v3, v8, v0
	s_wait_dscnt 0x1
	v_add_f32_e32 v1, v1, v4
	ds_bpermute_b32 v4, v8, v1
	s_wait_dscnt 0x0
	v_dual_add_f32 v3, v0, v3 :: v_dual_add_f32 v0, v1, v4
	ds_bpermute_b32 v4, v9, v3
	ds_bpermute_b32 v1, v9, v0
	s_and_b32 exec_lo, exec_lo, s1
	s_cbranch_execz .LBB102_27
; %bb.23:
	s_and_not1_b32 vcc_lo, exec_lo, s5
	s_wait_alu 0xfffe
	s_cbranch_vccnz .LBB102_25
; %bb.24:
	s_wait_dscnt 0x1
	v_add_f32_e32 v5, v3, v4
	s_delay_alu instid0(VALU_DEP_1) | instskip(SKIP_1) | instid1(VALU_DEP_2)
	v_bfe_u32 v3, v5, 16, 1
	v_cmp_o_f32_e32 vcc_lo, v5, v5
	v_add3_u32 v6, v5, v3, 0x7fff
	v_add_co_u32 v3, s0, s2, v2
	s_wait_alu 0xf1ff
	v_add_co_ci_u32_e64 v4, null, s3, 0, s0
	s_delay_alu instid0(VALU_DEP_3) | instskip(NEXT) | instid1(VALU_DEP_2)
	v_lshrrev_b32_e32 v6, 16, v6
	v_lshlrev_b64_e32 v[3:4], 1, v[3:4]
	s_wait_alu 0xfffd
	s_delay_alu instid0(VALU_DEP_2) | instskip(NEXT) | instid1(VALU_DEP_2)
	v_cndmask_b32_e32 v5, 0x7fc0, v6, vcc_lo
	v_add_co_u32 v3, vcc_lo, s12, v3
	s_wait_alu 0xfffd
	s_delay_alu instid0(VALU_DEP_3)
	v_add_co_ci_u32_e64 v4, null, s13, v4, vcc_lo
	global_store_b16 v[3:4], v5, off offset:64
.LBB102_25:
	s_and_not1_b32 vcc_lo, exec_lo, s4
	s_wait_alu 0xfffe
	s_cbranch_vccnz .LBB102_27
; %bb.26:
	s_wait_dscnt 0x0
	v_add_f32_e32 v3, v0, v1
	s_delay_alu instid0(VALU_DEP_1) | instskip(SKIP_1) | instid1(VALU_DEP_2)
	v_bfe_u32 v0, v3, 16, 1
	v_cmp_o_f32_e32 vcc_lo, v3, v3
	v_add3_u32 v4, v3, v0, 0x7fff
	v_add_co_u32 v0, s0, s2, v2
	s_wait_alu 0xf1ff
	v_add_co_ci_u32_e64 v1, null, s3, 0, s0
	s_delay_alu instid0(VALU_DEP_3) | instskip(NEXT) | instid1(VALU_DEP_2)
	v_lshrrev_b32_e32 v2, 16, v4
	v_lshlrev_b64_e32 v[0:1], 1, v[0:1]
	s_wait_alu 0xfffd
	s_delay_alu instid0(VALU_DEP_2) | instskip(NEXT) | instid1(VALU_DEP_2)
	v_cndmask_b32_e32 v2, 0x7fc0, v2, vcc_lo
	v_add_co_u32 v0, vcc_lo, s14, v0
	s_wait_alu 0xfffd
	s_delay_alu instid0(VALU_DEP_3)
	v_add_co_ci_u32_e64 v1, null, s15, v1, vcc_lo
	global_store_b16 v[0:1], v2, off offset:64
.LBB102_27:
	s_endpgm
	.section	.rodata,"a",@progbits
	.p2align	6, 0x0
	.amdhsa_kernel _ZN2at6native12_GLOBAL__N_135GammaBetaBackwardCUDAKernelTemplateIN3c108BFloat16EfLj64ELj16ELj128ELb0ELb1ELb0EEEvllPKT_S7_PKT0_SA_PS5_SB_
		.amdhsa_group_segment_fixed_size 0
		.amdhsa_private_segment_fixed_size 0
		.amdhsa_kernarg_size 320
		.amdhsa_user_sgpr_count 2
		.amdhsa_user_sgpr_dispatch_ptr 0
		.amdhsa_user_sgpr_queue_ptr 0
		.amdhsa_user_sgpr_kernarg_segment_ptr 1
		.amdhsa_user_sgpr_dispatch_id 0
		.amdhsa_user_sgpr_private_segment_size 0
		.amdhsa_wavefront_size32 1
		.amdhsa_uses_dynamic_stack 0
		.amdhsa_enable_private_segment 0
		.amdhsa_system_sgpr_workgroup_id_x 1
		.amdhsa_system_sgpr_workgroup_id_y 1
		.amdhsa_system_sgpr_workgroup_id_z 0
		.amdhsa_system_sgpr_workgroup_info 0
		.amdhsa_system_vgpr_workitem_id 1
		.amdhsa_next_free_vgpr 50
		.amdhsa_next_free_sgpr 27
		.amdhsa_reserve_vcc 1
		.amdhsa_float_round_mode_32 0
		.amdhsa_float_round_mode_16_64 0
		.amdhsa_float_denorm_mode_32 3
		.amdhsa_float_denorm_mode_16_64 3
		.amdhsa_fp16_overflow 0
		.amdhsa_workgroup_processor_mode 1
		.amdhsa_memory_ordered 1
		.amdhsa_forward_progress 1
		.amdhsa_inst_pref_size 21
		.amdhsa_round_robin_scheduling 0
		.amdhsa_exception_fp_ieee_invalid_op 0
		.amdhsa_exception_fp_denorm_src 0
		.amdhsa_exception_fp_ieee_div_zero 0
		.amdhsa_exception_fp_ieee_overflow 0
		.amdhsa_exception_fp_ieee_underflow 0
		.amdhsa_exception_fp_ieee_inexact 0
		.amdhsa_exception_int_div_zero 0
	.end_amdhsa_kernel
	.section	.text._ZN2at6native12_GLOBAL__N_135GammaBetaBackwardCUDAKernelTemplateIN3c108BFloat16EfLj64ELj16ELj128ELb0ELb1ELb0EEEvllPKT_S7_PKT0_SA_PS5_SB_,"axG",@progbits,_ZN2at6native12_GLOBAL__N_135GammaBetaBackwardCUDAKernelTemplateIN3c108BFloat16EfLj64ELj16ELj128ELb0ELb1ELb0EEEvllPKT_S7_PKT0_SA_PS5_SB_,comdat
.Lfunc_end102:
	.size	_ZN2at6native12_GLOBAL__N_135GammaBetaBackwardCUDAKernelTemplateIN3c108BFloat16EfLj64ELj16ELj128ELb0ELb1ELb0EEEvllPKT_S7_PKT0_SA_PS5_SB_, .Lfunc_end102-_ZN2at6native12_GLOBAL__N_135GammaBetaBackwardCUDAKernelTemplateIN3c108BFloat16EfLj64ELj16ELj128ELb0ELb1ELb0EEEvllPKT_S7_PKT0_SA_PS5_SB_
                                        ; -- End function
	.set _ZN2at6native12_GLOBAL__N_135GammaBetaBackwardCUDAKernelTemplateIN3c108BFloat16EfLj64ELj16ELj128ELb0ELb1ELb0EEEvllPKT_S7_PKT0_SA_PS5_SB_.num_vgpr, 50
	.set _ZN2at6native12_GLOBAL__N_135GammaBetaBackwardCUDAKernelTemplateIN3c108BFloat16EfLj64ELj16ELj128ELb0ELb1ELb0EEEvllPKT_S7_PKT0_SA_PS5_SB_.num_agpr, 0
	.set _ZN2at6native12_GLOBAL__N_135GammaBetaBackwardCUDAKernelTemplateIN3c108BFloat16EfLj64ELj16ELj128ELb0ELb1ELb0EEEvllPKT_S7_PKT0_SA_PS5_SB_.numbered_sgpr, 27
	.set _ZN2at6native12_GLOBAL__N_135GammaBetaBackwardCUDAKernelTemplateIN3c108BFloat16EfLj64ELj16ELj128ELb0ELb1ELb0EEEvllPKT_S7_PKT0_SA_PS5_SB_.num_named_barrier, 0
	.set _ZN2at6native12_GLOBAL__N_135GammaBetaBackwardCUDAKernelTemplateIN3c108BFloat16EfLj64ELj16ELj128ELb0ELb1ELb0EEEvllPKT_S7_PKT0_SA_PS5_SB_.private_seg_size, 0
	.set _ZN2at6native12_GLOBAL__N_135GammaBetaBackwardCUDAKernelTemplateIN3c108BFloat16EfLj64ELj16ELj128ELb0ELb1ELb0EEEvllPKT_S7_PKT0_SA_PS5_SB_.uses_vcc, 1
	.set _ZN2at6native12_GLOBAL__N_135GammaBetaBackwardCUDAKernelTemplateIN3c108BFloat16EfLj64ELj16ELj128ELb0ELb1ELb0EEEvllPKT_S7_PKT0_SA_PS5_SB_.uses_flat_scratch, 0
	.set _ZN2at6native12_GLOBAL__N_135GammaBetaBackwardCUDAKernelTemplateIN3c108BFloat16EfLj64ELj16ELj128ELb0ELb1ELb0EEEvllPKT_S7_PKT0_SA_PS5_SB_.has_dyn_sized_stack, 0
	.set _ZN2at6native12_GLOBAL__N_135GammaBetaBackwardCUDAKernelTemplateIN3c108BFloat16EfLj64ELj16ELj128ELb0ELb1ELb0EEEvllPKT_S7_PKT0_SA_PS5_SB_.has_recursion, 0
	.set _ZN2at6native12_GLOBAL__N_135GammaBetaBackwardCUDAKernelTemplateIN3c108BFloat16EfLj64ELj16ELj128ELb0ELb1ELb0EEEvllPKT_S7_PKT0_SA_PS5_SB_.has_indirect_call, 0
	.section	.AMDGPU.csdata,"",@progbits
; Kernel info:
; codeLenInByte = 2644
; TotalNumSgprs: 29
; NumVgprs: 50
; ScratchSize: 0
; MemoryBound: 0
; FloatMode: 240
; IeeeMode: 1
; LDSByteSize: 0 bytes/workgroup (compile time only)
; SGPRBlocks: 0
; VGPRBlocks: 6
; NumSGPRsForWavesPerEU: 29
; NumVGPRsForWavesPerEU: 50
; Occupancy: 16
; WaveLimiterHint : 0
; COMPUTE_PGM_RSRC2:SCRATCH_EN: 0
; COMPUTE_PGM_RSRC2:USER_SGPR: 2
; COMPUTE_PGM_RSRC2:TRAP_HANDLER: 0
; COMPUTE_PGM_RSRC2:TGID_X_EN: 1
; COMPUTE_PGM_RSRC2:TGID_Y_EN: 1
; COMPUTE_PGM_RSRC2:TGID_Z_EN: 0
; COMPUTE_PGM_RSRC2:TIDIG_COMP_CNT: 1
	.section	.text._ZN2at6native12_GLOBAL__N_135GammaBetaBackwardCUDAKernelTemplateIN3c108BFloat16EfLj64ELj16ELj128ELb0ELb0ELb0EEEvllPKT_S7_PKT0_SA_PS5_SB_,"axG",@progbits,_ZN2at6native12_GLOBAL__N_135GammaBetaBackwardCUDAKernelTemplateIN3c108BFloat16EfLj64ELj16ELj128ELb0ELb0ELb0EEEvllPKT_S7_PKT0_SA_PS5_SB_,comdat
	.globl	_ZN2at6native12_GLOBAL__N_135GammaBetaBackwardCUDAKernelTemplateIN3c108BFloat16EfLj64ELj16ELj128ELb0ELb0ELb0EEEvllPKT_S7_PKT0_SA_PS5_SB_ ; -- Begin function _ZN2at6native12_GLOBAL__N_135GammaBetaBackwardCUDAKernelTemplateIN3c108BFloat16EfLj64ELj16ELj128ELb0ELb0ELb0EEEvllPKT_S7_PKT0_SA_PS5_SB_
	.p2align	8
	.type	_ZN2at6native12_GLOBAL__N_135GammaBetaBackwardCUDAKernelTemplateIN3c108BFloat16EfLj64ELj16ELj128ELb0ELb0ELb0EEEvllPKT_S7_PKT0_SA_PS5_SB_,@function
_ZN2at6native12_GLOBAL__N_135GammaBetaBackwardCUDAKernelTemplateIN3c108BFloat16EfLj64ELj16ELj128ELb0ELb0ELb0EEEvllPKT_S7_PKT0_SA_PS5_SB_: ; @_ZN2at6native12_GLOBAL__N_135GammaBetaBackwardCUDAKernelTemplateIN3c108BFloat16EfLj64ELj16ELj128ELb0ELb0ELb0EEEvllPKT_S7_PKT0_SA_PS5_SB_
; %bb.0:
	s_clause 0x1
	s_load_b256 s[4:11], s[0:1], 0x0
	s_load_b128 s[12:15], s[0:1], 0x20
	s_lshl_b32 s30, ttmp9, 6
	s_mov_b32 s17, 0
	s_or_b32 s16, s30, 63
	s_wait_kmcnt 0x0
	v_cmp_le_i64_e64 s2, s[6:7], s[16:17]
	s_lshl_b32 s16, ttmp7, 7
	s_wait_alu 0xfffe
	v_cmp_gt_i64_e64 s31, s[4:5], s[16:17]
	s_and_b32 vcc_lo, exec_lo, s2
	v_cndmask_b32_e64 v1, 0, 1, s31
	s_delay_alu instid0(VALU_DEP_1)
	v_cmp_ne_u32_e64 s2, 1, v1
	s_cbranch_vccz .LBB103_49
; %bb.1:
	v_dual_mov_b32 v10, 0 :: v_dual_mov_b32 v55, 0
	s_and_b32 vcc_lo, exec_lo, s2
	s_cbranch_vccnz .LBB103_50
; %bb.2:
	v_bfe_u32 v20, v0, 10, 10
	v_dual_mov_b32 v1, 0 :: v_dual_and_b32 v22, 0x3ff, v0
	s_load_b32 s3, s[0:1], 0x44
	s_mov_b32 s19, 0
	s_delay_alu instid0(VALU_DEP_2) | instskip(NEXT) | instid1(VALU_DEP_2)
	v_dual_mov_b32 v56, 0 :: v_dual_lshlrev_b32 v21, 3, v20
	v_dual_mov_b32 v3, v1 :: v_dual_add_nc_u32 v2, s30, v22
	s_mov_b32 s23, s19
	s_delay_alu instid0(VALU_DEP_2) | instskip(NEXT) | instid1(VALU_DEP_1)
	v_add_co_u32 v10, s2, v21, s16
	v_add_co_ci_u32_e64 v11, null, 0, 0, s2
	s_delay_alu instid0(VALU_DEP_3) | instskip(NEXT) | instid1(VALU_DEP_3)
	v_cmp_gt_i64_e64 s2, s[6:7], v[2:3]
	v_mul_lo_u32 v6, s7, v10
	v_mad_co_u64_u32 v[4:5], null, s6, v10, 0
	s_delay_alu instid0(VALU_DEP_4) | instskip(SKIP_1) | instid1(VALU_DEP_1)
	v_mul_lo_u32 v7, s6, v11
	v_add_co_u32 v8, vcc_lo, v10, 7
	v_add_co_ci_u32_e64 v9, null, 0, v11, vcc_lo
	v_lshlrev_b64_e32 v[18:19], 1, v[2:3]
	s_delay_alu instid0(VALU_DEP_3)
	v_mul_lo_u32 v12, s7, v8
	s_wait_kmcnt 0x0
	s_lshl_b32 s22, s3, 7
	v_add3_u32 v5, v5, v7, v6
	v_mad_co_u64_u32 v[6:7], null, s6, v8, 0
	v_add_co_u32 v8, vcc_lo, v10, 6
	v_mul_lo_u32 v13, s6, v9
	s_wait_alu 0xfffd
	v_add_co_ci_u32_e64 v9, null, 0, v11, vcc_lo
	v_lshlrev_b64_e32 v[2:3], 1, v[4:5]
	v_mul_lo_u32 v14, s7, v8
	v_mov_b32_e32 v55, 0
	s_delay_alu instid0(VALU_DEP_4)
	v_mul_lo_u32 v15, s6, v9
	v_mad_co_u64_u32 v[8:9], null, s6, v8, 0
	v_add_co_u32 v23, vcc_lo, s8, v2
	s_wait_alu 0xfffd
	v_add_co_ci_u32_e64 v24, null, s9, v3, vcc_lo
	v_add_co_u32 v25, vcc_lo, s10, v2
	v_add3_u32 v7, v7, v13, v12
	s_wait_alu 0xfffd
	v_add_co_ci_u32_e64 v26, null, s11, v3, vcc_lo
	v_add_co_u32 v12, vcc_lo, v10, 5
	v_add3_u32 v9, v9, v15, v14
	s_wait_alu 0xfffd
	v_add_co_ci_u32_e64 v13, null, 0, v11, vcc_lo
	v_lshlrev_b64_e32 v[2:3], 1, v[6:7]
	v_mul_lo_u32 v14, s7, v12
	v_lshlrev_b64_e32 v[6:7], 1, v[8:9]
	s_delay_alu instid0(VALU_DEP_4)
	v_mul_lo_u32 v13, s6, v13
	v_mad_co_u64_u32 v[8:9], null, s6, v12, 0
	v_add_co_u32 v27, vcc_lo, s8, v2
	s_wait_alu 0xfffd
	v_add_co_ci_u32_e64 v28, null, s9, v3, vcc_lo
	v_add_co_u32 v29, vcc_lo, s10, v2
	s_wait_alu 0xfffd
	v_add_co_ci_u32_e64 v30, null, s11, v3, vcc_lo
	v_add_co_u32 v31, vcc_lo, s8, v6
	v_add3_u32 v9, v9, v13, v14
	s_wait_alu 0xfffd
	v_add_co_ci_u32_e64 v32, null, s9, v7, vcc_lo
	v_add_co_u32 v12, vcc_lo, v10, 4
	v_add_co_u32 v33, s3, s10, v6
	s_wait_alu 0xfffd
	v_add_co_ci_u32_e64 v6, null, 0, v11, vcc_lo
	v_lshlrev_b64_e32 v[2:3], 1, v[8:9]
	v_add_co_u32 v8, vcc_lo, v10, 3
	s_wait_alu 0xfffd
	v_add_co_ci_u32_e64 v9, null, 0, v11, vcc_lo
	s_wait_alu 0xf1ff
	v_add_co_ci_u32_e64 v34, null, s11, v7, s3
	v_mul_lo_u32 v13, s7, v12
	v_mul_lo_u32 v14, s6, v6
	v_mad_co_u64_u32 v[6:7], null, s6, v12, 0
	v_mul_lo_u32 v12, s7, v8
	v_mul_lo_u32 v15, s6, v9
	v_mad_co_u64_u32 v[8:9], null, s6, v8, 0
	v_add_co_u32 v35, vcc_lo, s8, v2
	s_wait_alu 0xfffd
	v_add_co_ci_u32_e64 v36, null, s9, v3, vcc_lo
	v_add3_u32 v7, v7, v14, v13
	v_add_co_u32 v37, vcc_lo, s10, v2
	s_wait_alu 0xfffd
	v_add_co_ci_u32_e64 v38, null, s11, v3, vcc_lo
	v_add_co_u32 v10, vcc_lo, v10, 2
	v_add3_u32 v9, v9, v15, v12
	s_wait_alu 0xfffd
	v_add_co_ci_u32_e64 v11, null, 0, v11, vcc_lo
	v_lshlrev_b64_e32 v[2:3], 1, v[6:7]
	v_mul_lo_u32 v12, s7, v10
	v_lshlrev_b64_e32 v[6:7], 1, v[8:9]
	s_delay_alu instid0(VALU_DEP_4)
	v_mul_lo_u32 v11, s6, v11
	v_mad_co_u64_u32 v[8:9], null, s6, v10, 0
	v_add_co_u32 v39, vcc_lo, s8, v2
	s_wait_alu 0xfffd
	v_add_co_ci_u32_e64 v40, null, s9, v3, vcc_lo
	v_add_co_u32 v41, vcc_lo, s10, v2
	s_wait_alu 0xfffd
	v_add_co_ci_u32_e64 v42, null, s11, v3, vcc_lo
	;; [unrolled: 3-line block ×3, first 2 shown]
	v_add3_u32 v9, v9, v11, v12
	v_add_co_u32 v45, vcc_lo, s10, v6
	s_wait_alu 0xfffd
	v_add_co_ci_u32_e64 v46, null, s11, v7, vcc_lo
	v_add_co_u32 v4, vcc_lo, v4, s6
	s_wait_alu 0xfffd
	v_add_co_ci_u32_e64 v5, null, s7, v5, vcc_lo
	v_lshlrev_b64_e32 v[2:3], 1, v[8:9]
	s_mul_u64 s[24:25], s[6:7], s[22:23]
	s_add_nc_u64 s[20:21], s[0:1], 64
	s_delay_alu instid0(VALU_DEP_2)
	v_lshlrev_b64_e32 v[4:5], 1, v[4:5]
	s_lshl_b64 s[24:25], s[24:25], 1
	s_add_nc_u64 s[26:27], s[16:17], 0x7f
	v_add_co_u32 v47, vcc_lo, s8, v2
	s_wait_alu 0xfffd
	v_add_co_ci_u32_e64 v48, null, s9, v3, vcc_lo
	v_add_co_u32 v49, vcc_lo, s10, v2
	s_wait_alu 0xfffd
	v_add_co_ci_u32_e64 v50, null, s11, v3, vcc_lo
	;; [unrolled: 3-line block ×4, first 2 shown]
	s_mov_b64 s[28:29], s[16:17]
.LBB103_3:                              ; =>This Inner Loop Header: Depth=1
	v_cmp_ge_i64_e64 s3, s[26:27], s[4:5]
	v_add_co_u32 v57, s18, v21, s26
	s_wait_alu 0xf1ff
	v_add_co_ci_u32_e64 v58, null, 0, s27, s18
                                        ; implicit-def: $vgpr10_vgpr11_vgpr12_vgpr13_vgpr14_vgpr15_vgpr16_vgpr17
                                        ; implicit-def: $vgpr2_vgpr3_vgpr4_vgpr5_vgpr6_vgpr7_vgpr8_vgpr9
                                        ; implicit-def: $vgpr60
                                        ; implicit-def: $vgpr2
	s_and_b32 vcc_lo, exec_lo, s3
	s_mov_b32 s3, -1
                                        ; implicit-def: $vgpr10
                                        ; implicit-def: $vgpr3
	s_wait_alu 0xfffe
	s_cbranch_vccz .LBB103_25
; %bb.4:                                ;   in Loop: Header=BB103_3 Depth=1
	s_load_b32 s3, s[20:21], 0xc
	v_dual_mov_b32 v60, 0 :: v_dual_mov_b32 v59, 0
	s_wait_kmcnt 0x0
	s_and_b32 s3, s3, 0xffff
	s_wait_alu 0xfffe
	v_mad_u32_u24 v2, v20, s3, v22
	s_mov_b32 s3, exec_lo
	s_delay_alu instid0(VALU_DEP_1) | instskip(NEXT) | instid1(VALU_DEP_1)
	v_and_b32_e32 v2, 31, v2
	v_cmpx_gt_u32_e32 8, v2
	s_cbranch_execz .LBB103_8
; %bb.5:                                ;   in Loop: Header=BB103_3 Depth=1
	v_add_co_u32 v2, vcc_lo, v57, v2
	s_wait_alu 0xfffd
	v_add_co_ci_u32_e64 v3, null, 0, v58, vcc_lo
	v_dual_mov_b32 v59, 0 :: v_dual_mov_b32 v60, 0
	s_delay_alu instid0(VALU_DEP_3) | instskip(SKIP_1) | instid1(VALU_DEP_3)
	v_add_co_u32 v2, vcc_lo, 0xffffff81, v2
	s_wait_alu 0xfffd
	v_add_co_ci_u32_e64 v3, null, -1, v3, vcc_lo
	s_mov_b32 s18, exec_lo
	v_cmpx_gt_i64_e64 s[4:5], v[2:3]
	s_cbranch_execz .LBB103_7
; %bb.6:                                ;   in Loop: Header=BB103_3 Depth=1
	v_lshlrev_b64_e32 v[2:3], 2, v[2:3]
	s_delay_alu instid0(VALU_DEP_1) | instskip(SKIP_1) | instid1(VALU_DEP_2)
	v_add_co_u32 v4, vcc_lo, s12, v2
	s_wait_alu 0xfffd
	v_add_co_ci_u32_e64 v5, null, s13, v3, vcc_lo
	v_add_co_u32 v2, vcc_lo, s14, v2
	s_wait_alu 0xfffd
	v_add_co_ci_u32_e64 v3, null, s15, v3, vcc_lo
	global_load_b32 v59, v[4:5], off
	global_load_b32 v60, v[2:3], off
.LBB103_7:                              ;   in Loop: Header=BB103_3 Depth=1
	s_wait_alu 0xfffe
	s_or_b32 exec_lo, exec_lo, s18
.LBB103_8:                              ;   in Loop: Header=BB103_3 Depth=1
	s_wait_alu 0xfffe
	s_or_b32 exec_lo, exec_lo, s3
	v_add_co_u32 v9, vcc_lo, 0xffffff81, v57
	s_wait_alu 0xfffd
	v_add_co_ci_u32_e64 v10, null, -1, v58, vcc_lo
	v_mov_b32_e32 v8, v1
	v_dual_mov_b32 v2, v1 :: v_dual_mov_b32 v3, v1
	v_dual_mov_b32 v4, v1 :: v_dual_mov_b32 v5, v1
	;; [unrolled: 1-line block ×3, first 2 shown]
	v_cmp_gt_i64_e32 vcc_lo, s[4:5], v[9:10]
	s_delay_alu instid0(VALU_DEP_3) | instskip(NEXT) | instid1(VALU_DEP_3)
	v_dual_mov_b32 v17, v8 :: v_dual_mov_b32 v14, v5
	v_dual_mov_b32 v15, v6 :: v_dual_mov_b32 v16, v7
	v_dual_mov_b32 v13, v4 :: v_dual_mov_b32 v12, v3
	v_dual_mov_b32 v11, v2 :: v_dual_mov_b32 v10, v1
	v_mov_b32_e32 v9, v8
	v_mov_b32_e32 v8, v7
	;; [unrolled: 1-line block ×8, first 2 shown]
	s_and_b32 s18, s2, vcc_lo
	s_wait_alu 0xfffe
	s_and_saveexec_b32 s3, s18
	s_cbranch_execz .LBB103_10
; %bb.9:                                ;   in Loop: Header=BB103_3 Depth=1
	v_add_co_u32 v2, vcc_lo, v23, v18
	s_wait_alu 0xfffd
	v_add_co_ci_u32_e64 v3, null, v24, v19, vcc_lo
	v_add_co_u32 v4, vcc_lo, v25, v18
	s_wait_alu 0xfffd
	v_add_co_ci_u32_e64 v5, null, v26, v19, vcc_lo
	global_load_u16 v2, v[2:3], off
	global_load_u16 v10, v[4:5], off
	v_dual_mov_b32 v3, v1 :: v_dual_mov_b32 v4, v1
	v_dual_mov_b32 v5, v1 :: v_dual_mov_b32 v6, v1
	;; [unrolled: 1-line block ×6, first 2 shown]
	v_mov_b32_e32 v15, v1
	s_wait_loadcnt 0x1
	v_dual_mov_b32 v17, v1 :: v_dual_lshlrev_b32 v2, 16, v2
	s_wait_loadcnt 0x0
	v_lshlrev_b32_e32 v10, 16, v10
.LBB103_10:                             ;   in Loop: Header=BB103_3 Depth=1
	s_wait_alu 0xfffe
	s_or_b32 exec_lo, exec_lo, s3
	v_add_co_u32 v61, vcc_lo, 0xffffff82, v57
	s_wait_alu 0xfffd
	v_add_co_ci_u32_e64 v62, null, -1, v58, vcc_lo
	s_delay_alu instid0(VALU_DEP_1)
	v_cmp_gt_i64_e32 vcc_lo, s[4:5], v[61:62]
	s_and_b32 s18, s2, vcc_lo
	s_wait_alu 0xfffe
	s_and_saveexec_b32 s3, s18
	s_cbranch_execz .LBB103_12
; %bb.11:                               ;   in Loop: Header=BB103_3 Depth=1
	v_add_co_u32 v61, vcc_lo, v51, v18
	s_wait_alu 0xfffd
	v_add_co_ci_u32_e64 v62, null, v52, v19, vcc_lo
	v_add_co_u32 v63, vcc_lo, v53, v18
	s_wait_alu 0xfffd
	v_add_co_ci_u32_e64 v64, null, v54, v19, vcc_lo
	global_load_u16 v3, v[61:62], off
	global_load_u16 v11, v[63:64], off
	s_wait_loadcnt 0x1
	v_lshlrev_b32_e32 v3, 16, v3
	s_wait_loadcnt 0x0
	v_lshlrev_b32_e32 v11, 16, v11
.LBB103_12:                             ;   in Loop: Header=BB103_3 Depth=1
	s_wait_alu 0xfffe
	s_or_b32 exec_lo, exec_lo, s3
	v_add_co_u32 v61, vcc_lo, 0xffffff83, v57
	s_wait_alu 0xfffd
	v_add_co_ci_u32_e64 v62, null, -1, v58, vcc_lo
	s_delay_alu instid0(VALU_DEP_1)
	v_cmp_gt_i64_e32 vcc_lo, s[4:5], v[61:62]
	s_and_b32 s18, s2, vcc_lo
	s_wait_alu 0xfffe
	s_and_saveexec_b32 s3, s18
	s_cbranch_execz .LBB103_14
; %bb.13:                               ;   in Loop: Header=BB103_3 Depth=1
	v_add_co_u32 v61, vcc_lo, v47, v18
	s_wait_alu 0xfffd
	v_add_co_ci_u32_e64 v62, null, v48, v19, vcc_lo
	v_add_co_u32 v63, vcc_lo, v49, v18
	s_wait_alu 0xfffd
	v_add_co_ci_u32_e64 v64, null, v50, v19, vcc_lo
	global_load_u16 v4, v[61:62], off
	global_load_u16 v12, v[63:64], off
	s_wait_loadcnt 0x1
	v_lshlrev_b32_e32 v4, 16, v4
	s_wait_loadcnt 0x0
	v_lshlrev_b32_e32 v12, 16, v12
.LBB103_14:                             ;   in Loop: Header=BB103_3 Depth=1
	;; [unrolled: 25-line block ×7, first 2 shown]
	s_wait_alu 0xfffe
	s_or_b32 exec_lo, exec_lo, s3
	s_wait_loadcnt 0x1
	ds_bpermute_b32 v61, v1, v59
	ds_bpermute_b32 v62, v1, v59 offset:4
	ds_bpermute_b32 v63, v1, v59 offset:8
	s_wait_loadcnt 0x0
	ds_bpermute_b32 v64, v1, v60
	ds_bpermute_b32 v65, v1, v59 offset:12
	ds_bpermute_b32 v66, v1, v60 offset:4
	ds_bpermute_b32 v67, v1, v59 offset:16
	ds_bpermute_b32 v68, v1, v60 offset:8
	ds_bpermute_b32 v69, v1, v60 offset:12
	ds_bpermute_b32 v70, v1, v59 offset:20
	ds_bpermute_b32 v71, v1, v59 offset:24
	s_mov_b32 s3, 0
	s_wait_dscnt 0xa
	v_dual_sub_f32 v10, v10, v61 :: v_dual_add_f32 v61, v55, v2
	s_wait_dscnt 0x8
	v_dual_sub_f32 v11, v11, v62 :: v_dual_sub_f32 v12, v12, v63
	ds_bpermute_b32 v62, v1, v60 offset:16
	v_mul_f32_e32 v2, v2, v10
	ds_bpermute_b32 v63, v1, v60 offset:20
	v_dual_mul_f32 v11, v3, v11 :: v_dual_mul_f32 v12, v4, v12
	v_add_f32_e32 v3, v3, v61
	s_wait_dscnt 0x9
	v_fma_f32 v10, v2, v64, v56
	s_wait_dscnt 0x8
	v_sub_f32_e32 v2, v13, v65
	ds_bpermute_b32 v64, v1, v60 offset:24
	ds_bpermute_b32 v60, v1, v60 offset:28
	s_wait_dscnt 0x9
	v_dual_add_f32 v3, v4, v3 :: v_dual_fmac_f32 v10, v11, v66
	s_wait_dscnt 0x8
	v_sub_f32_e32 v11, v14, v67
	v_mul_f32_e32 v13, v5, v2
	ds_bpermute_b32 v2, v1, v59 offset:28
	s_wait_dscnt 0x6
	v_sub_f32_e32 v4, v15, v70
	v_dual_fmac_f32 v10, v12, v68 :: v_dual_mul_f32 v11, v6, v11
	v_add_f32_e32 v3, v5, v3
	s_wait_dscnt 0x5
	s_delay_alu instid0(VALU_DEP_3) | instskip(NEXT) | instid1(VALU_DEP_2)
	v_dual_sub_f32 v5, v16, v71 :: v_dual_mul_f32 v4, v7, v4
	v_dual_fmac_f32 v10, v13, v69 :: v_dual_add_f32 v3, v6, v3
	s_wait_dscnt 0x4
	s_delay_alu instid0(VALU_DEP_1) | instskip(SKIP_1) | instid1(VALU_DEP_1)
	v_dual_mul_f32 v5, v8, v5 :: v_dual_fmac_f32 v10, v11, v62
	s_wait_dscnt 0x3
	v_fmac_f32_e32 v10, v4, v63
	s_wait_dscnt 0x2
	s_delay_alu instid0(VALU_DEP_1) | instskip(NEXT) | instid1(VALU_DEP_1)
	v_dual_add_f32 v3, v7, v3 :: v_dual_fmac_f32 v10, v5, v64
	v_add_f32_e32 v3, v8, v3
.LBB103_25:                             ;   in Loop: Header=BB103_3 Depth=1
	s_wait_alu 0xfffe
	s_and_b32 vcc_lo, exec_lo, s3
	s_wait_alu 0xfffe
	s_cbranch_vccz .LBB103_40
; %bb.26:                               ;   in Loop: Header=BB103_3 Depth=1
	s_load_b32 s3, s[20:21], 0x0
	s_wait_dscnt 0x1
	v_dual_mov_b32 v60, 0 :: v_dual_mov_b32 v59, 0
	s_wait_kmcnt 0x0
	s_cmp_lt_u32 ttmp9, s3
	s_cselect_b32 s18, 12, 18
	s_wait_alu 0xfffe
	s_add_nc_u64 s[34:35], s[20:21], s[18:19]
	s_load_u16 s3, s[34:35], 0x0
	s_wait_dscnt 0x0
	s_wait_kmcnt 0x0
	v_mad_u32_u24 v2, v20, s3, v22
	s_mov_b32 s3, exec_lo
	s_delay_alu instid0(VALU_DEP_1) | instskip(NEXT) | instid1(VALU_DEP_1)
	v_and_b32_e32 v2, 31, v2
	v_cmpx_gt_u32_e32 8, v2
	s_cbranch_execz .LBB103_30
; %bb.27:                               ;   in Loop: Header=BB103_3 Depth=1
	v_add_co_u32 v2, vcc_lo, v57, v2
	s_wait_alu 0xfffd
	v_add_co_ci_u32_e64 v3, null, 0, v58, vcc_lo
	v_dual_mov_b32 v59, 0 :: v_dual_mov_b32 v60, 0
	s_delay_alu instid0(VALU_DEP_3) | instskip(SKIP_1) | instid1(VALU_DEP_3)
	v_add_co_u32 v2, vcc_lo, 0xffffff81, v2
	s_wait_alu 0xfffd
	v_add_co_ci_u32_e64 v3, null, -1, v3, vcc_lo
	s_mov_b32 s18, exec_lo
	v_cmpx_gt_i64_e64 s[4:5], v[2:3]
	s_cbranch_execz .LBB103_29
; %bb.28:                               ;   in Loop: Header=BB103_3 Depth=1
	v_lshlrev_b64_e32 v[2:3], 2, v[2:3]
	s_delay_alu instid0(VALU_DEP_1) | instskip(SKIP_1) | instid1(VALU_DEP_2)
	v_add_co_u32 v4, vcc_lo, s12, v2
	s_wait_alu 0xfffd
	v_add_co_ci_u32_e64 v5, null, s13, v3, vcc_lo
	v_add_co_u32 v2, vcc_lo, s14, v2
	s_wait_alu 0xfffd
	v_add_co_ci_u32_e64 v3, null, s15, v3, vcc_lo
	global_load_b32 v59, v[4:5], off
	global_load_b32 v60, v[2:3], off
.LBB103_29:                             ;   in Loop: Header=BB103_3 Depth=1
	s_wait_alu 0xfffe
	s_or_b32 exec_lo, exec_lo, s18
.LBB103_30:                             ;   in Loop: Header=BB103_3 Depth=1
	s_wait_alu 0xfffe
	s_or_b32 exec_lo, exec_lo, s3
	v_mov_b32_e32 v8, v1
	v_dual_mov_b32 v2, v1 :: v_dual_mov_b32 v3, v1
	v_dual_mov_b32 v4, v1 :: v_dual_mov_b32 v5, v1
	;; [unrolled: 1-line block ×3, first 2 shown]
	s_delay_alu instid0(VALU_DEP_4) | instskip(NEXT) | instid1(VALU_DEP_3)
	v_mov_b32_e32 v17, v8
	v_dual_mov_b32 v13, v4 :: v_dual_mov_b32 v12, v3
	s_delay_alu instid0(VALU_DEP_3) | instskip(NEXT) | instid1(VALU_DEP_4)
	v_dual_mov_b32 v15, v6 :: v_dual_mov_b32 v14, v5
	v_dual_mov_b32 v16, v7 :: v_dual_mov_b32 v11, v2
	v_dual_mov_b32 v10, v1 :: v_dual_mov_b32 v9, v8
	v_mov_b32_e32 v8, v7
	v_mov_b32_e32 v7, v6
	;; [unrolled: 1-line block ×7, first 2 shown]
	s_and_saveexec_b32 s3, s2
	s_cbranch_execnz .LBB103_42
; %bb.31:                               ;   in Loop: Header=BB103_3 Depth=1
	s_wait_alu 0xfffe
	s_or_b32 exec_lo, exec_lo, s3
	s_and_saveexec_b32 s3, s2
	s_cbranch_execnz .LBB103_43
.LBB103_32:                             ;   in Loop: Header=BB103_3 Depth=1
	s_wait_alu 0xfffe
	s_or_b32 exec_lo, exec_lo, s3
	s_and_saveexec_b32 s3, s2
	s_cbranch_execnz .LBB103_44
.LBB103_33:                             ;   in Loop: Header=BB103_3 Depth=1
	s_wait_alu 0xfffe
	s_or_b32 exec_lo, exec_lo, s3
	s_and_saveexec_b32 s3, s2
	s_cbranch_execnz .LBB103_45
.LBB103_34:                             ;   in Loop: Header=BB103_3 Depth=1
	s_wait_alu 0xfffe
	s_or_b32 exec_lo, exec_lo, s3
	s_and_saveexec_b32 s3, s2
	s_cbranch_execnz .LBB103_46
.LBB103_35:                             ;   in Loop: Header=BB103_3 Depth=1
	s_wait_alu 0xfffe
	s_or_b32 exec_lo, exec_lo, s3
	s_and_saveexec_b32 s3, s2
	s_cbranch_execnz .LBB103_47
.LBB103_36:                             ;   in Loop: Header=BB103_3 Depth=1
	s_wait_alu 0xfffe
	s_or_b32 exec_lo, exec_lo, s3
	s_and_saveexec_b32 s3, s2
	s_cbranch_execnz .LBB103_48
.LBB103_37:                             ;   in Loop: Header=BB103_3 Depth=1
	s_wait_alu 0xfffe
	s_or_b32 exec_lo, exec_lo, s3
	s_and_saveexec_b32 s3, s2
	s_cbranch_execz .LBB103_39
.LBB103_38:                             ;   in Loop: Header=BB103_3 Depth=1
	v_add_co_u32 v57, vcc_lo, v27, v18
	s_wait_alu 0xfffd
	v_add_co_ci_u32_e64 v58, null, v28, v19, vcc_lo
	v_add_co_u32 v61, vcc_lo, v29, v18
	s_wait_alu 0xfffd
	v_add_co_ci_u32_e64 v62, null, v30, v19, vcc_lo
	global_load_u16 v9, v[57:58], off
	global_load_u16 v17, v[61:62], off
	s_wait_loadcnt 0x1
	v_lshlrev_b32_e32 v9, 16, v9
	s_wait_loadcnt 0x0
	v_lshlrev_b32_e32 v17, 16, v17
.LBB103_39:                             ;   in Loop: Header=BB103_3 Depth=1
	s_wait_alu 0xfffe
	s_or_b32 exec_lo, exec_lo, s3
	s_wait_loadcnt 0x1
	ds_bpermute_b32 v57, v1, v59
	ds_bpermute_b32 v58, v1, v59 offset:4
	ds_bpermute_b32 v61, v1, v59 offset:8
	s_wait_loadcnt 0x0
	ds_bpermute_b32 v62, v1, v60
	ds_bpermute_b32 v63, v1, v59 offset:12
	ds_bpermute_b32 v64, v1, v60 offset:4
	;; [unrolled: 1-line block ×5, first 2 shown]
	s_wait_dscnt 0x7
	v_dual_sub_f32 v10, v10, v57 :: v_dual_sub_f32 v11, v11, v58
	ds_bpermute_b32 v57, v1, v60 offset:12
	s_wait_dscnt 0x7
	v_sub_f32_e32 v12, v12, v61
	ds_bpermute_b32 v58, v1, v60 offset:20
	v_dual_mul_f32 v10, v2, v10 :: v_dual_mul_f32 v11, v3, v11
	s_wait_dscnt 0x6
	v_dual_add_f32 v2, v55, v2 :: v_dual_sub_f32 v13, v13, v63
	ds_bpermute_b32 v55, v1, v60 offset:16
	v_fmac_f32_e32 v56, v10, v62
	ds_bpermute_b32 v10, v1, v59 offset:24
	s_wait_dscnt 0x6
	v_dual_add_f32 v2, v3, v2 :: v_dual_sub_f32 v3, v14, v65
	v_dual_fmac_f32 v56, v11, v64 :: v_dual_mul_f32 v11, v5, v13
	s_wait_dscnt 0x5
	v_dual_sub_f32 v13, v15, v67 :: v_dual_mul_f32 v12, v4, v12
	s_wait_dscnt 0x4
	s_delay_alu instid0(VALU_DEP_1)
	v_dual_mul_f32 v3, v6, v3 :: v_dual_fmac_f32 v56, v12, v66
	ds_bpermute_b32 v12, v1, v60 offset:24
	ds_bpermute_b32 v60, v1, v60 offset:28
	s_wait_dscnt 0x5
	v_fmac_f32_e32 v56, v11, v57
	s_wait_dscnt 0x2
	s_delay_alu instid0(VALU_DEP_1) | instskip(NEXT) | instid1(VALU_DEP_1)
	v_dual_fmac_f32 v56, v3, v55 :: v_dual_sub_f32 v3, v16, v10
	v_mul_f32_e32 v3, v8, v3
	v_add_f32_e32 v4, v4, v2
	ds_bpermute_b32 v2, v1, v59 offset:28
	v_dual_add_f32 v4, v5, v4 :: v_dual_mul_f32 v5, v7, v13
	s_delay_alu instid0(VALU_DEP_1) | instskip(NEXT) | instid1(VALU_DEP_2)
	v_add_f32_e32 v4, v6, v4
	v_fmac_f32_e32 v56, v5, v58
	s_delay_alu instid0(VALU_DEP_2) | instskip(SKIP_1) | instid1(VALU_DEP_2)
	v_add_f32_e32 v4, v7, v4
	s_wait_dscnt 0x2
	v_fmac_f32_e32 v56, v3, v12
	s_delay_alu instid0(VALU_DEP_2) | instskip(NEXT) | instid1(VALU_DEP_2)
	v_add_f32_e32 v3, v8, v4
	v_mov_b32_e32 v10, v56
.LBB103_40:                             ;   in Loop: Header=BB103_3 Depth=1
	v_add_co_u32 v23, vcc_lo, v23, s24
	s_wait_alu 0xfffd
	v_add_co_ci_u32_e64 v24, null, s25, v24, vcc_lo
	v_add_co_u32 v25, vcc_lo, v25, s24
	s_wait_alu 0xfffd
	v_add_co_ci_u32_e64 v26, null, s25, v26, vcc_lo
	v_add_co_u32 v27, vcc_lo, v27, s24
	s_wait_alu 0xfffd
	v_add_co_ci_u32_e64 v28, null, s25, v28, vcc_lo
	v_add_co_u32 v29, vcc_lo, v29, s24
	s_wait_alu 0xfffd
	v_add_co_ci_u32_e64 v30, null, s25, v30, vcc_lo
	v_add_co_u32 v31, vcc_lo, v31, s24
	s_wait_alu 0xfffd
	v_add_co_ci_u32_e64 v32, null, s25, v32, vcc_lo
	v_add_co_u32 v33, vcc_lo, v33, s24
	s_wait_alu 0xfffd
	v_add_co_ci_u32_e64 v34, null, s25, v34, vcc_lo
	v_add_co_u32 v35, vcc_lo, v35, s24
	s_wait_alu 0xfffd
	v_add_co_ci_u32_e64 v36, null, s25, v36, vcc_lo
	v_add_co_u32 v37, vcc_lo, v37, s24
	s_wait_alu 0xfffd
	v_add_co_ci_u32_e64 v38, null, s25, v38, vcc_lo
	v_add_co_u32 v39, vcc_lo, v39, s24
	s_wait_alu 0xfffd
	v_add_co_ci_u32_e64 v40, null, s25, v40, vcc_lo
	v_add_co_u32 v41, vcc_lo, v41, s24
	s_wait_alu 0xfffd
	v_add_co_ci_u32_e64 v42, null, s25, v42, vcc_lo
	v_add_co_u32 v43, vcc_lo, v43, s24
	s_wait_dscnt 0x0
	v_dual_sub_f32 v2, v17, v2 :: v_dual_add_f32 v55, v3, v9
	s_wait_alu 0xfffd
	v_add_co_ci_u32_e64 v44, null, s25, v44, vcc_lo
	v_add_co_u32 v45, vcc_lo, v45, s24
	s_wait_alu 0xfffd
	v_add_co_ci_u32_e64 v46, null, s25, v46, vcc_lo
	v_add_co_u32 v47, vcc_lo, v47, s24
	;; [unrolled: 3-line block ×3, first 2 shown]
	s_add_nc_u64 s[28:29], s[28:29], s[22:23]
	v_mul_f32_e32 v2, v9, v2
	s_wait_alu 0xfffd
	v_add_co_ci_u32_e64 v50, null, s25, v50, vcc_lo
	v_add_co_u32 v51, vcc_lo, v51, s24
	s_wait_alu 0xfffe
	v_cmp_lt_i64_e64 s3, s[28:29], s[4:5]
	s_wait_alu 0xfffd
	v_add_co_ci_u32_e64 v52, null, s25, v52, vcc_lo
	v_add_co_u32 v53, vcc_lo, v53, s24
	v_fmac_f32_e32 v10, v2, v60
	s_wait_alu 0xfffd
	v_add_co_ci_u32_e64 v54, null, s25, v54, vcc_lo
	s_and_b32 vcc_lo, exec_lo, s3
	s_add_nc_u64 s[26:27], s[26:27], s[22:23]
	s_wait_alu 0xfffe
	s_cbranch_vccz .LBB103_50
; %bb.41:                               ;   in Loop: Header=BB103_3 Depth=1
	v_mov_b32_e32 v56, v10
	s_branch .LBB103_3
.LBB103_42:                             ;   in Loop: Header=BB103_3 Depth=1
	v_add_co_u32 v2, vcc_lo, v23, v18
	s_wait_alu 0xfffd
	v_add_co_ci_u32_e64 v3, null, v24, v19, vcc_lo
	v_add_co_u32 v4, vcc_lo, v25, v18
	s_wait_alu 0xfffd
	v_add_co_ci_u32_e64 v5, null, v26, v19, vcc_lo
	global_load_u16 v2, v[2:3], off
	global_load_u16 v10, v[4:5], off
	v_dual_mov_b32 v3, v1 :: v_dual_mov_b32 v4, v1
	v_dual_mov_b32 v5, v1 :: v_dual_mov_b32 v6, v1
	;; [unrolled: 1-line block ×6, first 2 shown]
	v_mov_b32_e32 v15, v1
	s_wait_loadcnt 0x1
	v_dual_mov_b32 v17, v1 :: v_dual_lshlrev_b32 v2, 16, v2
	s_wait_loadcnt 0x0
	v_lshlrev_b32_e32 v10, 16, v10
	s_wait_alu 0xfffe
	s_or_b32 exec_lo, exec_lo, s3
	s_and_saveexec_b32 s3, s2
	s_cbranch_execz .LBB103_32
.LBB103_43:                             ;   in Loop: Header=BB103_3 Depth=1
	v_add_co_u32 v57, vcc_lo, v51, v18
	s_wait_alu 0xfffd
	v_add_co_ci_u32_e64 v58, null, v52, v19, vcc_lo
	v_add_co_u32 v61, vcc_lo, v53, v18
	s_wait_alu 0xfffd
	v_add_co_ci_u32_e64 v62, null, v54, v19, vcc_lo
	global_load_u16 v3, v[57:58], off
	global_load_u16 v11, v[61:62], off
	s_wait_loadcnt 0x1
	v_lshlrev_b32_e32 v3, 16, v3
	s_wait_loadcnt 0x0
	v_lshlrev_b32_e32 v11, 16, v11
	s_wait_alu 0xfffe
	s_or_b32 exec_lo, exec_lo, s3
	s_and_saveexec_b32 s3, s2
	s_cbranch_execz .LBB103_33
.LBB103_44:                             ;   in Loop: Header=BB103_3 Depth=1
	v_add_co_u32 v57, vcc_lo, v47, v18
	s_wait_alu 0xfffd
	v_add_co_ci_u32_e64 v58, null, v48, v19, vcc_lo
	v_add_co_u32 v61, vcc_lo, v49, v18
	s_wait_alu 0xfffd
	v_add_co_ci_u32_e64 v62, null, v50, v19, vcc_lo
	global_load_u16 v4, v[57:58], off
	global_load_u16 v12, v[61:62], off
	s_wait_loadcnt 0x1
	v_lshlrev_b32_e32 v4, 16, v4
	s_wait_loadcnt 0x0
	v_lshlrev_b32_e32 v12, 16, v12
	s_wait_alu 0xfffe
	s_or_b32 exec_lo, exec_lo, s3
	s_and_saveexec_b32 s3, s2
	s_cbranch_execz .LBB103_34
.LBB103_45:                             ;   in Loop: Header=BB103_3 Depth=1
	v_add_co_u32 v57, vcc_lo, v43, v18
	s_wait_alu 0xfffd
	v_add_co_ci_u32_e64 v58, null, v44, v19, vcc_lo
	v_add_co_u32 v61, vcc_lo, v45, v18
	s_wait_alu 0xfffd
	v_add_co_ci_u32_e64 v62, null, v46, v19, vcc_lo
	global_load_u16 v5, v[57:58], off
	global_load_u16 v13, v[61:62], off
	s_wait_loadcnt 0x1
	v_lshlrev_b32_e32 v5, 16, v5
	s_wait_loadcnt 0x0
	v_lshlrev_b32_e32 v13, 16, v13
	s_wait_alu 0xfffe
	s_or_b32 exec_lo, exec_lo, s3
	s_and_saveexec_b32 s3, s2
	s_cbranch_execz .LBB103_35
.LBB103_46:                             ;   in Loop: Header=BB103_3 Depth=1
	v_add_co_u32 v57, vcc_lo, v39, v18
	s_wait_alu 0xfffd
	v_add_co_ci_u32_e64 v58, null, v40, v19, vcc_lo
	v_add_co_u32 v61, vcc_lo, v41, v18
	s_wait_alu 0xfffd
	v_add_co_ci_u32_e64 v62, null, v42, v19, vcc_lo
	global_load_u16 v6, v[57:58], off
	global_load_u16 v14, v[61:62], off
	s_wait_loadcnt 0x1
	v_lshlrev_b32_e32 v6, 16, v6
	s_wait_loadcnt 0x0
	v_lshlrev_b32_e32 v14, 16, v14
	s_wait_alu 0xfffe
	s_or_b32 exec_lo, exec_lo, s3
	s_and_saveexec_b32 s3, s2
	s_cbranch_execz .LBB103_36
.LBB103_47:                             ;   in Loop: Header=BB103_3 Depth=1
	v_add_co_u32 v57, vcc_lo, v35, v18
	s_wait_alu 0xfffd
	v_add_co_ci_u32_e64 v58, null, v36, v19, vcc_lo
	v_add_co_u32 v61, vcc_lo, v37, v18
	s_wait_alu 0xfffd
	v_add_co_ci_u32_e64 v62, null, v38, v19, vcc_lo
	global_load_u16 v7, v[57:58], off
	global_load_u16 v15, v[61:62], off
	s_wait_loadcnt 0x1
	v_lshlrev_b32_e32 v7, 16, v7
	s_wait_loadcnt 0x0
	v_lshlrev_b32_e32 v15, 16, v15
	s_wait_alu 0xfffe
	s_or_b32 exec_lo, exec_lo, s3
	s_and_saveexec_b32 s3, s2
	s_cbranch_execz .LBB103_37
.LBB103_48:                             ;   in Loop: Header=BB103_3 Depth=1
	v_add_co_u32 v57, vcc_lo, v31, v18
	s_wait_alu 0xfffd
	v_add_co_ci_u32_e64 v58, null, v32, v19, vcc_lo
	v_add_co_u32 v61, vcc_lo, v33, v18
	s_wait_alu 0xfffd
	v_add_co_ci_u32_e64 v62, null, v34, v19, vcc_lo
	global_load_u16 v8, v[57:58], off
	global_load_u16 v16, v[61:62], off
	s_wait_loadcnt 0x1
	v_lshlrev_b32_e32 v8, 16, v8
	s_wait_loadcnt 0x0
	v_lshlrev_b32_e32 v16, 16, v16
	s_wait_alu 0xfffe
	s_or_b32 exec_lo, exec_lo, s3
	s_and_saveexec_b32 s3, s2
	s_cbranch_execnz .LBB103_38
	s_branch .LBB103_39
.LBB103_49:
                                        ; implicit-def: $vgpr10
                                        ; implicit-def: $vgpr55
	s_branch .LBB103_51
.LBB103_50:
	s_cbranch_execnz .LBB103_83
.LBB103_51:
	v_dual_mov_b32 v10, 0 :: v_dual_mov_b32 v55, 0
	s_and_not1_b32 vcc_lo, exec_lo, s31
	s_wait_alu 0xfffe
	s_cbranch_vccnz .LBB103_83
; %bb.52:
	v_bfe_u32 v48, v0, 10, 10
	v_dual_mov_b32 v1, 0 :: v_dual_and_b32 v50, 0x3ff, v0
	s_lshl_b64 s[20:21], s[16:17], 1
	s_mov_b32 s3, 0
	s_delay_alu instid0(VALU_DEP_2) | instskip(SKIP_2) | instid1(VALU_DEP_3)
	v_dual_mov_b32 v84, 0 :: v_dual_lshlrev_b32 v49, 3, v48
	v_dual_mov_b32 v85, 0 :: v_dual_lshlrev_b32 v8, 4, v48
	v_dual_mov_b32 v5, v1 :: v_dual_add_nc_u32 v4, s30, v50
	v_add_co_u32 v10, s2, v49, s16
	s_wait_alu 0xf1ff
	v_add_co_ci_u32_e64 v11, null, 0, 0, s2
	s_delay_alu instid0(VALU_DEP_3) | instskip(NEXT) | instid1(VALU_DEP_3)
	v_lshlrev_b64_e32 v[18:19], 1, v[4:5]
	v_mul_lo_u32 v6, s7, v10
	v_mad_co_u64_u32 v[2:3], null, s6, v10, 0
	s_delay_alu instid0(VALU_DEP_4) | instskip(SKIP_2) | instid1(VALU_DEP_1)
	v_mul_lo_u32 v7, s6, v11
	s_load_b32 s2, s[0:1], 0x44
	s_mov_b32 s19, s3
	v_add3_u32 v3, v3, v7, v6
	v_add_co_u32 v6, s18, v8, s20
	s_wait_alu 0xf1ff
	v_add_co_ci_u32_e64 v7, null, 0, s21, s18
	s_delay_alu instid0(VALU_DEP_3) | instskip(NEXT) | instid1(VALU_DEP_3)
	v_lshlrev_b64_e32 v[4:5], 1, v[2:3]
	v_add_co_u32 v8, vcc_lo, v6, 2
	s_wait_alu 0xfffd
	s_delay_alu instid0(VALU_DEP_3) | instskip(NEXT) | instid1(VALU_DEP_3)
	v_add_co_ci_u32_e64 v9, null, 0, v7, vcc_lo
	v_add_co_u32 v51, vcc_lo, s8, v4
	s_wait_alu 0xfffd
	v_add_co_ci_u32_e64 v52, null, s9, v5, vcc_lo
	v_add_co_u32 v53, vcc_lo, s10, v4
	s_wait_alu 0xfffd
	;; [unrolled: 3-line block ×5, first 2 shown]
	v_add_co_ci_u32_e64 v28, null, 0, v7, vcc_lo
	v_add_co_u32 v42, vcc_lo, v6, 10
	v_mad_co_u64_u32 v[22:23], null, s6, v4, s[8:9]
	v_mul_lo_u32 v5, s6, v5
	v_mul_lo_u32 v15, s7, v4
	v_mad_co_u64_u32 v[36:37], null, s6, v4, s[10:11]
	s_wait_alu 0xfffd
	v_add_co_ci_u32_e64 v30, null, 0, v7, vcc_lo
	v_add_co_u32 v44, vcc_lo, v6, 12
	s_wait_alu 0xfffd
	v_add_co_ci_u32_e64 v32, null, 0, v7, vcc_lo
	v_add_co_u32 v6, vcc_lo, v6, 14
	v_mad_co_u64_u32 v[20:21], null, s6, v8, s[8:9]
	v_mul_lo_u32 v9, s6, v9
	v_mul_lo_u32 v12, s7, v8
	v_mad_co_u64_u32 v[34:35], null, s6, v8, s[10:11]
	s_wait_alu 0xfffd
	v_add_co_ci_u32_e64 v7, null, 0, v7, vcc_lo
	v_add_co_u32 v4, vcc_lo, v10, 7
	v_add3_u32 v23, v15, v23, v5
	v_add3_u32 v37, v15, v37, v5
	s_wait_alu 0xfffd
	v_add_co_ci_u32_e64 v5, null, 0, v11, vcc_lo
	v_mul_lo_u32 v61, s6, v7
	v_add_co_u32 v7, vcc_lo, v10, 6
	v_add3_u32 v21, v12, v21, v9
	v_add3_u32 v35, v12, v35, v9
	s_wait_alu 0xfffd
	v_add_co_ci_u32_e64 v12, null, 0, v11, vcc_lo
	v_mul_lo_u32 v8, s7, v4
	v_mul_lo_u32 v9, s6, v5
	v_mad_co_u64_u32 v[4:5], null, s6, v4, 0
	v_mad_co_u64_u32 v[24:25], null, s6, v13, s[8:9]
	v_mul_lo_u32 v17, s7, v13
	v_mul_lo_u32 v59, s6, v32
	v_mad_co_u64_u32 v[32:33], null, s6, v6, s[8:9]
	v_mul_lo_u32 v62, s7, v6
	v_mad_co_u64_u32 v[38:39], null, s6, v13, s[10:11]
	v_mad_co_u64_u32 v[46:47], null, s6, v6, s[10:11]
	v_mul_lo_u32 v13, s7, v7
	v_mul_lo_u32 v12, s6, v12
	v_mad_co_u64_u32 v[6:7], null, s6, v7, 0
	v_add3_u32 v5, v5, v9, v8
	v_add_co_u32 v8, vcc_lo, v10, 5
	v_mad_co_u64_u32 v[26:27], null, s6, v16, s[8:9]
	v_mul_lo_u32 v55, s6, v28
	v_mul_lo_u32 v56, s7, v16
	v_mad_co_u64_u32 v[40:41], null, s6, v16, s[10:11]
	s_wait_alu 0xfffd
	v_add_co_ci_u32_e64 v9, null, 0, v11, vcc_lo
	v_add3_u32 v7, v7, v12, v13
	v_mad_co_u64_u32 v[28:29], null, s6, v42, s[8:9]
	v_mul_lo_u32 v57, s6, v30
	v_mul_lo_u32 v58, s7, v42
	v_mad_co_u64_u32 v[42:43], null, s6, v42, s[10:11]
	v_lshlrev_b64_e32 v[4:5], 1, v[4:5]
	v_mad_co_u64_u32 v[30:31], null, s6, v44, s[8:9]
	v_mul_lo_u32 v60, s7, v44
	v_mad_co_u64_u32 v[44:45], null, s6, v44, s[10:11]
	v_mul_lo_u32 v12, s7, v8
	v_mul_lo_u32 v13, s6, v9
	v_mad_co_u64_u32 v[8:9], null, s6, v8, 0
	v_lshlrev_b64_e32 v[6:7], 1, v[6:7]
	v_add3_u32 v27, v56, v27, v55
	v_add3_u32 v41, v56, v41, v55
	v_add_co_u32 v56, vcc_lo, s8, v4
	v_add3_u32 v29, v58, v29, v57
	v_add3_u32 v43, v58, v43, v57
	s_wait_alu 0xfffd
	v_add_co_ci_u32_e64 v57, null, s9, v5, vcc_lo
	v_add_co_u32 v58, vcc_lo, s10, v4
	v_add3_u32 v31, v60, v31, v59
	v_add3_u32 v45, v60, v45, v59
	s_wait_alu 0xfffd
	v_add_co_ci_u32_e64 v59, null, s11, v5, vcc_lo
	v_add_co_u32 v60, vcc_lo, s8, v6
	v_mul_lo_u32 v14, s6, v14
	v_add3_u32 v9, v9, v13, v12
	v_add3_u32 v33, v62, v33, v61
	v_add3_u32 v47, v62, v47, v61
	s_wait_alu 0xfffd
	v_add_co_ci_u32_e64 v61, null, s9, v7, vcc_lo
	v_add_co_u32 v12, vcc_lo, v10, 4
	s_wait_kmcnt 0x0
	s_lshl_b32 s18, s2, 7
	v_add_co_u32 v62, s2, s10, v6
	s_wait_alu 0xfffd
	v_add_co_ci_u32_e64 v6, null, 0, v11, vcc_lo
	v_lshlrev_b64_e32 v[4:5], 1, v[8:9]
	v_add_co_u32 v8, vcc_lo, v10, 3
	s_wait_alu 0xfffd
	v_add_co_ci_u32_e64 v9, null, 0, v11, vcc_lo
	v_add3_u32 v25, v17, v25, v14
	v_add3_u32 v39, v17, v39, v14
	s_wait_alu 0xf1ff
	v_add_co_ci_u32_e64 v63, null, s11, v7, s2
	v_mul_lo_u32 v13, s7, v12
	v_mul_lo_u32 v14, s6, v6
	v_mad_co_u64_u32 v[6:7], null, s6, v12, 0
	v_mul_lo_u32 v12, s7, v8
	v_mul_lo_u32 v15, s6, v9
	v_mad_co_u64_u32 v[8:9], null, s6, v8, 0
	v_add_co_u32 v64, vcc_lo, s8, v4
	s_wait_alu 0xfffd
	v_add_co_ci_u32_e64 v65, null, s9, v5, vcc_lo
	v_add3_u32 v7, v7, v14, v13
	v_add_co_u32 v66, vcc_lo, s10, v4
	s_wait_alu 0xfffd
	v_add_co_ci_u32_e64 v67, null, s11, v5, vcc_lo
	v_add_co_u32 v10, vcc_lo, v10, 2
	v_add3_u32 v9, v9, v15, v12
	s_wait_alu 0xfffd
	v_add_co_ci_u32_e64 v11, null, 0, v11, vcc_lo
	v_lshlrev_b64_e32 v[4:5], 1, v[6:7]
	v_mul_lo_u32 v12, s7, v10
	v_lshlrev_b64_e32 v[6:7], 1, v[8:9]
	s_delay_alu instid0(VALU_DEP_4)
	v_mul_lo_u32 v11, s6, v11
	v_mad_co_u64_u32 v[8:9], null, s6, v10, 0
	v_add_co_u32 v68, vcc_lo, s8, v4
	s_wait_alu 0xfffd
	v_add_co_ci_u32_e64 v69, null, s9, v5, vcc_lo
	v_add_co_u32 v70, vcc_lo, s10, v4
	s_wait_alu 0xfffd
	v_add_co_ci_u32_e64 v71, null, s11, v5, vcc_lo
	;; [unrolled: 3-line block ×3, first 2 shown]
	v_add3_u32 v9, v9, v11, v12
	v_add_co_u32 v74, vcc_lo, s10, v6
	s_wait_alu 0xfffd
	v_add_co_ci_u32_e64 v75, null, s11, v7, vcc_lo
	v_add_co_u32 v2, vcc_lo, v2, s6
	s_wait_alu 0xfffd
	v_add_co_ci_u32_e64 v3, null, s7, v3, vcc_lo
	v_lshlrev_b64_e32 v[4:5], 1, v[8:9]
	s_wait_alu 0xfffe
	s_mul_u64 s[20:21], s[6:7], s[18:19]
	s_delay_alu instid0(VALU_DEP_2) | instskip(NEXT) | instid1(VALU_DEP_2)
	v_lshlrev_b64_e32 v[2:3], 1, v[2:3]
	v_add_co_u32 v76, vcc_lo, s8, v4
	s_wait_alu 0xfffd
	v_add_co_ci_u32_e64 v77, null, s9, v5, vcc_lo
	v_add_co_u32 v78, vcc_lo, s10, v4
	s_wait_alu 0xfffd
	v_add_co_ci_u32_e64 v79, null, s11, v5, vcc_lo
	;; [unrolled: 3-line block ×4, first 2 shown]
	s_add_nc_u64 s[8:9], s[0:1], 64
	s_wait_alu 0xfffe
	s_lshl_b64 s[10:11], s[20:21], 1
	s_add_nc_u64 s[20:21], s[16:17], 0x7f
.LBB103_53:                             ; =>This Inner Loop Header: Depth=1
	s_wait_alu 0xfffe
	v_cmp_ge_i64_e64 s2, s[20:21], s[4:5]
	v_add_co_u32 v86, s22, v49, s20
	s_wait_alu 0xf1ff
	v_add_co_ci_u32_e64 v87, null, 0, s21, s22
                                        ; implicit-def: $vgpr55
                                        ; implicit-def: $vgpr10
	s_and_b32 vcc_lo, exec_lo, s2
	s_mov_b32 s2, -1
	s_wait_alu 0xfffe
	s_cbranch_vccz .LBB103_75
; %bb.54:                               ;   in Loop: Header=BB103_53 Depth=1
	s_load_b32 s2, s[8:9], 0xc
	v_dual_mov_b32 v88, 0 :: v_dual_mov_b32 v55, 0
	s_wait_kmcnt 0x0
	s_and_b32 s2, s2, 0xffff
	s_wait_alu 0xfffe
	v_mad_u32_u24 v2, v48, s2, v50
	s_mov_b32 s2, exec_lo
	s_delay_alu instid0(VALU_DEP_1) | instskip(NEXT) | instid1(VALU_DEP_1)
	v_and_b32_e32 v2, 31, v2
	v_cmpx_gt_u32_e32 8, v2
	s_cbranch_execz .LBB103_58
; %bb.55:                               ;   in Loop: Header=BB103_53 Depth=1
	v_add_co_u32 v2, vcc_lo, v86, v2
	s_wait_alu 0xfffd
	v_add_co_ci_u32_e64 v3, null, 0, v87, vcc_lo
	v_dual_mov_b32 v55, 0 :: v_dual_mov_b32 v88, 0
	s_delay_alu instid0(VALU_DEP_3) | instskip(SKIP_1) | instid1(VALU_DEP_3)
	v_add_co_u32 v2, vcc_lo, 0xffffff81, v2
	s_wait_alu 0xfffd
	v_add_co_ci_u32_e64 v3, null, -1, v3, vcc_lo
	s_mov_b32 s22, exec_lo
	v_cmpx_gt_i64_e64 s[4:5], v[2:3]
	s_cbranch_execz .LBB103_57
; %bb.56:                               ;   in Loop: Header=BB103_53 Depth=1
	v_lshlrev_b64_e32 v[2:3], 2, v[2:3]
	s_delay_alu instid0(VALU_DEP_1) | instskip(SKIP_1) | instid1(VALU_DEP_2)
	v_add_co_u32 v4, vcc_lo, s12, v2
	s_wait_alu 0xfffd
	v_add_co_ci_u32_e64 v5, null, s13, v3, vcc_lo
	v_add_co_u32 v2, vcc_lo, s14, v2
	s_wait_alu 0xfffd
	v_add_co_ci_u32_e64 v3, null, s15, v3, vcc_lo
	global_load_b32 v55, v[4:5], off
	global_load_b32 v88, v[2:3], off
.LBB103_57:                             ;   in Loop: Header=BB103_53 Depth=1
	s_wait_alu 0xfffe
	s_or_b32 exec_lo, exec_lo, s22
.LBB103_58:                             ;   in Loop: Header=BB103_53 Depth=1
	s_wait_alu 0xfffe
	s_or_b32 exec_lo, exec_lo, s2
	v_add_co_u32 v9, vcc_lo, 0xffffff81, v86
	s_wait_alu 0xfffd
	v_add_co_ci_u32_e64 v10, null, -1, v87, vcc_lo
	v_mov_b32_e32 v8, v1
	v_dual_mov_b32 v2, v1 :: v_dual_mov_b32 v3, v1
	v_dual_mov_b32 v4, v1 :: v_dual_mov_b32 v5, v1
	;; [unrolled: 1-line block ×3, first 2 shown]
	v_cmp_gt_i64_e32 vcc_lo, s[4:5], v[9:10]
	s_delay_alu instid0(VALU_DEP_3) | instskip(NEXT) | instid1(VALU_DEP_3)
	v_dual_mov_b32 v17, v8 :: v_dual_mov_b32 v14, v5
	v_dual_mov_b32 v15, v6 :: v_dual_mov_b32 v16, v7
	v_dual_mov_b32 v13, v4 :: v_dual_mov_b32 v12, v3
	v_dual_mov_b32 v11, v2 :: v_dual_mov_b32 v10, v1
	v_mov_b32_e32 v9, v8
	v_mov_b32_e32 v8, v7
	;; [unrolled: 1-line block ×8, first 2 shown]
	s_and_saveexec_b32 s2, vcc_lo
	s_cbranch_execz .LBB103_60
; %bb.59:                               ;   in Loop: Header=BB103_53 Depth=1
	v_add_co_u32 v2, vcc_lo, v51, v18
	s_wait_alu 0xfffd
	v_add_co_ci_u32_e64 v3, null, v52, v19, vcc_lo
	v_add_co_u32 v4, vcc_lo, v53, v18
	s_wait_alu 0xfffd
	v_add_co_ci_u32_e64 v5, null, v54, v19, vcc_lo
	global_load_u16 v2, v[2:3], off
	global_load_u16 v10, v[4:5], off
	v_dual_mov_b32 v3, v1 :: v_dual_mov_b32 v4, v1
	v_dual_mov_b32 v5, v1 :: v_dual_mov_b32 v6, v1
	;; [unrolled: 1-line block ×6, first 2 shown]
	v_mov_b32_e32 v15, v1
	s_wait_loadcnt 0x1
	v_dual_mov_b32 v17, v1 :: v_dual_lshlrev_b32 v2, 16, v2
	s_wait_loadcnt 0x0
	v_lshlrev_b32_e32 v10, 16, v10
.LBB103_60:                             ;   in Loop: Header=BB103_53 Depth=1
	s_wait_alu 0xfffe
	s_or_b32 exec_lo, exec_lo, s2
	v_add_co_u32 v89, vcc_lo, 0xffffff82, v86
	s_wait_alu 0xfffd
	v_add_co_ci_u32_e64 v90, null, -1, v87, vcc_lo
	s_mov_b32 s2, exec_lo
	v_cmpx_gt_i64_e64 s[4:5], v[89:90]
	s_cbranch_execz .LBB103_62
; %bb.61:                               ;   in Loop: Header=BB103_53 Depth=1
	v_add_co_u32 v89, vcc_lo, v80, v18
	s_wait_alu 0xfffd
	v_add_co_ci_u32_e64 v90, null, v81, v19, vcc_lo
	v_add_co_u32 v91, vcc_lo, v82, v18
	s_wait_alu 0xfffd
	v_add_co_ci_u32_e64 v92, null, v83, v19, vcc_lo
	global_load_u16 v3, v[89:90], off
	global_load_u16 v11, v[91:92], off
	s_wait_loadcnt 0x1
	v_lshlrev_b32_e32 v3, 16, v3
	s_wait_loadcnt 0x0
	v_lshlrev_b32_e32 v11, 16, v11
.LBB103_62:                             ;   in Loop: Header=BB103_53 Depth=1
	s_wait_alu 0xfffe
	s_or_b32 exec_lo, exec_lo, s2
	v_add_co_u32 v89, vcc_lo, 0xffffff83, v86
	s_wait_alu 0xfffd
	v_add_co_ci_u32_e64 v90, null, -1, v87, vcc_lo
	s_mov_b32 s2, exec_lo
	v_cmpx_gt_i64_e64 s[4:5], v[89:90]
	s_cbranch_execz .LBB103_64
; %bb.63:                               ;   in Loop: Header=BB103_53 Depth=1
	v_add_co_u32 v89, vcc_lo, v76, v18
	s_wait_alu 0xfffd
	v_add_co_ci_u32_e64 v90, null, v77, v19, vcc_lo
	v_add_co_u32 v91, vcc_lo, v78, v18
	s_wait_alu 0xfffd
	v_add_co_ci_u32_e64 v92, null, v79, v19, vcc_lo
	global_load_u16 v4, v[89:90], off
	global_load_u16 v12, v[91:92], off
	s_wait_loadcnt 0x1
	v_lshlrev_b32_e32 v4, 16, v4
	s_wait_loadcnt 0x0
	v_lshlrev_b32_e32 v12, 16, v12
.LBB103_64:                             ;   in Loop: Header=BB103_53 Depth=1
	s_wait_alu 0xfffe
	s_or_b32 exec_lo, exec_lo, s2
	v_add_co_u32 v89, vcc_lo, 0xffffff84, v86
	s_wait_alu 0xfffd
	v_add_co_ci_u32_e64 v90, null, -1, v87, vcc_lo
	s_mov_b32 s2, exec_lo
	v_cmpx_gt_i64_e64 s[4:5], v[89:90]
	s_cbranch_execz .LBB103_66
; %bb.65:                               ;   in Loop: Header=BB103_53 Depth=1
	v_add_co_u32 v89, vcc_lo, v72, v18
	s_wait_alu 0xfffd
	v_add_co_ci_u32_e64 v90, null, v73, v19, vcc_lo
	v_add_co_u32 v91, vcc_lo, v74, v18
	s_wait_alu 0xfffd
	v_add_co_ci_u32_e64 v92, null, v75, v19, vcc_lo
	global_load_u16 v5, v[89:90], off
	global_load_u16 v13, v[91:92], off
	s_wait_loadcnt 0x1
	v_lshlrev_b32_e32 v5, 16, v5
	s_wait_loadcnt 0x0
	v_lshlrev_b32_e32 v13, 16, v13
.LBB103_66:                             ;   in Loop: Header=BB103_53 Depth=1
	s_wait_alu 0xfffe
	s_or_b32 exec_lo, exec_lo, s2
	v_add_co_u32 v89, vcc_lo, 0xffffff85, v86
	s_wait_alu 0xfffd
	v_add_co_ci_u32_e64 v90, null, -1, v87, vcc_lo
	s_mov_b32 s2, exec_lo
	v_cmpx_gt_i64_e64 s[4:5], v[89:90]
	s_cbranch_execz .LBB103_68
; %bb.67:                               ;   in Loop: Header=BB103_53 Depth=1
	v_add_co_u32 v89, vcc_lo, v68, v18
	s_wait_alu 0xfffd
	v_add_co_ci_u32_e64 v90, null, v69, v19, vcc_lo
	v_add_co_u32 v91, vcc_lo, v70, v18
	s_wait_alu 0xfffd
	v_add_co_ci_u32_e64 v92, null, v71, v19, vcc_lo
	global_load_u16 v6, v[89:90], off
	global_load_u16 v14, v[91:92], off
	s_wait_loadcnt 0x1
	v_lshlrev_b32_e32 v6, 16, v6
	s_wait_loadcnt 0x0
	v_lshlrev_b32_e32 v14, 16, v14
.LBB103_68:                             ;   in Loop: Header=BB103_53 Depth=1
	s_wait_alu 0xfffe
	s_or_b32 exec_lo, exec_lo, s2
	v_add_co_u32 v89, vcc_lo, 0xffffff86, v86
	s_wait_alu 0xfffd
	v_add_co_ci_u32_e64 v90, null, -1, v87, vcc_lo
	s_mov_b32 s2, exec_lo
	v_cmpx_gt_i64_e64 s[4:5], v[89:90]
	s_cbranch_execz .LBB103_70
; %bb.69:                               ;   in Loop: Header=BB103_53 Depth=1
	v_add_co_u32 v89, vcc_lo, v64, v18
	s_wait_alu 0xfffd
	v_add_co_ci_u32_e64 v90, null, v65, v19, vcc_lo
	v_add_co_u32 v91, vcc_lo, v66, v18
	s_wait_alu 0xfffd
	v_add_co_ci_u32_e64 v92, null, v67, v19, vcc_lo
	global_load_u16 v7, v[89:90], off
	global_load_u16 v15, v[91:92], off
	s_wait_loadcnt 0x1
	v_lshlrev_b32_e32 v7, 16, v7
	s_wait_loadcnt 0x0
	v_lshlrev_b32_e32 v15, 16, v15
.LBB103_70:                             ;   in Loop: Header=BB103_53 Depth=1
	s_wait_alu 0xfffe
	s_or_b32 exec_lo, exec_lo, s2
	v_add_co_u32 v89, vcc_lo, 0xffffff87, v86
	s_wait_alu 0xfffd
	v_add_co_ci_u32_e64 v90, null, -1, v87, vcc_lo
	s_mov_b32 s2, exec_lo
	v_cmpx_gt_i64_e64 s[4:5], v[89:90]
	s_cbranch_execz .LBB103_72
; %bb.71:                               ;   in Loop: Header=BB103_53 Depth=1
	v_add_co_u32 v89, vcc_lo, v60, v18
	s_wait_alu 0xfffd
	v_add_co_ci_u32_e64 v90, null, v61, v19, vcc_lo
	v_add_co_u32 v91, vcc_lo, v62, v18
	s_wait_alu 0xfffd
	v_add_co_ci_u32_e64 v92, null, v63, v19, vcc_lo
	global_load_u16 v8, v[89:90], off
	global_load_u16 v16, v[91:92], off
	s_wait_loadcnt 0x1
	v_lshlrev_b32_e32 v8, 16, v8
	s_wait_loadcnt 0x0
	v_lshlrev_b32_e32 v16, 16, v16
.LBB103_72:                             ;   in Loop: Header=BB103_53 Depth=1
	s_wait_alu 0xfffe
	s_or_b32 exec_lo, exec_lo, s2
	v_add_co_u32 v89, vcc_lo, 0xffffff88, v86
	s_wait_alu 0xfffd
	v_add_co_ci_u32_e64 v90, null, -1, v87, vcc_lo
	s_mov_b32 s2, exec_lo
	v_cmpx_gt_i64_e64 s[4:5], v[89:90]
	s_cbranch_execz .LBB103_74
; %bb.73:                               ;   in Loop: Header=BB103_53 Depth=1
	v_add_co_u32 v89, vcc_lo, v56, v18
	s_wait_alu 0xfffd
	v_add_co_ci_u32_e64 v90, null, v57, v19, vcc_lo
	v_add_co_u32 v91, vcc_lo, v58, v18
	s_wait_alu 0xfffd
	v_add_co_ci_u32_e64 v92, null, v59, v19, vcc_lo
	global_load_u16 v9, v[89:90], off
	global_load_u16 v17, v[91:92], off
	s_wait_loadcnt 0x1
	v_lshlrev_b32_e32 v9, 16, v9
	s_wait_loadcnt 0x0
	v_lshlrev_b32_e32 v17, 16, v17
.LBB103_74:                             ;   in Loop: Header=BB103_53 Depth=1
	s_wait_alu 0xfffe
	s_or_b32 exec_lo, exec_lo, s2
	s_wait_loadcnt 0x1
	ds_bpermute_b32 v90, v1, v55
	s_wait_loadcnt 0x0
	ds_bpermute_b32 v89, v1, v88
	s_mov_b32 s2, 0
	s_wait_dscnt 0x1
	v_sub_f32_e32 v10, v10, v90
	ds_bpermute_b32 v90, v1, v55 offset:4
	s_wait_dscnt 0x0
	v_sub_f32_e32 v11, v11, v90
	s_delay_alu instid0(VALU_DEP_1) | instskip(NEXT) | instid1(VALU_DEP_1)
	v_dual_mul_f32 v11, v3, v11 :: v_dual_mul_f32 v10, v2, v10
	v_fma_f32 v10, v10, v89, v84
	ds_bpermute_b32 v89, v1, v88 offset:4
	s_wait_dscnt 0x0
	v_fmac_f32_e32 v10, v11, v89
	ds_bpermute_b32 v11, v1, v55 offset:8
	s_wait_dscnt 0x0
	v_dual_sub_f32 v11, v12, v11 :: v_dual_add_f32 v2, v85, v2
	s_delay_alu instid0(VALU_DEP_1) | instskip(SKIP_4) | instid1(VALU_DEP_1)
	v_dual_mul_f32 v11, v4, v11 :: v_dual_add_f32 v2, v3, v2
	ds_bpermute_b32 v3, v1, v88 offset:8
	v_add_f32_e32 v2, v4, v2
	ds_bpermute_b32 v4, v1, v55 offset:12
	v_add_f32_e32 v2, v5, v2
	v_add_f32_e32 v2, v6, v2
	s_delay_alu instid0(VALU_DEP_1)
	v_add_f32_e32 v2, v7, v2
	s_wait_dscnt 0x1
	v_fmac_f32_e32 v10, v11, v3
	ds_bpermute_b32 v3, v1, v88 offset:12
	v_add_f32_e32 v2, v8, v2
	s_wait_dscnt 0x1
	v_sub_f32_e32 v4, v13, v4
	s_delay_alu instid0(VALU_DEP_1) | instskip(SKIP_1) | instid1(VALU_DEP_1)
	v_mul_f32_e32 v4, v5, v4
	s_wait_dscnt 0x0
	v_fmac_f32_e32 v10, v4, v3
	ds_bpermute_b32 v4, v1, v55 offset:16
	ds_bpermute_b32 v3, v1, v88 offset:16
	s_wait_dscnt 0x1
	v_sub_f32_e32 v4, v14, v4
	s_delay_alu instid0(VALU_DEP_1) | instskip(SKIP_1) | instid1(VALU_DEP_1)
	v_mul_f32_e32 v4, v6, v4
	s_wait_dscnt 0x0
	v_fmac_f32_e32 v10, v4, v3
	ds_bpermute_b32 v4, v1, v55 offset:20
	ds_bpermute_b32 v3, v1, v88 offset:20
	s_wait_dscnt 0x1
	v_sub_f32_e32 v4, v15, v4
	s_delay_alu instid0(VALU_DEP_1) | instskip(SKIP_1) | instid1(VALU_DEP_1)
	v_mul_f32_e32 v4, v7, v4
	s_wait_dscnt 0x0
	v_fmac_f32_e32 v10, v4, v3
	ds_bpermute_b32 v4, v1, v55 offset:24
	ds_bpermute_b32 v3, v1, v88 offset:24
	s_wait_dscnt 0x1
	v_sub_f32_e32 v4, v16, v4
	s_delay_alu instid0(VALU_DEP_1) | instskip(SKIP_1) | instid1(VALU_DEP_1)
	v_mul_f32_e32 v4, v8, v4
	s_wait_dscnt 0x0
	v_fmac_f32_e32 v10, v4, v3
	ds_bpermute_b32 v4, v1, v55 offset:28
	ds_bpermute_b32 v3, v1, v88 offset:28
	v_add_f32_e32 v55, v9, v2
	s_wait_dscnt 0x1
	v_sub_f32_e32 v4, v17, v4
	s_delay_alu instid0(VALU_DEP_1) | instskip(SKIP_1) | instid1(VALU_DEP_1)
	v_mul_f32_e32 v4, v9, v4
	s_wait_dscnt 0x0
	v_fmac_f32_e32 v10, v4, v3
.LBB103_75:                             ;   in Loop: Header=BB103_53 Depth=1
	s_wait_alu 0xfffe
	s_and_b32 vcc_lo, exec_lo, s2
	s_wait_alu 0xfffe
	s_cbranch_vccz .LBB103_81
; %bb.76:                               ;   in Loop: Header=BB103_53 Depth=1
	s_load_b32 s2, s[8:9], 0x0
	v_dual_mov_b32 v4, 0 :: v_dual_mov_b32 v5, 0
	s_wait_kmcnt 0x0
	s_cmp_lt_u32 ttmp9, s2
	s_cselect_b32 s2, 12, 18
	s_wait_alu 0xfffe
	s_add_nc_u64 s[22:23], s[8:9], s[2:3]
	s_load_u16 s2, s[22:23], 0x0
	s_wait_kmcnt 0x0
	v_mad_u32_u24 v2, v48, s2, v50
	s_mov_b32 s2, exec_lo
	s_delay_alu instid0(VALU_DEP_1) | instskip(NEXT) | instid1(VALU_DEP_1)
	v_and_b32_e32 v2, 31, v2
	v_cmpx_gt_u32_e32 8, v2
	s_cbranch_execz .LBB103_80
; %bb.77:                               ;   in Loop: Header=BB103_53 Depth=1
	v_add_co_u32 v2, vcc_lo, v86, v2
	s_wait_alu 0xfffd
	v_add_co_ci_u32_e64 v3, null, 0, v87, vcc_lo
	v_dual_mov_b32 v4, 0 :: v_dual_mov_b32 v5, 0
	s_delay_alu instid0(VALU_DEP_3) | instskip(SKIP_1) | instid1(VALU_DEP_3)
	v_add_co_u32 v2, vcc_lo, 0xffffff81, v2
	s_wait_alu 0xfffd
	v_add_co_ci_u32_e64 v3, null, -1, v3, vcc_lo
	s_mov_b32 s22, exec_lo
	v_cmpx_gt_i64_e64 s[4:5], v[2:3]
	s_cbranch_execz .LBB103_79
; %bb.78:                               ;   in Loop: Header=BB103_53 Depth=1
	v_lshlrev_b64_e32 v[2:3], 2, v[2:3]
	s_delay_alu instid0(VALU_DEP_1) | instskip(SKIP_1) | instid1(VALU_DEP_2)
	v_add_co_u32 v4, vcc_lo, s12, v2
	s_wait_alu 0xfffd
	v_add_co_ci_u32_e64 v5, null, s13, v3, vcc_lo
	v_add_co_u32 v2, vcc_lo, s14, v2
	s_wait_alu 0xfffd
	v_add_co_ci_u32_e64 v3, null, s15, v3, vcc_lo
	global_load_b32 v4, v[4:5], off
	global_load_b32 v5, v[2:3], off
.LBB103_79:                             ;   in Loop: Header=BB103_53 Depth=1
	s_wait_alu 0xfffe
	s_or_b32 exec_lo, exec_lo, s22
.LBB103_80:                             ;   in Loop: Header=BB103_53 Depth=1
	s_wait_alu 0xfffe
	s_or_b32 exec_lo, exec_lo, s2
	v_add_co_u32 v2, vcc_lo, v51, v18
	s_wait_alu 0xfffd
	v_add_co_ci_u32_e64 v3, null, v52, v19, vcc_lo
	s_wait_loadcnt 0x1
	ds_bpermute_b32 v88, v1, v4
	global_load_u16 v2, v[2:3], off
	s_wait_loadcnt 0x0
	v_lshlrev_b32_e32 v6, 16, v2
	v_add_co_u32 v2, vcc_lo, v53, v18
	s_wait_alu 0xfffd
	v_add_co_ci_u32_e64 v3, null, v54, v19, vcc_lo
	global_load_u16 v2, v[2:3], off
	s_wait_loadcnt 0x0
	v_lshlrev_b32_e32 v7, 16, v2
	v_add_co_u32 v2, vcc_lo, v20, v18
	s_wait_alu 0xfffd
	v_add_co_ci_u32_e64 v3, null, v21, v19, vcc_lo
	s_wait_dscnt 0x0
	v_sub_f32_e32 v7, v7, v88
	global_load_u16 v2, v[2:3], off
	v_mul_f32_e32 v7, v7, v6
	s_wait_loadcnt 0x0
	v_lshlrev_b32_e32 v8, 16, v2
	v_add_co_u32 v2, vcc_lo, v34, v18
	s_wait_alu 0xfffd
	v_add_co_ci_u32_e64 v3, null, v35, v19, vcc_lo
	global_load_u16 v2, v[2:3], off
	s_wait_loadcnt 0x0
	v_lshlrev_b32_e32 v9, 16, v2
	v_add_co_u32 v2, vcc_lo, v22, v18
	s_wait_alu 0xfffd
	v_add_co_ci_u32_e64 v3, null, v23, v19, vcc_lo
	global_load_u16 v2, v[2:3], off
	;; [unrolled: 6-line block ×13, first 2 shown]
	ds_bpermute_b32 v3, v1, v5
	s_wait_dscnt 0x0
	v_fmac_f32_e32 v84, v7, v3
	ds_bpermute_b32 v7, v1, v4 offset:4
	v_add_f32_e32 v3, v85, v6
	ds_bpermute_b32 v6, v1, v5 offset:4
	s_wait_dscnt 0x1
	v_sub_f32_e32 v7, v9, v7
	v_add_f32_e32 v3, v3, v8
	s_delay_alu instid0(VALU_DEP_2) | instskip(NEXT) | instid1(VALU_DEP_2)
	v_mul_f32_e32 v7, v7, v8
	v_add_f32_e32 v3, v3, v10
	s_wait_dscnt 0x0
	s_delay_alu instid0(VALU_DEP_2)
	v_fmac_f32_e32 v84, v7, v6
	ds_bpermute_b32 v7, v1, v4 offset:8
	ds_bpermute_b32 v6, v1, v5 offset:8
	v_add_f32_e32 v3, v3, v12
	s_wait_dscnt 0x1
	v_sub_f32_e32 v7, v11, v7
	s_delay_alu instid0(VALU_DEP_2) | instskip(NEXT) | instid1(VALU_DEP_2)
	v_add_f32_e32 v3, v3, v14
	v_mul_f32_e32 v7, v7, v10
	s_wait_dscnt 0x0
	s_delay_alu instid0(VALU_DEP_1)
	v_fmac_f32_e32 v84, v7, v6
	ds_bpermute_b32 v7, v1, v4 offset:12
	ds_bpermute_b32 v6, v1, v5 offset:12
	s_wait_dscnt 0x1
	v_sub_f32_e32 v7, v13, v7
	v_add_f32_e32 v3, v3, v16
	s_delay_alu instid0(VALU_DEP_2) | instskip(NEXT) | instid1(VALU_DEP_2)
	v_mul_f32_e32 v7, v7, v12
	v_add_f32_e32 v3, v3, v55
	s_wait_dscnt 0x0
	s_delay_alu instid0(VALU_DEP_2) | instskip(SKIP_4) | instid1(VALU_DEP_1)
	v_fmac_f32_e32 v84, v7, v6
	ds_bpermute_b32 v7, v1, v4 offset:16
	ds_bpermute_b32 v6, v1, v5 offset:16
	s_wait_dscnt 0x1
	v_sub_f32_e32 v7, v15, v7
	v_mul_f32_e32 v7, v7, v14
	s_wait_dscnt 0x0
	s_delay_alu instid0(VALU_DEP_1) | instskip(SKIP_4) | instid1(VALU_DEP_1)
	v_fmac_f32_e32 v84, v7, v6
	ds_bpermute_b32 v7, v1, v4 offset:20
	ds_bpermute_b32 v6, v1, v5 offset:20
	s_wait_dscnt 0x1
	v_sub_f32_e32 v7, v17, v7
	v_mul_f32_e32 v7, v7, v16
	s_wait_dscnt 0x0
	s_delay_alu instid0(VALU_DEP_1)
	v_fmac_f32_e32 v84, v7, v6
	ds_bpermute_b32 v7, v1, v4 offset:24
	ds_bpermute_b32 v4, v1, v4 offset:28
	;; [unrolled: 1-line block ×4, first 2 shown]
	s_wait_dscnt 0x3
	v_sub_f32_e32 v7, v86, v7
	s_delay_alu instid0(VALU_DEP_1) | instskip(SKIP_2) | instid1(VALU_DEP_2)
	v_mul_f32_e32 v7, v7, v55
	v_add_f32_e32 v55, v3, v87
	s_wait_dscnt 0x1
	v_fmac_f32_e32 v84, v7, v6
	s_wait_loadcnt 0x0
	v_lshlrev_b32_e32 v2, 16, v2
	s_delay_alu instid0(VALU_DEP_1) | instskip(NEXT) | instid1(VALU_DEP_1)
	v_sub_f32_e32 v2, v2, v4
	v_mul_f32_e32 v2, v2, v87
	s_wait_dscnt 0x0
	s_delay_alu instid0(VALU_DEP_1) | instskip(NEXT) | instid1(VALU_DEP_1)
	v_fmac_f32_e32 v84, v2, v5
	v_mov_b32_e32 v10, v84
.LBB103_81:                             ;   in Loop: Header=BB103_53 Depth=1
	v_add_co_u32 v51, vcc_lo, v51, s10
	s_wait_alu 0xfffd
	v_add_co_ci_u32_e64 v52, null, s11, v52, vcc_lo
	v_add_co_u32 v53, vcc_lo, v53, s10
	s_wait_alu 0xfffd
	v_add_co_ci_u32_e64 v54, null, s11, v54, vcc_lo
	;; [unrolled: 3-line block ×27, first 2 shown]
	v_add_co_u32 v78, vcc_lo, v78, s10
	s_add_nc_u64 s[16:17], s[16:17], s[18:19]
	s_wait_alu 0xfffd
	v_add_co_ci_u32_e64 v79, null, s11, v79, vcc_lo
	v_add_co_u32 v80, vcc_lo, v80, s10
	s_wait_alu 0xfffe
	v_cmp_ge_i64_e64 s2, s[16:17], s[4:5]
	s_wait_alu 0xfffd
	v_add_co_ci_u32_e64 v81, null, s11, v81, vcc_lo
	v_add_co_u32 v82, vcc_lo, v82, s10
	s_wait_alu 0xfffd
	v_add_co_ci_u32_e64 v83, null, s11, v83, vcc_lo
	s_and_b32 vcc_lo, exec_lo, s2
	s_add_nc_u64 s[20:21], s[20:21], s[18:19]
	s_wait_alu 0xfffe
	s_cbranch_vccnz .LBB103_83
; %bb.82:                               ;   in Loop: Header=BB103_53 Depth=1
	v_dual_mov_b32 v85, v55 :: v_dual_mov_b32 v84, v10
	s_branch .LBB103_53
.LBB103_83:
	v_and_b32_e32 v9, 0x3ff, v0
	v_bfe_u32 v0, v0, 10, 10
	s_mov_b32 s2, exec_lo
	s_delay_alu instid0(VALU_DEP_1) | instskip(NEXT) | instid1(VALU_DEP_1)
	v_mad_u32_u24 v1, 0x41, v0, v9
	v_lshl_add_u32 v2, v1, 2, 0
	v_sub_nc_u32_e32 v3, v1, v0
	ds_store_b32 v2, v10
	ds_store_b32 v2, v55 offset:4160
	s_wait_dscnt 0x0
	s_barrier_signal -1
	s_barrier_wait -1
	global_inv scope:SCOPE_SE
	v_cmpx_gt_u32_e32 0x800, v3
	s_cbranch_execz .LBB103_99
; %bb.84:
	s_load_b128 s[8:11], s[0:1], 0x30
	v_and_b32_e32 v0, 31, v9
	v_lshrrev_b32_e32 v2, 5, v3
                                        ; implicit-def: $vgpr1
	s_delay_alu instid0(VALU_DEP_2)
	v_cmp_gt_u32_e64 s0, 16, v0
	v_mul_u32_u24_e32 v4, 0x41, v0
                                        ; implicit-def: $vgpr0
	s_and_saveexec_b32 s1, s0
	s_cbranch_execz .LBB103_86
; %bb.85:
	s_delay_alu instid0(VALU_DEP_1) | instskip(NEXT) | instid1(VALU_DEP_1)
	v_add_nc_u32_e32 v0, v2, v4
	v_lshl_add_u32 v0, v0, 2, 0
	ds_load_b32 v1, v0
	ds_load_b32 v0, v0 offset:4160
.LBB103_86:
	s_or_b32 exec_lo, exec_lo, s1
	v_mbcnt_lo_u32_b32 v8, -1, 0
	s_mov_b32 s2, ttmp9
	s_mov_b32 s3, 0
	v_cmp_eq_u32_e64 s1, 0, v9
	s_wait_alu 0xfffe
	s_lshl_b64 s[2:3], s[2:3], 6
	v_xor_b32_e32 v5, 8, v8
	v_xor_b32_e32 v6, 4, v8
	;; [unrolled: 1-line block ×3, first 2 shown]
	s_wait_kmcnt 0x0
	s_cmp_lg_u64 s[8:9], 0
	s_cselect_b32 s5, -1, 0
	v_cmp_gt_i32_e32 vcc_lo, 32, v5
	s_cmp_lg_u64 s[10:11], 0
	s_cselect_b32 s4, -1, 0
	s_wait_alu 0xfffd
	v_cndmask_b32_e32 v5, v8, v5, vcc_lo
	v_cmp_gt_i32_e32 vcc_lo, 32, v6
	s_wait_alu 0xfffd
	v_cndmask_b32_e32 v6, v8, v6, vcc_lo
	s_delay_alu instid0(VALU_DEP_1)
	v_lshlrev_b32_e32 v6, 2, v6
	v_lshlrev_b32_e32 v5, 2, v5
	s_wait_dscnt 0x0
	ds_bpermute_b32 v10, v5, v0
	s_wait_dscnt 0x0
	v_add_f32_e32 v0, v0, v10
	ds_bpermute_b32 v7, v5, v1
	ds_bpermute_b32 v11, v6, v0
	s_wait_dscnt 0x1
	v_add_f32_e32 v1, v1, v7
	v_xor_b32_e32 v7, 2, v8
	s_wait_dscnt 0x0
	v_add_f32_e32 v0, v0, v11
	ds_bpermute_b32 v10, v6, v1
	v_cmp_gt_i32_e32 vcc_lo, 32, v7
	s_wait_alu 0xfffd
	v_cndmask_b32_e32 v7, v8, v7, vcc_lo
	v_cmp_gt_i32_e32 vcc_lo, 32, v12
	s_wait_alu 0xfffd
	v_cndmask_b32_e32 v8, v8, v12, vcc_lo
	s_wait_dscnt 0x0
	s_delay_alu instid0(VALU_DEP_1)
	v_dual_add_f32 v1, v1, v10 :: v_dual_lshlrev_b32 v8, 2, v8
	v_lshlrev_b32_e32 v7, 2, v7
	ds_bpermute_b32 v10, v7, v1
	s_wait_dscnt 0x0
	v_add_f32_e32 v10, v1, v10
	ds_bpermute_b32 v11, v7, v0
	s_wait_alu 0xfffe
	v_mov_b32_e32 v1, s3
	ds_bpermute_b32 v12, v8, v10
	s_wait_dscnt 0x1
	v_add_f32_e32 v11, v0, v11
	v_or_b32_e32 v0, s2, v2
	ds_bpermute_b32 v13, v8, v11
	v_cmp_gt_i64_e32 vcc_lo, s[6:7], v[0:1]
	s_wait_dscnt 0x1
	v_add_f32_e32 v9, v10, v12
	s_and_b32 s13, s1, vcc_lo
	s_wait_dscnt 0x0
	v_add_f32_e32 v10, v11, v13
	s_wait_alu 0xfffe
	s_and_saveexec_b32 s12, s13
	s_cbranch_execz .LBB103_91
; %bb.87:
	v_lshlrev_b64_e32 v[0:1], 1, v[0:1]
	s_and_not1_b32 vcc_lo, exec_lo, s5
	s_wait_alu 0xfffe
	s_cbranch_vccnz .LBB103_89
; %bb.88:
	v_bfe_u32 v11, v9, 16, 1
	v_cmp_o_f32_e32 vcc_lo, v9, v9
	s_delay_alu instid0(VALU_DEP_2) | instskip(NEXT) | instid1(VALU_DEP_1)
	v_add3_u32 v11, v9, v11, 0x7fff
	v_lshrrev_b32_e32 v11, 16, v11
	s_wait_alu 0xfffd
	s_delay_alu instid0(VALU_DEP_1)
	v_cndmask_b32_e32 v13, 0x7fc0, v11, vcc_lo
	v_add_co_u32 v11, vcc_lo, s8, v0
	s_wait_alu 0xfffd
	v_add_co_ci_u32_e64 v12, null, s9, v1, vcc_lo
	global_store_b16 v[11:12], v13, off
.LBB103_89:
	s_and_not1_b32 vcc_lo, exec_lo, s4
	s_wait_alu 0xfffe
	s_cbranch_vccnz .LBB103_91
; %bb.90:
	v_bfe_u32 v11, v10, 16, 1
	v_cmp_o_f32_e32 vcc_lo, v10, v10
	s_delay_alu instid0(VALU_DEP_2) | instskip(NEXT) | instid1(VALU_DEP_1)
	v_add3_u32 v11, v10, v11, 0x7fff
	v_lshrrev_b32_e32 v11, 16, v11
	s_wait_alu 0xfffd
	s_delay_alu instid0(VALU_DEP_1)
	v_cndmask_b32_e32 v11, 0x7fc0, v11, vcc_lo
	v_add_co_u32 v0, vcc_lo, s10, v0
	s_wait_alu 0xfffd
	v_add_co_ci_u32_e64 v1, null, s11, v1, vcc_lo
	global_store_b16 v[0:1], v11, off
.LBB103_91:
	s_wait_alu 0xfffe
	s_or_b32 exec_lo, exec_lo, s12
	v_cmp_gt_u32_e32 vcc_lo, 0x400, v3
	s_and_b32 exec_lo, exec_lo, vcc_lo
	s_cbranch_execz .LBB103_99
; %bb.92:
	s_and_saveexec_b32 s12, s0
	s_cbranch_execz .LBB103_94
; %bb.93:
	v_add_nc_u32_e32 v0, v2, v4
	s_delay_alu instid0(VALU_DEP_1)
	v_lshl_add_u32 v0, v0, 2, 0
	ds_load_b32 v9, v0 offset:128
	ds_load_b32 v10, v0 offset:4288
.LBB103_94:
	s_wait_alu 0xfffe
	s_or_b32 exec_lo, exec_lo, s12
	s_wait_dscnt 0x1
	ds_bpermute_b32 v0, v5, v9
	s_wait_dscnt 0x1
	ds_bpermute_b32 v1, v5, v10
	s_wait_dscnt 0x1
	v_dual_add_f32 v0, v9, v0 :: v_dual_add_nc_u32 v5, 32, v2
	s_wait_dscnt 0x0
	v_add_f32_e32 v1, v10, v1
	ds_bpermute_b32 v3, v6, v0
	ds_bpermute_b32 v4, v6, v1
	v_mov_b32_e32 v6, s3
	v_or_b32_e32 v5, s2, v5
	s_delay_alu instid0(VALU_DEP_1)
	v_cmp_gt_i64_e32 vcc_lo, s[6:7], v[5:6]
	s_and_b32 s0, s1, vcc_lo
	s_wait_dscnt 0x0
	v_dual_add_f32 v0, v0, v3 :: v_dual_add_f32 v1, v1, v4
	ds_bpermute_b32 v3, v7, v0
	ds_bpermute_b32 v4, v7, v1
	s_wait_dscnt 0x0
	v_dual_add_f32 v3, v0, v3 :: v_dual_add_f32 v0, v1, v4
	ds_bpermute_b32 v4, v8, v3
	ds_bpermute_b32 v1, v8, v0
	s_and_b32 exec_lo, exec_lo, s0
	s_cbranch_execz .LBB103_99
; %bb.95:
	s_and_not1_b32 vcc_lo, exec_lo, s5
	s_wait_alu 0xfffe
	s_cbranch_vccnz .LBB103_97
; %bb.96:
	s_wait_dscnt 0x1
	v_add_f32_e32 v5, v3, v4
	s_delay_alu instid0(VALU_DEP_1) | instskip(SKIP_1) | instid1(VALU_DEP_2)
	v_bfe_u32 v3, v5, 16, 1
	v_cmp_o_f32_e32 vcc_lo, v5, v5
	v_add3_u32 v6, v5, v3, 0x7fff
	v_add_co_u32 v3, s0, s2, v2
	s_delay_alu instid0(VALU_DEP_1) | instskip(NEXT) | instid1(VALU_DEP_3)
	v_add_co_ci_u32_e64 v4, null, s3, 0, s0
	v_lshrrev_b32_e32 v6, 16, v6
	s_delay_alu instid0(VALU_DEP_2) | instskip(SKIP_1) | instid1(VALU_DEP_2)
	v_lshlrev_b64_e32 v[3:4], 1, v[3:4]
	s_wait_alu 0xfffd
	v_cndmask_b32_e32 v5, 0x7fc0, v6, vcc_lo
	s_delay_alu instid0(VALU_DEP_2) | instskip(SKIP_1) | instid1(VALU_DEP_3)
	v_add_co_u32 v3, vcc_lo, s8, v3
	s_wait_alu 0xfffd
	v_add_co_ci_u32_e64 v4, null, s9, v4, vcc_lo
	global_store_b16 v[3:4], v5, off offset:64
.LBB103_97:
	s_and_not1_b32 vcc_lo, exec_lo, s4
	s_wait_alu 0xfffe
	s_cbranch_vccnz .LBB103_99
; %bb.98:
	s_wait_dscnt 0x0
	v_add_f32_e32 v3, v0, v1
	s_delay_alu instid0(VALU_DEP_1) | instskip(SKIP_1) | instid1(VALU_DEP_2)
	v_bfe_u32 v0, v3, 16, 1
	v_cmp_o_f32_e32 vcc_lo, v3, v3
	v_add3_u32 v4, v3, v0, 0x7fff
	v_add_co_u32 v0, s0, s2, v2
	s_wait_alu 0xf1ff
	v_add_co_ci_u32_e64 v1, null, s3, 0, s0
	s_delay_alu instid0(VALU_DEP_3) | instskip(NEXT) | instid1(VALU_DEP_2)
	v_lshrrev_b32_e32 v2, 16, v4
	v_lshlrev_b64_e32 v[0:1], 1, v[0:1]
	s_wait_alu 0xfffd
	s_delay_alu instid0(VALU_DEP_2) | instskip(NEXT) | instid1(VALU_DEP_2)
	v_cndmask_b32_e32 v2, 0x7fc0, v2, vcc_lo
	v_add_co_u32 v0, vcc_lo, s10, v0
	s_wait_alu 0xfffd
	s_delay_alu instid0(VALU_DEP_3)
	v_add_co_ci_u32_e64 v1, null, s11, v1, vcc_lo
	global_store_b16 v[0:1], v2, off offset:64
.LBB103_99:
	s_endpgm
	.section	.rodata,"a",@progbits
	.p2align	6, 0x0
	.amdhsa_kernel _ZN2at6native12_GLOBAL__N_135GammaBetaBackwardCUDAKernelTemplateIN3c108BFloat16EfLj64ELj16ELj128ELb0ELb0ELb0EEEvllPKT_S7_PKT0_SA_PS5_SB_
		.amdhsa_group_segment_fixed_size 0
		.amdhsa_private_segment_fixed_size 0
		.amdhsa_kernarg_size 320
		.amdhsa_user_sgpr_count 2
		.amdhsa_user_sgpr_dispatch_ptr 0
		.amdhsa_user_sgpr_queue_ptr 0
		.amdhsa_user_sgpr_kernarg_segment_ptr 1
		.amdhsa_user_sgpr_dispatch_id 0
		.amdhsa_user_sgpr_private_segment_size 0
		.amdhsa_wavefront_size32 1
		.amdhsa_uses_dynamic_stack 0
		.amdhsa_enable_private_segment 0
		.amdhsa_system_sgpr_workgroup_id_x 1
		.amdhsa_system_sgpr_workgroup_id_y 1
		.amdhsa_system_sgpr_workgroup_id_z 0
		.amdhsa_system_sgpr_workgroup_info 0
		.amdhsa_system_vgpr_workitem_id 1
		.amdhsa_next_free_vgpr 93
		.amdhsa_next_free_sgpr 36
		.amdhsa_reserve_vcc 1
		.amdhsa_float_round_mode_32 0
		.amdhsa_float_round_mode_16_64 0
		.amdhsa_float_denorm_mode_32 3
		.amdhsa_float_denorm_mode_16_64 3
		.amdhsa_fp16_overflow 0
		.amdhsa_workgroup_processor_mode 1
		.amdhsa_memory_ordered 1
		.amdhsa_forward_progress 1
		.amdhsa_inst_pref_size 87
		.amdhsa_round_robin_scheduling 0
		.amdhsa_exception_fp_ieee_invalid_op 0
		.amdhsa_exception_fp_denorm_src 0
		.amdhsa_exception_fp_ieee_div_zero 0
		.amdhsa_exception_fp_ieee_overflow 0
		.amdhsa_exception_fp_ieee_underflow 0
		.amdhsa_exception_fp_ieee_inexact 0
		.amdhsa_exception_int_div_zero 0
	.end_amdhsa_kernel
	.section	.text._ZN2at6native12_GLOBAL__N_135GammaBetaBackwardCUDAKernelTemplateIN3c108BFloat16EfLj64ELj16ELj128ELb0ELb0ELb0EEEvllPKT_S7_PKT0_SA_PS5_SB_,"axG",@progbits,_ZN2at6native12_GLOBAL__N_135GammaBetaBackwardCUDAKernelTemplateIN3c108BFloat16EfLj64ELj16ELj128ELb0ELb0ELb0EEEvllPKT_S7_PKT0_SA_PS5_SB_,comdat
.Lfunc_end103:
	.size	_ZN2at6native12_GLOBAL__N_135GammaBetaBackwardCUDAKernelTemplateIN3c108BFloat16EfLj64ELj16ELj128ELb0ELb0ELb0EEEvllPKT_S7_PKT0_SA_PS5_SB_, .Lfunc_end103-_ZN2at6native12_GLOBAL__N_135GammaBetaBackwardCUDAKernelTemplateIN3c108BFloat16EfLj64ELj16ELj128ELb0ELb0ELb0EEEvllPKT_S7_PKT0_SA_PS5_SB_
                                        ; -- End function
	.set _ZN2at6native12_GLOBAL__N_135GammaBetaBackwardCUDAKernelTemplateIN3c108BFloat16EfLj64ELj16ELj128ELb0ELb0ELb0EEEvllPKT_S7_PKT0_SA_PS5_SB_.num_vgpr, 93
	.set _ZN2at6native12_GLOBAL__N_135GammaBetaBackwardCUDAKernelTemplateIN3c108BFloat16EfLj64ELj16ELj128ELb0ELb0ELb0EEEvllPKT_S7_PKT0_SA_PS5_SB_.num_agpr, 0
	.set _ZN2at6native12_GLOBAL__N_135GammaBetaBackwardCUDAKernelTemplateIN3c108BFloat16EfLj64ELj16ELj128ELb0ELb0ELb0EEEvllPKT_S7_PKT0_SA_PS5_SB_.numbered_sgpr, 36
	.set _ZN2at6native12_GLOBAL__N_135GammaBetaBackwardCUDAKernelTemplateIN3c108BFloat16EfLj64ELj16ELj128ELb0ELb0ELb0EEEvllPKT_S7_PKT0_SA_PS5_SB_.num_named_barrier, 0
	.set _ZN2at6native12_GLOBAL__N_135GammaBetaBackwardCUDAKernelTemplateIN3c108BFloat16EfLj64ELj16ELj128ELb0ELb0ELb0EEEvllPKT_S7_PKT0_SA_PS5_SB_.private_seg_size, 0
	.set _ZN2at6native12_GLOBAL__N_135GammaBetaBackwardCUDAKernelTemplateIN3c108BFloat16EfLj64ELj16ELj128ELb0ELb0ELb0EEEvllPKT_S7_PKT0_SA_PS5_SB_.uses_vcc, 1
	.set _ZN2at6native12_GLOBAL__N_135GammaBetaBackwardCUDAKernelTemplateIN3c108BFloat16EfLj64ELj16ELj128ELb0ELb0ELb0EEEvllPKT_S7_PKT0_SA_PS5_SB_.uses_flat_scratch, 0
	.set _ZN2at6native12_GLOBAL__N_135GammaBetaBackwardCUDAKernelTemplateIN3c108BFloat16EfLj64ELj16ELj128ELb0ELb0ELb0EEEvllPKT_S7_PKT0_SA_PS5_SB_.has_dyn_sized_stack, 0
	.set _ZN2at6native12_GLOBAL__N_135GammaBetaBackwardCUDAKernelTemplateIN3c108BFloat16EfLj64ELj16ELj128ELb0ELb0ELb0EEEvllPKT_S7_PKT0_SA_PS5_SB_.has_recursion, 0
	.set _ZN2at6native12_GLOBAL__N_135GammaBetaBackwardCUDAKernelTemplateIN3c108BFloat16EfLj64ELj16ELj128ELb0ELb0ELb0EEEvllPKT_S7_PKT0_SA_PS5_SB_.has_indirect_call, 0
	.section	.AMDGPU.csdata,"",@progbits
; Kernel info:
; codeLenInByte = 11020
; TotalNumSgprs: 38
; NumVgprs: 93
; ScratchSize: 0
; MemoryBound: 0
; FloatMode: 240
; IeeeMode: 1
; LDSByteSize: 0 bytes/workgroup (compile time only)
; SGPRBlocks: 0
; VGPRBlocks: 11
; NumSGPRsForWavesPerEU: 38
; NumVGPRsForWavesPerEU: 93
; Occupancy: 16
; WaveLimiterHint : 0
; COMPUTE_PGM_RSRC2:SCRATCH_EN: 0
; COMPUTE_PGM_RSRC2:USER_SGPR: 2
; COMPUTE_PGM_RSRC2:TRAP_HANDLER: 0
; COMPUTE_PGM_RSRC2:TGID_X_EN: 1
; COMPUTE_PGM_RSRC2:TGID_Y_EN: 1
; COMPUTE_PGM_RSRC2:TGID_Z_EN: 0
; COMPUTE_PGM_RSRC2:TIDIG_COMP_CNT: 1
	.section	.text._ZN2at6native12_GLOBAL__N_135GammaBetaBackwardCUDAKernelTemplateIN3c108BFloat16EfLj64ELj16ELj256ELb0ELb1ELb0EEEvllPKT_S7_PKT0_SA_PS5_SB_,"axG",@progbits,_ZN2at6native12_GLOBAL__N_135GammaBetaBackwardCUDAKernelTemplateIN3c108BFloat16EfLj64ELj16ELj256ELb0ELb1ELb0EEEvllPKT_S7_PKT0_SA_PS5_SB_,comdat
	.globl	_ZN2at6native12_GLOBAL__N_135GammaBetaBackwardCUDAKernelTemplateIN3c108BFloat16EfLj64ELj16ELj256ELb0ELb1ELb0EEEvllPKT_S7_PKT0_SA_PS5_SB_ ; -- Begin function _ZN2at6native12_GLOBAL__N_135GammaBetaBackwardCUDAKernelTemplateIN3c108BFloat16EfLj64ELj16ELj256ELb0ELb1ELb0EEEvllPKT_S7_PKT0_SA_PS5_SB_
	.p2align	8
	.type	_ZN2at6native12_GLOBAL__N_135GammaBetaBackwardCUDAKernelTemplateIN3c108BFloat16EfLj64ELj16ELj256ELb0ELb1ELb0EEEvllPKT_S7_PKT0_SA_PS5_SB_,@function
_ZN2at6native12_GLOBAL__N_135GammaBetaBackwardCUDAKernelTemplateIN3c108BFloat16EfLj64ELj16ELj256ELb0ELb1ELb0EEEvllPKT_S7_PKT0_SA_PS5_SB_: ; @_ZN2at6native12_GLOBAL__N_135GammaBetaBackwardCUDAKernelTemplateIN3c108BFloat16EfLj64ELj16ELj256ELb0ELb1ELb0EEEvllPKT_S7_PKT0_SA_PS5_SB_
; %bb.0:
	s_load_b128 s[16:19], s[0:1], 0x0
	s_lshl_b32 s2, ttmp7, 8
	s_mov_b32 s3, 0
	v_bfe_u32 v7, v0, 10, 10
	s_wait_kmcnt 0x0
	v_cmp_gt_i64_e64 s4, s[16:17], s[2:3]
	s_and_b32 vcc_lo, exec_lo, s4
	s_cbranch_vccnz .LBB104_2
; %bb.1:
	v_bfe_u32 v1, v0, 10, 10
	s_mov_b32 s4, s3
	s_branch .LBB104_3
.LBB104_2:
	s_mov_b32 s4, -1
                                        ; implicit-def: $vgpr1
.LBB104_3:
	s_load_b128 s[12:15], s[0:1], 0x30
	v_dual_mov_b32 v25, 0 :: v_dual_and_b32 v6, 0x3ff, v0
	v_mov_b32_e32 v0, 0
	s_and_not1_b32 vcc_lo, exec_lo, s4
	s_cbranch_vccnz .LBB104_11
; %bb.4:
	s_clause 0x2
	s_load_b32 s20, s[0:1], 0x4c
	s_load_b32 s22, s[0:1], 0x44
	s_load_b256 s[4:11], s[0:1], 0x10
	v_dual_mov_b32 v1, 0 :: v_dual_lshlrev_b32 v2, 4, v7
	v_lshl_add_u32 v0, ttmp9, 6, v6
	s_mov_b32 s21, 0
	v_dual_mov_b32 v8, 16 :: v_dual_mov_b32 v9, 4
	s_delay_alu instid0(VALU_DEP_3) | instskip(SKIP_3) | instid1(VALU_DEP_3)
	v_add_co_u32 v2, s0, v2, s2
	s_wait_alu 0xf1ff
	v_add_co_ci_u32_e64 v3, null, 0, 0, s0
	v_lshlrev_b64_e32 v[25:26], 1, v[0:1]
	v_mul_lo_u32 v21, s19, v2
	v_mad_co_u64_u32 v[4:5], null, s18, v2, 0
	s_delay_alu instid0(VALU_DEP_4)
	v_mul_lo_u32 v22, s18, v3
	v_dual_mov_b32 v10, 8 :: v_dual_mov_b32 v11, 12
	s_wait_kmcnt 0x0
	s_and_b32 s0, s20, 0xffff
	s_lshl_b32 s20, s22, 8
	s_wait_alu 0xfffe
	v_mad_u32_u24 v18, v7, s0, v6
	v_dual_mov_b32 v12, 20 :: v_dual_mov_b32 v13, 24
	v_add3_u32 v5, v5, v22, v21
	v_dual_mov_b32 v14, 28 :: v_dual_mov_b32 v15, 32
	s_delay_alu instid0(VALU_DEP_4) | instskip(SKIP_2) | instid1(VALU_DEP_3)
	v_dual_mov_b32 v18, 44 :: v_dual_and_b32 v23, 31, v18
	v_dual_mov_b32 v16, 36 :: v_dual_mov_b32 v17, 40
	v_dual_mov_b32 v19, 48 :: v_dual_mov_b32 v20, 52
	v_cmp_gt_u32_e64 s0, 16, v23
	v_add_co_u32 v2, vcc_lo, v2, v23
	v_lshlrev_b64_e32 v[23:24], 1, v[4:5]
	v_add_co_ci_u32_e64 v3, null, 0, v3, vcc_lo
	v_dual_mov_b32 v21, 56 :: v_dual_mov_b32 v22, 60
	v_mov_b32_e32 v0, 0
	s_delay_alu instid0(VALU_DEP_4) | instskip(NEXT) | instid1(VALU_DEP_4)
	v_add_co_u32 v23, vcc_lo, v23, v25
	v_lshlrev_b64_e32 v[4:5], 2, v[2:3]
	s_wait_alu 0xfffd
	v_add_co_ci_u32_e64 v24, null, v24, v26, vcc_lo
	v_mov_b32_e32 v25, 0
	s_mul_u64 s[24:25], s[18:19], s[20:21]
	s_lshl_b64 s[22:23], s[20:21], 2
	s_lshl_b64 s[24:25], s[24:25], 1
	;; [unrolled: 1-line block ×3, first 2 shown]
	s_branch .LBB104_7
.LBB104_5:                              ;   in Loop: Header=BB104_7 Depth=1
	s_or_b32 exec_lo, exec_lo, s26
.LBB104_6:                              ;   in Loop: Header=BB104_7 Depth=1
	s_wait_alu 0xfffe
	s_or_b32 exec_lo, exec_lo, s1
	v_add_co_u32 v28, vcc_lo, s4, v23
	s_wait_alu 0xfffd
	v_add_co_ci_u32_e64 v29, null, s5, v24, vcc_lo
	v_add_co_u32 v30, vcc_lo, s6, v23
	s_wait_alu 0xfffd
	v_add_co_ci_u32_e64 v31, null, s7, v24, vcc_lo
	global_load_u16 v38, v[28:29], off
	v_add_co_u32 v28, vcc_lo, v28, s18
	s_wait_alu 0xfffd
	v_add_co_ci_u32_e64 v29, null, s19, v29, vcc_lo
	v_add_co_u32 v32, vcc_lo, v30, s18
	s_wait_alu 0xfffd
	v_add_co_ci_u32_e64 v33, null, s19, v31, vcc_lo
	v_add_co_u32 v34, vcc_lo, v28, s18
	s_wait_alu 0xfffd
	v_add_co_ci_u32_e64 v35, null, s19, v29, vcc_lo
	v_add_co_u32 v36, vcc_lo, v32, s18
	s_wait_alu 0xfffd
	v_add_co_ci_u32_e64 v37, null, s19, v33, vcc_lo
	global_load_u16 v39, v[30:31], off
	global_load_u16 v40, v[28:29], off
	global_load_u16 v41, v[32:33], off
	global_load_u16 v42, v[34:35], off
	global_load_u16 v43, v[36:37], off
	v_add_co_u32 v28, vcc_lo, v34, s18
	s_wait_alu 0xfffd
	v_add_co_ci_u32_e64 v29, null, s19, v35, vcc_lo
	v_add_co_u32 v30, vcc_lo, v36, s18
	s_wait_alu 0xfffd
	v_add_co_ci_u32_e64 v31, null, s19, v37, vcc_lo
	v_add_co_u32 v32, vcc_lo, v28, s18
	s_wait_alu 0xfffd
	v_add_co_ci_u32_e64 v33, null, s19, v29, vcc_lo
	v_add_co_u32 v34, vcc_lo, v30, s18
	s_wait_alu 0xfffd
	v_add_co_ci_u32_e64 v35, null, s19, v31, vcc_lo
	v_add_co_u32 v36, vcc_lo, v32, s18
	s_wait_alu 0xfffd
	v_add_co_ci_u32_e64 v37, null, s19, v33, vcc_lo
	global_load_u16 v44, v[28:29], off
	global_load_u16 v45, v[30:31], off
	global_load_u16 v46, v[32:33], off
	global_load_u16 v47, v[34:35], off
	global_load_u16 v48, v[36:37], off
	v_add_co_u32 v28, vcc_lo, v34, s18
	s_wait_alu 0xfffd
	v_add_co_ci_u32_e64 v29, null, s19, v35, vcc_lo
	;; [unrolled: 20-line block ×5, first 2 shown]
	v_add_co_u32 v30, vcc_lo, v36, s18
	s_wait_alu 0xfffd
	v_add_co_ci_u32_e64 v31, null, s19, v37, vcc_lo
	v_add_co_u32 v32, vcc_lo, v28, s18
	s_wait_alu 0xfffd
	v_add_co_ci_u32_e64 v33, null, s19, v29, vcc_lo
	;; [unrolled: 3-line block ×3, first 2 shown]
	global_load_u16 v36, v[28:29], off
	global_load_u16 v37, v[30:31], off
	;; [unrolled: 1-line block ×4, first 2 shown]
	v_add_co_u32 v28, vcc_lo, v34, s18
	s_wait_alu 0xfffd
	v_add_co_ci_u32_e64 v29, null, s19, v35, vcc_lo
	v_add_co_u32 v30, vcc_lo, v32, s18
	s_wait_alu 0xfffd
	v_add_co_ci_u32_e64 v31, null, s19, v33, vcc_lo
	global_load_u16 v28, v[28:29], off
	global_load_u16 v29, v[30:31], off
	s_wait_loadcnt 0x21
	ds_bpermute_b32 v31, v1, v26
	s_wait_loadcnt 0x20
	ds_bpermute_b32 v30, v1, v27
	ds_bpermute_b32 v33, v9, v26
	;; [unrolled: 1-line block ×31, first 2 shown]
	v_add_co_u32 v4, vcc_lo, v4, s22
	s_add_nc_u64 s[2:3], s[2:3], s[20:21]
	s_wait_alu 0xfffd
	v_add_co_ci_u32_e64 v5, null, s23, v5, vcc_lo
	v_add_co_u32 v2, vcc_lo, v2, s20
	s_wait_alu 0xfffe
	v_cmp_lt_i64_e64 s1, s[2:3], s[16:17]
	s_wait_alu 0xfffd
	v_add_co_ci_u32_e64 v3, null, 0, v3, vcc_lo
	v_add_co_u32 v23, vcc_lo, v23, s24
	s_wait_alu 0xfffd
	v_add_co_ci_u32_e64 v24, null, s25, v24, vcc_lo
	s_and_b32 vcc_lo, exec_lo, s1
	s_wait_loadcnt 0x1e
	v_lshlrev_b32_e32 v39, 16, v39
	s_wait_dscnt 0x1f
	s_delay_alu instid0(VALU_DEP_1) | instskip(NEXT) | instid1(VALU_DEP_1)
	v_dual_sub_f32 v31, v39, v31 :: v_dual_lshlrev_b32 v38, 16, v38
	v_add_f32_e32 v25, v25, v38
	s_delay_alu instid0(VALU_DEP_2)
	v_mul_f32_e32 v31, v31, v38
	s_wait_loadcnt 0x1b
	v_lshlrev_b32_e32 v38, 16, v42
	v_lshlrev_b32_e32 v39, 16, v40
	;; [unrolled: 1-line block ×3, first 2 shown]
	s_wait_loadcnt 0x1a
	v_lshlrev_b32_e32 v40, 16, v43
	s_wait_dscnt 0x1d
	s_delay_alu instid0(VALU_DEP_2) | instskip(SKIP_1) | instid1(VALU_DEP_2)
	v_dual_fmac_f32 v0, v31, v30 :: v_dual_sub_f32 v33, v41, v33
	s_wait_dscnt 0x1c
	v_sub_f32_e32 v31, v40, v35
	s_delay_alu instid0(VALU_DEP_2) | instskip(SKIP_1) | instid1(VALU_DEP_1)
	v_mul_f32_e32 v30, v33, v39
	s_wait_dscnt 0x1b
	v_fmac_f32_e32 v0, v30, v32
	s_wait_loadcnt 0x18
	v_dual_mul_f32 v30, v31, v38 :: v_dual_lshlrev_b32 v33, 16, v45
	s_wait_loadcnt 0x16
	v_lshlrev_b32_e32 v32, 16, v47
	s_wait_dscnt 0x1a
	s_delay_alu instid0(VALU_DEP_2) | instskip(SKIP_3) | instid1(VALU_DEP_1)
	v_dual_add_f32 v25, v25, v39 :: v_dual_fmac_f32 v0, v30, v34
	v_lshlrev_b32_e32 v35, 16, v44
	s_wait_loadcnt_dscnt 0x1519
	v_dual_sub_f32 v31, v33, v67 :: v_dual_lshlrev_b32 v34, 16, v48
	v_dual_mul_f32 v30, v31, v35 :: v_dual_lshlrev_b32 v33, 16, v46
	s_wait_dscnt 0x18
	v_sub_f32_e32 v31, v32, v69
	s_wait_loadcnt 0x14
	v_dual_add_f32 v25, v25, v38 :: v_dual_lshlrev_b32 v32, 16, v49
	s_wait_dscnt 0x17
	v_fmac_f32_e32 v0, v30, v66
	s_wait_dscnt 0x16
	s_delay_alu instid0(VALU_DEP_2)
	v_dual_mul_f32 v30, v31, v33 :: v_dual_sub_f32 v31, v32, v71
	v_add_f32_e32 v25, v25, v35
	s_wait_loadcnt 0x12
	v_lshlrev_b32_e32 v32, 16, v51
	s_wait_dscnt 0x15
	v_fmac_f32_e32 v0, v30, v68
	v_dual_mul_f32 v30, v31, v34 :: v_dual_add_f32 v25, v25, v33
	s_wait_dscnt 0x13
	v_sub_f32_e32 v31, v32, v73
	s_wait_loadcnt 0x10
	v_lshlrev_b32_e32 v32, 16, v53
	v_fmac_f32_e32 v0, v30, v70
	v_lshlrev_b32_e32 v33, 16, v50
	v_dual_add_f32 v25, v25, v34 :: v_dual_lshlrev_b32 v34, 16, v52
	s_wait_dscnt 0x12
	s_delay_alu instid0(VALU_DEP_2) | instskip(SKIP_1) | instid1(VALU_DEP_1)
	v_dual_mul_f32 v30, v31, v33 :: v_dual_sub_f32 v31, v32, v75
	s_wait_dscnt 0x11
	v_fmac_f32_e32 v0, v30, v72
	s_wait_loadcnt 0xe
	v_dual_add_f32 v25, v25, v33 :: v_dual_lshlrev_b32 v32, 16, v55
	s_wait_dscnt 0xf
	s_delay_alu instid0(VALU_DEP_1) | instskip(SKIP_1) | instid1(VALU_DEP_2)
	v_dual_mul_f32 v30, v31, v34 :: v_dual_sub_f32 v31, v32, v77
	s_wait_loadcnt 0xc
	v_dual_add_f32 v25, v25, v34 :: v_dual_lshlrev_b32 v32, 16, v57
	s_delay_alu instid0(VALU_DEP_2) | instskip(SKIP_3) | instid1(VALU_DEP_2)
	v_fmac_f32_e32 v0, v30, v74
	v_lshlrev_b32_e32 v33, 16, v54
	v_lshlrev_b32_e32 v34, 16, v56
	s_wait_dscnt 0xd
	v_dual_mul_f32 v30, v31, v33 :: v_dual_sub_f32 v31, v32, v79
	s_delay_alu instid0(VALU_DEP_1) | instskip(SKIP_3) | instid1(VALU_DEP_3)
	v_dual_fmac_f32 v0, v30, v76 :: v_dual_add_f32 v25, v25, v33
	s_wait_loadcnt 0xa
	v_lshlrev_b32_e32 v32, 16, v59
	v_lshlrev_b32_e32 v33, 16, v58
	v_add_f32_e32 v25, v25, v34
	s_wait_dscnt 0xb
	s_delay_alu instid0(VALU_DEP_3) | instskip(SKIP_1) | instid1(VALU_DEP_2)
	v_dual_mul_f32 v30, v31, v34 :: v_dual_sub_f32 v31, v32, v81
	s_wait_loadcnt 0x9
	v_dual_add_f32 v25, v25, v33 :: v_dual_lshlrev_b32 v34, 16, v60
	s_delay_alu instid0(VALU_DEP_2)
	v_fmac_f32_e32 v0, v30, v78
	s_wait_loadcnt 0x8
	v_lshlrev_b32_e32 v32, 16, v61
	s_wait_loadcnt 0x7
	v_dual_mul_f32 v30, v31, v33 :: v_dual_lshlrev_b32 v33, 16, v62
	v_add_f32_e32 v25, v25, v34
	s_wait_dscnt 0xa
	v_sub_f32_e32 v31, v32, v83
	s_wait_loadcnt 0x6
	s_delay_alu instid0(VALU_DEP_2) | instskip(SKIP_3) | instid1(VALU_DEP_2)
	v_dual_add_f32 v25, v25, v33 :: v_dual_lshlrev_b32 v32, 16, v63
	s_wait_dscnt 0x9
	v_fmac_f32_e32 v0, v30, v80
	s_wait_dscnt 0x8
	v_dual_mul_f32 v30, v31, v34 :: v_dual_sub_f32 v31, v32, v85
	s_wait_loadcnt 0x5
	v_lshlrev_b32_e32 v34, 16, v36
	s_wait_loadcnt 0x4
	v_lshlrev_b32_e32 v32, 16, v37
	s_wait_loadcnt_dscnt 0x7
	v_dual_fmac_f32 v0, v30, v82 :: v_dual_lshlrev_b32 v29, 16, v29
	v_dual_mul_f32 v30, v31, v33 :: v_dual_lshlrev_b32 v33, 16, v64
	v_add_f32_e32 v25, v25, v34
	s_wait_dscnt 0x6
	v_dual_sub_f32 v31, v32, v87 :: v_dual_lshlrev_b32 v32, 16, v65
	s_wait_dscnt 0x5
	s_delay_alu instid0(VALU_DEP_2) | instskip(SKIP_1) | instid1(VALU_DEP_2)
	v_dual_fmac_f32 v0, v30, v84 :: v_dual_add_f32 v25, v25, v33
	s_wait_dscnt 0x4
	v_dual_mul_f32 v30, v31, v34 :: v_dual_sub_f32 v31, v32, v89
	s_delay_alu instid0(VALU_DEP_2) | instskip(SKIP_1) | instid1(VALU_DEP_2)
	v_dual_add_f32 v25, v25, v29 :: v_dual_lshlrev_b32 v28, 16, v28
	s_wait_dscnt 0x3
	v_fmac_f32_e32 v0, v30, v86
	s_delay_alu instid0(VALU_DEP_3) | instskip(SKIP_3) | instid1(VALU_DEP_2)
	v_mul_f32_e32 v30, v31, v33
	s_wait_dscnt 0x2
	v_sub_f32_e32 v26, v28, v26
	s_wait_dscnt 0x1
	v_fmac_f32_e32 v0, v30, v88
	s_delay_alu instid0(VALU_DEP_2) | instskip(SKIP_1) | instid1(VALU_DEP_1)
	v_mul_f32_e32 v26, v26, v29
	s_wait_dscnt 0x0
	v_fmac_f32_e32 v0, v26, v27
	s_wait_alu 0xfffe
	s_cbranch_vccz .LBB104_10
.LBB104_7:                              ; =>This Inner Loop Header: Depth=1
	v_dual_mov_b32 v27, 0 :: v_dual_mov_b32 v26, 0
	s_and_saveexec_b32 s1, s0
	s_cbranch_execz .LBB104_6
; %bb.8:                                ;   in Loop: Header=BB104_7 Depth=1
	v_dual_mov_b32 v26, 0 :: v_dual_mov_b32 v27, 0
	s_mov_b32 s26, exec_lo
	v_cmpx_gt_i64_e64 s[16:17], v[2:3]
	s_cbranch_execz .LBB104_5
; %bb.9:                                ;   in Loop: Header=BB104_7 Depth=1
	v_add_co_u32 v26, vcc_lo, s8, v4
	s_wait_alu 0xfffd
	v_add_co_ci_u32_e64 v27, null, s9, v5, vcc_lo
	v_add_co_u32 v28, vcc_lo, s10, v4
	s_wait_alu 0xfffd
	v_add_co_ci_u32_e64 v29, null, s11, v5, vcc_lo
	global_load_b32 v26, v[26:27], off
	global_load_b32 v27, v[28:29], off
	s_branch .LBB104_5
.LBB104_10:
	v_mov_b32_e32 v1, v7
.LBB104_11:
	s_delay_alu instid0(VALU_DEP_1) | instskip(SKIP_1) | instid1(VALU_DEP_1)
	v_mad_u32_u24 v2, 0x41, v1, v6
	s_mov_b32 s0, exec_lo
	v_lshl_add_u32 v4, v2, 2, 0
	v_sub_nc_u32_e32 v3, v2, v1
	ds_store_b32 v4, v0
	ds_store_b32 v4, v25 offset:4160
	s_wait_dscnt 0x0
	s_barrier_signal -1
	s_barrier_wait -1
	global_inv scope:SCOPE_SE
	v_cmpx_gt_u32_e32 0x800, v3
	s_cbranch_execz .LBB104_27
; %bb.12:
	v_and_b32_e32 v0, 31, v6
	v_lshrrev_b32_e32 v2, 5, v3
                                        ; implicit-def: $vgpr1
	s_delay_alu instid0(VALU_DEP_2)
	v_cmp_gt_u32_e64 s0, 16, v0
	v_mul_u32_u24_e32 v4, 0x41, v0
                                        ; implicit-def: $vgpr0
	s_wait_alu 0xfffe
	s_and_saveexec_b32 s1, s0
	s_cbranch_execz .LBB104_14
; %bb.13:
	s_delay_alu instid0(VALU_DEP_1) | instskip(NEXT) | instid1(VALU_DEP_1)
	v_add_nc_u32_e32 v0, v2, v4
	v_lshl_add_u32 v0, v0, 2, 0
	ds_load_b32 v1, v0
	ds_load_b32 v0, v0 offset:4160
.LBB104_14:
	s_wait_alu 0xfffe
	s_or_b32 exec_lo, exec_lo, s1
	v_mbcnt_lo_u32_b32 v9, -1, 0
	v_cmp_eq_u32_e64 s1, 0, v6
	s_mov_b32 s2, ttmp9
	s_mov_b32 s3, 0
	s_wait_alu 0xfffe
	s_lshl_b64 s[2:3], s[2:3], 6
	v_xor_b32_e32 v5, 8, v9
	v_xor_b32_e32 v7, 4, v9
	v_xor_b32_e32 v12, 1, v9
	s_wait_kmcnt 0x0
	s_cmp_lg_u64 s[12:13], 0
	v_cmp_gt_i32_e32 vcc_lo, 32, v5
	s_cselect_b32 s5, -1, 0
	s_cmp_lg_u64 s[14:15], 0
	s_cselect_b32 s4, -1, 0
	s_wait_alu 0xfffd
	v_cndmask_b32_e32 v5, v9, v5, vcc_lo
	v_cmp_gt_i32_e32 vcc_lo, 32, v7
	s_delay_alu instid0(VALU_DEP_2)
	v_lshlrev_b32_e32 v5, 2, v5
	s_wait_alu 0xfffd
	v_cndmask_b32_e32 v7, v9, v7, vcc_lo
	s_wait_dscnt 0x1
	ds_bpermute_b32 v8, v5, v1
	s_wait_dscnt 0x0
	v_add_f32_e32 v1, v1, v8
	v_xor_b32_e32 v8, 2, v9
	s_delay_alu instid0(VALU_DEP_1)
	v_cmp_gt_i32_e32 vcc_lo, 32, v8
	s_wait_alu 0xfffd
	v_cndmask_b32_e32 v8, v9, v8, vcc_lo
	ds_bpermute_b32 v10, v5, v0
	v_cmp_gt_i32_e32 vcc_lo, 32, v12
	v_lshlrev_b32_e32 v8, 2, v8
	v_lshlrev_b32_e32 v7, 2, v7
	s_wait_alu 0xfffd
	v_cndmask_b32_e32 v9, v9, v12, vcc_lo
	s_wait_dscnt 0x0
	s_delay_alu instid0(VALU_DEP_1)
	v_dual_add_f32 v0, v0, v10 :: v_dual_lshlrev_b32 v9, 2, v9
	ds_bpermute_b32 v10, v7, v1
	s_wait_dscnt 0x0
	v_add_f32_e32 v1, v1, v10
	ds_bpermute_b32 v10, v8, v1
	s_wait_dscnt 0x0
	v_add_f32_e32 v1, v1, v10
	;; [unrolled: 3-line block ×6, first 2 shown]
	s_and_saveexec_b32 s6, s1
	s_cbranch_execz .LBB104_19
; %bb.15:
	s_wait_alu 0xfffe
	v_mov_b32_e32 v1, s3
	v_or_b32_e32 v0, s2, v2
	s_and_not1_b32 vcc_lo, exec_lo, s5
	s_delay_alu instid0(VALU_DEP_1)
	v_lshlrev_b64_e32 v[0:1], 1, v[0:1]
	s_wait_alu 0xfffe
	s_cbranch_vccnz .LBB104_17
; %bb.16:
	v_bfe_u32 v11, v6, 16, 1
	v_cmp_o_f32_e32 vcc_lo, v6, v6
	s_delay_alu instid0(VALU_DEP_2) | instskip(NEXT) | instid1(VALU_DEP_1)
	v_add3_u32 v11, v6, v11, 0x7fff
	v_lshrrev_b32_e32 v11, 16, v11
	s_wait_alu 0xfffd
	s_delay_alu instid0(VALU_DEP_1)
	v_cndmask_b32_e32 v13, 0x7fc0, v11, vcc_lo
	v_add_co_u32 v11, vcc_lo, s12, v0
	s_wait_alu 0xfffd
	v_add_co_ci_u32_e64 v12, null, s13, v1, vcc_lo
	global_store_b16 v[11:12], v13, off
.LBB104_17:
	s_and_not1_b32 vcc_lo, exec_lo, s4
	s_wait_alu 0xfffe
	s_cbranch_vccnz .LBB104_19
; %bb.18:
	v_bfe_u32 v11, v10, 16, 1
	v_cmp_o_f32_e32 vcc_lo, v10, v10
	s_delay_alu instid0(VALU_DEP_2) | instskip(NEXT) | instid1(VALU_DEP_1)
	v_add3_u32 v11, v10, v11, 0x7fff
	v_lshrrev_b32_e32 v11, 16, v11
	s_wait_alu 0xfffd
	s_delay_alu instid0(VALU_DEP_1)
	v_cndmask_b32_e32 v11, 0x7fc0, v11, vcc_lo
	v_add_co_u32 v0, vcc_lo, s14, v0
	s_wait_alu 0xfffd
	v_add_co_ci_u32_e64 v1, null, s15, v1, vcc_lo
	global_store_b16 v[0:1], v11, off
.LBB104_19:
	s_wait_alu 0xfffe
	s_or_b32 exec_lo, exec_lo, s6
	v_cmp_gt_u32_e32 vcc_lo, 0x400, v3
	s_and_b32 exec_lo, exec_lo, vcc_lo
	s_cbranch_execz .LBB104_27
; %bb.20:
	s_and_saveexec_b32 s6, s0
	s_cbranch_execz .LBB104_22
; %bb.21:
	v_add_nc_u32_e32 v0, v2, v4
	s_delay_alu instid0(VALU_DEP_1)
	v_lshl_add_u32 v0, v0, 2, 0
	ds_load_b32 v6, v0 offset:128
	ds_load_b32 v10, v0 offset:4288
.LBB104_22:
	s_wait_alu 0xfffe
	s_or_b32 exec_lo, exec_lo, s6
	s_wait_dscnt 0x1
	ds_bpermute_b32 v0, v5, v6
	s_wait_dscnt 0x1
	ds_bpermute_b32 v1, v5, v10
	s_wait_dscnt 0x1
	v_add_f32_e32 v0, v6, v0
	ds_bpermute_b32 v3, v7, v0
	s_wait_dscnt 0x0
	v_dual_add_f32 v1, v10, v1 :: v_dual_add_f32 v0, v0, v3
	ds_bpermute_b32 v4, v7, v1
	ds_bpermute_b32 v3, v8, v0
	s_wait_dscnt 0x1
	v_add_f32_e32 v1, v1, v4
	ds_bpermute_b32 v4, v8, v1
	s_wait_dscnt 0x0
	v_dual_add_f32 v3, v0, v3 :: v_dual_add_f32 v0, v1, v4
	ds_bpermute_b32 v4, v9, v3
	ds_bpermute_b32 v1, v9, v0
	s_and_b32 exec_lo, exec_lo, s1
	s_cbranch_execz .LBB104_27
; %bb.23:
	s_and_not1_b32 vcc_lo, exec_lo, s5
	s_wait_alu 0xfffe
	s_cbranch_vccnz .LBB104_25
; %bb.24:
	s_wait_dscnt 0x1
	v_add_f32_e32 v5, v3, v4
	s_delay_alu instid0(VALU_DEP_1) | instskip(SKIP_1) | instid1(VALU_DEP_2)
	v_bfe_u32 v3, v5, 16, 1
	v_cmp_o_f32_e32 vcc_lo, v5, v5
	v_add3_u32 v6, v5, v3, 0x7fff
	v_add_co_u32 v3, s0, s2, v2
	s_wait_alu 0xf1ff
	v_add_co_ci_u32_e64 v4, null, s3, 0, s0
	s_delay_alu instid0(VALU_DEP_3) | instskip(NEXT) | instid1(VALU_DEP_2)
	v_lshrrev_b32_e32 v6, 16, v6
	v_lshlrev_b64_e32 v[3:4], 1, v[3:4]
	s_wait_alu 0xfffd
	s_delay_alu instid0(VALU_DEP_2) | instskip(NEXT) | instid1(VALU_DEP_2)
	v_cndmask_b32_e32 v5, 0x7fc0, v6, vcc_lo
	v_add_co_u32 v3, vcc_lo, s12, v3
	s_wait_alu 0xfffd
	s_delay_alu instid0(VALU_DEP_3)
	v_add_co_ci_u32_e64 v4, null, s13, v4, vcc_lo
	global_store_b16 v[3:4], v5, off offset:64
.LBB104_25:
	s_and_not1_b32 vcc_lo, exec_lo, s4
	s_wait_alu 0xfffe
	s_cbranch_vccnz .LBB104_27
; %bb.26:
	s_wait_dscnt 0x0
	v_add_f32_e32 v3, v0, v1
	s_delay_alu instid0(VALU_DEP_1) | instskip(SKIP_1) | instid1(VALU_DEP_2)
	v_bfe_u32 v0, v3, 16, 1
	v_cmp_o_f32_e32 vcc_lo, v3, v3
	v_add3_u32 v4, v3, v0, 0x7fff
	v_add_co_u32 v0, s0, s2, v2
	s_wait_alu 0xf1ff
	v_add_co_ci_u32_e64 v1, null, s3, 0, s0
	s_delay_alu instid0(VALU_DEP_3) | instskip(NEXT) | instid1(VALU_DEP_2)
	v_lshrrev_b32_e32 v2, 16, v4
	v_lshlrev_b64_e32 v[0:1], 1, v[0:1]
	s_wait_alu 0xfffd
	s_delay_alu instid0(VALU_DEP_2) | instskip(NEXT) | instid1(VALU_DEP_2)
	v_cndmask_b32_e32 v2, 0x7fc0, v2, vcc_lo
	v_add_co_u32 v0, vcc_lo, s14, v0
	s_wait_alu 0xfffd
	s_delay_alu instid0(VALU_DEP_3)
	v_add_co_ci_u32_e64 v1, null, s15, v1, vcc_lo
	global_store_b16 v[0:1], v2, off offset:64
.LBB104_27:
	s_endpgm
	.section	.rodata,"a",@progbits
	.p2align	6, 0x0
	.amdhsa_kernel _ZN2at6native12_GLOBAL__N_135GammaBetaBackwardCUDAKernelTemplateIN3c108BFloat16EfLj64ELj16ELj256ELb0ELb1ELb0EEEvllPKT_S7_PKT0_SA_PS5_SB_
		.amdhsa_group_segment_fixed_size 0
		.amdhsa_private_segment_fixed_size 0
		.amdhsa_kernarg_size 320
		.amdhsa_user_sgpr_count 2
		.amdhsa_user_sgpr_dispatch_ptr 0
		.amdhsa_user_sgpr_queue_ptr 0
		.amdhsa_user_sgpr_kernarg_segment_ptr 1
		.amdhsa_user_sgpr_dispatch_id 0
		.amdhsa_user_sgpr_private_segment_size 0
		.amdhsa_wavefront_size32 1
		.amdhsa_uses_dynamic_stack 0
		.amdhsa_enable_private_segment 0
		.amdhsa_system_sgpr_workgroup_id_x 1
		.amdhsa_system_sgpr_workgroup_id_y 1
		.amdhsa_system_sgpr_workgroup_id_z 0
		.amdhsa_system_sgpr_workgroup_info 0
		.amdhsa_system_vgpr_workitem_id 1
		.amdhsa_next_free_vgpr 90
		.amdhsa_next_free_sgpr 27
		.amdhsa_reserve_vcc 1
		.amdhsa_float_round_mode_32 0
		.amdhsa_float_round_mode_16_64 0
		.amdhsa_float_denorm_mode_32 3
		.amdhsa_float_denorm_mode_16_64 3
		.amdhsa_fp16_overflow 0
		.amdhsa_workgroup_processor_mode 1
		.amdhsa_memory_ordered 1
		.amdhsa_forward_progress 1
		.amdhsa_inst_pref_size 29
		.amdhsa_round_robin_scheduling 0
		.amdhsa_exception_fp_ieee_invalid_op 0
		.amdhsa_exception_fp_denorm_src 0
		.amdhsa_exception_fp_ieee_div_zero 0
		.amdhsa_exception_fp_ieee_overflow 0
		.amdhsa_exception_fp_ieee_underflow 0
		.amdhsa_exception_fp_ieee_inexact 0
		.amdhsa_exception_int_div_zero 0
	.end_amdhsa_kernel
	.section	.text._ZN2at6native12_GLOBAL__N_135GammaBetaBackwardCUDAKernelTemplateIN3c108BFloat16EfLj64ELj16ELj256ELb0ELb1ELb0EEEvllPKT_S7_PKT0_SA_PS5_SB_,"axG",@progbits,_ZN2at6native12_GLOBAL__N_135GammaBetaBackwardCUDAKernelTemplateIN3c108BFloat16EfLj64ELj16ELj256ELb0ELb1ELb0EEEvllPKT_S7_PKT0_SA_PS5_SB_,comdat
.Lfunc_end104:
	.size	_ZN2at6native12_GLOBAL__N_135GammaBetaBackwardCUDAKernelTemplateIN3c108BFloat16EfLj64ELj16ELj256ELb0ELb1ELb0EEEvllPKT_S7_PKT0_SA_PS5_SB_, .Lfunc_end104-_ZN2at6native12_GLOBAL__N_135GammaBetaBackwardCUDAKernelTemplateIN3c108BFloat16EfLj64ELj16ELj256ELb0ELb1ELb0EEEvllPKT_S7_PKT0_SA_PS5_SB_
                                        ; -- End function
	.set _ZN2at6native12_GLOBAL__N_135GammaBetaBackwardCUDAKernelTemplateIN3c108BFloat16EfLj64ELj16ELj256ELb0ELb1ELb0EEEvllPKT_S7_PKT0_SA_PS5_SB_.num_vgpr, 90
	.set _ZN2at6native12_GLOBAL__N_135GammaBetaBackwardCUDAKernelTemplateIN3c108BFloat16EfLj64ELj16ELj256ELb0ELb1ELb0EEEvllPKT_S7_PKT0_SA_PS5_SB_.num_agpr, 0
	.set _ZN2at6native12_GLOBAL__N_135GammaBetaBackwardCUDAKernelTemplateIN3c108BFloat16EfLj64ELj16ELj256ELb0ELb1ELb0EEEvllPKT_S7_PKT0_SA_PS5_SB_.numbered_sgpr, 27
	.set _ZN2at6native12_GLOBAL__N_135GammaBetaBackwardCUDAKernelTemplateIN3c108BFloat16EfLj64ELj16ELj256ELb0ELb1ELb0EEEvllPKT_S7_PKT0_SA_PS5_SB_.num_named_barrier, 0
	.set _ZN2at6native12_GLOBAL__N_135GammaBetaBackwardCUDAKernelTemplateIN3c108BFloat16EfLj64ELj16ELj256ELb0ELb1ELb0EEEvllPKT_S7_PKT0_SA_PS5_SB_.private_seg_size, 0
	.set _ZN2at6native12_GLOBAL__N_135GammaBetaBackwardCUDAKernelTemplateIN3c108BFloat16EfLj64ELj16ELj256ELb0ELb1ELb0EEEvllPKT_S7_PKT0_SA_PS5_SB_.uses_vcc, 1
	.set _ZN2at6native12_GLOBAL__N_135GammaBetaBackwardCUDAKernelTemplateIN3c108BFloat16EfLj64ELj16ELj256ELb0ELb1ELb0EEEvllPKT_S7_PKT0_SA_PS5_SB_.uses_flat_scratch, 0
	.set _ZN2at6native12_GLOBAL__N_135GammaBetaBackwardCUDAKernelTemplateIN3c108BFloat16EfLj64ELj16ELj256ELb0ELb1ELb0EEEvllPKT_S7_PKT0_SA_PS5_SB_.has_dyn_sized_stack, 0
	.set _ZN2at6native12_GLOBAL__N_135GammaBetaBackwardCUDAKernelTemplateIN3c108BFloat16EfLj64ELj16ELj256ELb0ELb1ELb0EEEvllPKT_S7_PKT0_SA_PS5_SB_.has_recursion, 0
	.set _ZN2at6native12_GLOBAL__N_135GammaBetaBackwardCUDAKernelTemplateIN3c108BFloat16EfLj64ELj16ELj256ELb0ELb1ELb0EEEvllPKT_S7_PKT0_SA_PS5_SB_.has_indirect_call, 0
	.section	.AMDGPU.csdata,"",@progbits
; Kernel info:
; codeLenInByte = 3628
; TotalNumSgprs: 29
; NumVgprs: 90
; ScratchSize: 0
; MemoryBound: 0
; FloatMode: 240
; IeeeMode: 1
; LDSByteSize: 0 bytes/workgroup (compile time only)
; SGPRBlocks: 0
; VGPRBlocks: 11
; NumSGPRsForWavesPerEU: 29
; NumVGPRsForWavesPerEU: 90
; Occupancy: 16
; WaveLimiterHint : 0
; COMPUTE_PGM_RSRC2:SCRATCH_EN: 0
; COMPUTE_PGM_RSRC2:USER_SGPR: 2
; COMPUTE_PGM_RSRC2:TRAP_HANDLER: 0
; COMPUTE_PGM_RSRC2:TGID_X_EN: 1
; COMPUTE_PGM_RSRC2:TGID_Y_EN: 1
; COMPUTE_PGM_RSRC2:TGID_Z_EN: 0
; COMPUTE_PGM_RSRC2:TIDIG_COMP_CNT: 1
	.section	.text._ZN2at6native12_GLOBAL__N_135GammaBetaBackwardCUDAKernelTemplateIN3c108BFloat16EfLj64ELj16ELj256ELb0ELb0ELb0EEEvllPKT_S7_PKT0_SA_PS5_SB_,"axG",@progbits,_ZN2at6native12_GLOBAL__N_135GammaBetaBackwardCUDAKernelTemplateIN3c108BFloat16EfLj64ELj16ELj256ELb0ELb0ELb0EEEvllPKT_S7_PKT0_SA_PS5_SB_,comdat
	.globl	_ZN2at6native12_GLOBAL__N_135GammaBetaBackwardCUDAKernelTemplateIN3c108BFloat16EfLj64ELj16ELj256ELb0ELb0ELb0EEEvllPKT_S7_PKT0_SA_PS5_SB_ ; -- Begin function _ZN2at6native12_GLOBAL__N_135GammaBetaBackwardCUDAKernelTemplateIN3c108BFloat16EfLj64ELj16ELj256ELb0ELb0ELb0EEEvllPKT_S7_PKT0_SA_PS5_SB_
	.p2align	8
	.type	_ZN2at6native12_GLOBAL__N_135GammaBetaBackwardCUDAKernelTemplateIN3c108BFloat16EfLj64ELj16ELj256ELb0ELb0ELb0EEEvllPKT_S7_PKT0_SA_PS5_SB_,@function
_ZN2at6native12_GLOBAL__N_135GammaBetaBackwardCUDAKernelTemplateIN3c108BFloat16EfLj64ELj16ELj256ELb0ELb0ELb0EEEvllPKT_S7_PKT0_SA_PS5_SB_: ; @_ZN2at6native12_GLOBAL__N_135GammaBetaBackwardCUDAKernelTemplateIN3c108BFloat16EfLj64ELj16ELj256ELb0ELb0ELb0EEEvllPKT_S7_PKT0_SA_PS5_SB_
; %bb.0:
	s_clause 0x1
	s_load_b256 s[4:11], s[0:1], 0x0
	s_load_b128 s[12:15], s[0:1], 0x20
	s_lshl_b32 s30, ttmp9, 6
	s_mov_b32 s17, 0
	s_or_b32 s16, s30, 63
	s_wait_kmcnt 0x0
	v_cmp_le_i64_e64 s2, s[6:7], s[16:17]
	s_lshl_b32 s16, ttmp7, 8
	s_wait_alu 0xfffe
	v_cmp_gt_i64_e64 s31, s[4:5], s[16:17]
	s_and_b32 vcc_lo, exec_lo, s2
	v_cndmask_b32_e64 v1, 0, 1, s31
	s_delay_alu instid0(VALU_DEP_1)
	v_cmp_ne_u32_e64 s2, 1, v1
	s_cbranch_vccz .LBB105_81
; %bb.1:
	v_mov_b32_e32 v2, 0
	v_mov_b32_e32 v100, 0
	s_and_b32 vcc_lo, exec_lo, s2
	s_cbranch_vccnz .LBB105_82
; %bb.2:
	v_bfe_u32 v36, v0, 10, 10
	v_dual_mov_b32 v1, 0 :: v_dual_and_b32 v38, 0x3ff, v0
	s_load_b32 s3, s[0:1], 0x44
	s_mov_b32 s19, 0
	s_delay_alu instid0(VALU_DEP_2) | instskip(NEXT) | instid1(VALU_DEP_2)
	v_dual_mov_b32 v100, 0 :: v_dual_lshlrev_b32 v37, 4, v36
	v_dual_mov_b32 v5, v1 :: v_dual_add_nc_u32 v4, s30, v38
	s_mov_b32 s23, s19
	s_delay_alu instid0(VALU_DEP_2) | instskip(NEXT) | instid1(VALU_DEP_1)
	v_add_co_u32 v10, s2, v37, s16
	v_add_co_ci_u32_e64 v11, null, 0, 0, s2
	s_delay_alu instid0(VALU_DEP_3) | instskip(NEXT) | instid1(VALU_DEP_3)
	v_cmp_gt_i64_e64 s2, s[6:7], v[4:5]
	v_add_co_u32 v6, vcc_lo, v10, 15
	v_mul_lo_u32 v8, s7, v10
	s_delay_alu instid0(VALU_DEP_4) | instskip(SKIP_3) | instid1(VALU_DEP_3)
	v_mul_lo_u32 v9, s6, v11
	v_add_co_ci_u32_e64 v7, null, 0, v11, vcc_lo
	v_mad_co_u64_u32 v[2:3], null, s6, v10, 0
	v_mul_lo_u32 v12, s7, v6
	v_mul_lo_u32 v13, s6, v7
	v_mad_co_u64_u32 v[6:7], null, s6, v6, 0
	v_lshlrev_b64_e32 v[34:35], 1, v[4:5]
	s_wait_kmcnt 0x0
	s_lshl_b32 s22, s3, 8
	v_add3_u32 v3, v3, v9, v8
	v_add_co_u32 v8, vcc_lo, v10, 14
	s_wait_alu 0xfffd
	v_add_co_ci_u32_e64 v9, null, 0, v11, vcc_lo
	v_add3_u32 v7, v7, v13, v12
	v_lshlrev_b64_e32 v[4:5], 1, v[2:3]
	v_mul_lo_u32 v12, s7, v8
	s_delay_alu instid0(VALU_DEP_4)
	v_mul_lo_u32 v13, s6, v9
	v_mad_co_u64_u32 v[8:9], null, s6, v8, 0
	v_lshlrev_b64_e32 v[6:7], 1, v[6:7]
	v_add_co_u32 v39, vcc_lo, s8, v4
	s_wait_alu 0xfffd
	v_add_co_ci_u32_e64 v40, null, s9, v5, vcc_lo
	v_add_co_u32 v41, vcc_lo, s10, v4
	v_add3_u32 v9, v9, v13, v12
	s_wait_alu 0xfffd
	v_add_co_ci_u32_e64 v42, null, s11, v5, vcc_lo
	v_add_co_u32 v43, vcc_lo, s8, v6
	s_wait_alu 0xfffd
	v_add_co_ci_u32_e64 v44, null, s9, v7, vcc_lo
	v_add_co_u32 v12, vcc_lo, v10, 13
	v_add_co_u32 v45, s3, s10, v6
	v_lshlrev_b64_e32 v[4:5], 1, v[8:9]
	s_wait_alu 0xfffd
	v_add_co_ci_u32_e64 v6, null, 0, v11, vcc_lo
	v_add_co_u32 v8, vcc_lo, v10, 12
	s_wait_alu 0xfffd
	v_add_co_ci_u32_e64 v9, null, 0, v11, vcc_lo
	s_wait_alu 0xf1ff
	v_add_co_ci_u32_e64 v46, null, s11, v7, s3
	v_mul_lo_u32 v13, s7, v12
	v_mul_lo_u32 v14, s6, v6
	v_mad_co_u64_u32 v[6:7], null, s6, v12, 0
	v_mul_lo_u32 v12, s7, v8
	v_mul_lo_u32 v15, s6, v9
	v_mad_co_u64_u32 v[8:9], null, s6, v8, 0
	v_add_co_u32 v47, vcc_lo, s8, v4
	s_wait_alu 0xfffd
	v_add_co_ci_u32_e64 v48, null, s9, v5, vcc_lo
	v_add_co_u32 v49, vcc_lo, s10, v4
	s_wait_alu 0xfffd
	v_add_co_ci_u32_e64 v50, null, s11, v5, vcc_lo
	v_add3_u32 v9, v9, v15, v12
	v_add_co_u32 v12, vcc_lo, v10, 11
	v_add3_u32 v7, v7, v14, v13
	s_wait_alu 0xfffd
	v_add_co_ci_u32_e64 v13, null, 0, v11, vcc_lo
	s_delay_alu instid0(VALU_DEP_3)
	v_mul_lo_u32 v14, s7, v12
	v_mov_b32_e32 v104, 0
	v_lshlrev_b64_e32 v[4:5], 1, v[6:7]
	v_lshlrev_b64_e32 v[6:7], 1, v[8:9]
	v_mul_lo_u32 v13, s6, v13
	v_mad_co_u64_u32 v[8:9], null, s6, v12, 0
	s_mul_u64 s[24:25], s[6:7], s[22:23]
	v_add_co_u32 v51, vcc_lo, s8, v4
	s_wait_alu 0xfffd
	v_add_co_ci_u32_e64 v52, null, s9, v5, vcc_lo
	v_add_co_u32 v53, vcc_lo, s10, v4
	v_add3_u32 v9, v9, v13, v14
	s_wait_alu 0xfffd
	v_add_co_ci_u32_e64 v54, null, s11, v5, vcc_lo
	v_add_co_u32 v55, vcc_lo, s8, v6
	s_wait_alu 0xfffd
	v_add_co_ci_u32_e64 v56, null, s9, v7, vcc_lo
	v_add_co_u32 v12, vcc_lo, v10, 10
	v_add_co_u32 v57, s3, s10, v6
	v_lshlrev_b64_e32 v[4:5], 1, v[8:9]
	s_wait_alu 0xfffd
	v_add_co_ci_u32_e64 v6, null, 0, v11, vcc_lo
	v_add_co_u32 v8, vcc_lo, v10, 9
	s_wait_alu 0xfffd
	v_add_co_ci_u32_e64 v9, null, 0, v11, vcc_lo
	s_wait_alu 0xf1ff
	v_add_co_ci_u32_e64 v58, null, s11, v7, s3
	v_mul_lo_u32 v13, s7, v12
	v_mul_lo_u32 v14, s6, v6
	v_mad_co_u64_u32 v[6:7], null, s6, v12, 0
	v_mul_lo_u32 v12, s7, v8
	v_mul_lo_u32 v15, s6, v9
	v_mad_co_u64_u32 v[8:9], null, s6, v8, 0
	v_add_co_u32 v59, vcc_lo, s8, v4
	s_wait_alu 0xfffd
	v_add_co_ci_u32_e64 v60, null, s9, v5, vcc_lo
	v_add_co_u32 v61, vcc_lo, s10, v4
	s_wait_alu 0xfffd
	v_add_co_ci_u32_e64 v62, null, s11, v5, vcc_lo
	v_add3_u32 v9, v9, v15, v12
	v_add_co_u32 v12, vcc_lo, v10, 8
	v_add3_u32 v7, v7, v14, v13
	s_wait_alu 0xfffd
	v_add_co_ci_u32_e64 v13, null, 0, v11, vcc_lo
	s_delay_alu instid0(VALU_DEP_3)
	v_mul_lo_u32 v14, s7, v12
	s_add_nc_u64 s[20:21], s[0:1], 64
	v_lshlrev_b64_e32 v[4:5], 1, v[6:7]
	v_lshlrev_b64_e32 v[6:7], 1, v[8:9]
	v_mul_lo_u32 v13, s6, v13
	v_mad_co_u64_u32 v[8:9], null, s6, v12, 0
	s_lshl_b64 s[24:25], s[24:25], 1
	v_add_co_u32 v63, vcc_lo, s8, v4
	s_wait_alu 0xfffd
	v_add_co_ci_u32_e64 v64, null, s9, v5, vcc_lo
	v_add_co_u32 v65, vcc_lo, s10, v4
	v_add3_u32 v9, v9, v13, v14
	s_wait_alu 0xfffd
	v_add_co_ci_u32_e64 v66, null, s11, v5, vcc_lo
	v_add_co_u32 v67, vcc_lo, s8, v6
	s_wait_alu 0xfffd
	v_add_co_ci_u32_e64 v68, null, s9, v7, vcc_lo
	v_add_co_u32 v12, vcc_lo, v10, 7
	v_add_co_u32 v69, s3, s10, v6
	v_lshlrev_b64_e32 v[4:5], 1, v[8:9]
	s_wait_alu 0xfffd
	v_add_co_ci_u32_e64 v6, null, 0, v11, vcc_lo
	v_add_co_u32 v8, vcc_lo, v10, 6
	s_wait_alu 0xfffd
	v_add_co_ci_u32_e64 v9, null, 0, v11, vcc_lo
	s_wait_alu 0xf1ff
	v_add_co_ci_u32_e64 v70, null, s11, v7, s3
	v_mul_lo_u32 v13, s7, v12
	v_mul_lo_u32 v14, s6, v6
	v_mad_co_u64_u32 v[6:7], null, s6, v12, 0
	v_mul_lo_u32 v12, s7, v8
	v_mul_lo_u32 v15, s6, v9
	v_mad_co_u64_u32 v[8:9], null, s6, v8, 0
	v_add_co_u32 v71, vcc_lo, s8, v4
	s_wait_alu 0xfffd
	v_add_co_ci_u32_e64 v72, null, s9, v5, vcc_lo
	v_add_co_u32 v73, vcc_lo, s10, v4
	v_add3_u32 v7, v7, v14, v13
	s_wait_alu 0xfffd
	v_add_co_ci_u32_e64 v74, null, s11, v5, vcc_lo
	v_add3_u32 v9, v9, v15, v12
	v_add_co_u32 v12, vcc_lo, v10, 5
	s_wait_alu 0xfffd
	v_add_co_ci_u32_e64 v13, null, 0, v11, vcc_lo
	v_lshlrev_b64_e32 v[4:5], 1, v[6:7]
	v_lshlrev_b64_e32 v[6:7], 1, v[8:9]
	v_mul_lo_u32 v14, s7, v12
	s_delay_alu instid0(VALU_DEP_4)
	v_mul_lo_u32 v13, s6, v13
	v_mad_co_u64_u32 v[8:9], null, s6, v12, 0
	v_add_co_u32 v75, vcc_lo, s8, v4
	s_wait_alu 0xfffd
	v_add_co_ci_u32_e64 v76, null, s9, v5, vcc_lo
	v_add_co_u32 v77, vcc_lo, s10, v4
	s_wait_alu 0xfffd
	v_add_co_ci_u32_e64 v78, null, s11, v5, vcc_lo
	v_add_co_u32 v79, vcc_lo, s8, v6
	v_add3_u32 v9, v9, v13, v14
	s_wait_alu 0xfffd
	v_add_co_ci_u32_e64 v80, null, s9, v7, vcc_lo
	v_add_co_u32 v12, vcc_lo, v10, 4
	v_add_co_u32 v81, s3, s10, v6
	s_wait_alu 0xfffd
	v_add_co_ci_u32_e64 v6, null, 0, v11, vcc_lo
	v_lshlrev_b64_e32 v[4:5], 1, v[8:9]
	v_add_co_u32 v8, vcc_lo, v10, 3
	s_wait_alu 0xfffd
	v_add_co_ci_u32_e64 v9, null, 0, v11, vcc_lo
	s_wait_alu 0xf1ff
	v_add_co_ci_u32_e64 v82, null, s11, v7, s3
	v_mul_lo_u32 v13, s7, v12
	v_mul_lo_u32 v14, s6, v6
	v_mad_co_u64_u32 v[6:7], null, s6, v12, 0
	v_mul_lo_u32 v12, s7, v8
	v_mul_lo_u32 v15, s6, v9
	v_mad_co_u64_u32 v[8:9], null, s6, v8, 0
	v_add_co_u32 v83, vcc_lo, s8, v4
	s_wait_alu 0xfffd
	v_add_co_ci_u32_e64 v84, null, s9, v5, vcc_lo
	v_add3_u32 v7, v7, v14, v13
	v_add_co_u32 v85, vcc_lo, s10, v4
	s_wait_alu 0xfffd
	v_add_co_ci_u32_e64 v86, null, s11, v5, vcc_lo
	v_add_co_u32 v10, vcc_lo, v10, 2
	v_add3_u32 v9, v9, v15, v12
	s_wait_alu 0xfffd
	v_add_co_ci_u32_e64 v11, null, 0, v11, vcc_lo
	v_lshlrev_b64_e32 v[4:5], 1, v[6:7]
	v_mul_lo_u32 v12, s7, v10
	v_lshlrev_b64_e32 v[6:7], 1, v[8:9]
	s_delay_alu instid0(VALU_DEP_4)
	v_mul_lo_u32 v11, s6, v11
	v_mad_co_u64_u32 v[8:9], null, s6, v10, 0
	v_add_co_u32 v87, vcc_lo, s8, v4
	s_wait_alu 0xfffd
	v_add_co_ci_u32_e64 v88, null, s9, v5, vcc_lo
	v_add_co_u32 v89, vcc_lo, s10, v4
	s_wait_alu 0xfffd
	v_add_co_ci_u32_e64 v90, null, s11, v5, vcc_lo
	v_add_co_u32 v91, vcc_lo, s8, v6
	s_wait_alu 0xfffd
	v_add_co_ci_u32_e64 v92, null, s9, v7, vcc_lo
	v_add3_u32 v9, v9, v11, v12
	v_add_co_u32 v93, vcc_lo, s10, v6
	s_wait_alu 0xfffd
	v_add_co_ci_u32_e64 v94, null, s11, v7, vcc_lo
	v_add_co_u32 v2, vcc_lo, v2, s6
	s_wait_alu 0xfffd
	v_add_co_ci_u32_e64 v3, null, s7, v3, vcc_lo
	v_lshlrev_b64_e32 v[4:5], 1, v[8:9]
	s_add_nc_u64 s[26:27], s[16:17], 0xff
	s_mov_b64 s[28:29], s[16:17]
	s_delay_alu instid0(VALU_DEP_2) | instskip(NEXT) | instid1(VALU_DEP_2)
	v_lshlrev_b64_e32 v[2:3], 1, v[2:3]
	v_add_co_u32 v95, vcc_lo, s8, v4
	s_wait_alu 0xfffd
	v_add_co_ci_u32_e64 v96, null, s9, v5, vcc_lo
	v_add_co_u32 v97, vcc_lo, s10, v4
	s_wait_alu 0xfffd
	v_add_co_ci_u32_e64 v98, null, s11, v5, vcc_lo
	;; [unrolled: 3-line block ×4, first 2 shown]
.LBB105_3:                              ; =>This Inner Loop Header: Depth=1
	v_cmp_ge_i64_e64 s3, s[26:27], s[4:5]
	v_add_co_u32 v105, s18, v37, s26
	s_wait_alu 0xf1ff
	v_add_co_ci_u32_e64 v106, null, 0, s27, s18
                                        ; implicit-def: $vgpr2_vgpr3_vgpr4_vgpr5_vgpr6_vgpr7_vgpr8_vgpr9_vgpr10_vgpr11_vgpr12_vgpr13_vgpr14_vgpr15_vgpr16_vgpr17
                                        ; implicit-def: $vgpr108
                                        ; implicit-def: $vgpr18_vgpr19_vgpr20_vgpr21_vgpr22_vgpr23_vgpr24_vgpr25_vgpr26_vgpr27_vgpr28_vgpr29_vgpr30_vgpr31_vgpr32_vgpr33
                                        ; implicit-def: $vgpr3
	s_and_b32 vcc_lo, exec_lo, s3
	s_mov_b32 s3, -1
                                        ; implicit-def: $vgpr2
                                        ; implicit-def: $vgpr4
	s_wait_alu 0xfffe
	s_cbranch_vccz .LBB105_41
; %bb.4:                                ;   in Loop: Header=BB105_3 Depth=1
	s_load_b32 s3, s[20:21], 0xc
	v_dual_mov_b32 v108, 0 :: v_dual_mov_b32 v107, 0
	s_wait_kmcnt 0x0
	s_and_b32 s3, s3, 0xffff
	s_wait_alu 0xfffe
	v_mad_u32_u24 v2, v36, s3, v38
	s_mov_b32 s3, exec_lo
	s_delay_alu instid0(VALU_DEP_1) | instskip(NEXT) | instid1(VALU_DEP_1)
	v_and_b32_e32 v2, 31, v2
	v_cmpx_gt_u32_e32 16, v2
	s_cbranch_execz .LBB105_8
; %bb.5:                                ;   in Loop: Header=BB105_3 Depth=1
	v_add_co_u32 v2, vcc_lo, v105, v2
	s_wait_alu 0xfffd
	v_add_co_ci_u32_e64 v3, null, 0, v106, vcc_lo
	v_dual_mov_b32 v107, 0 :: v_dual_mov_b32 v108, 0
	s_delay_alu instid0(VALU_DEP_3) | instskip(SKIP_1) | instid1(VALU_DEP_3)
	v_add_co_u32 v2, vcc_lo, 0xffffff01, v2
	s_wait_alu 0xfffd
	v_add_co_ci_u32_e64 v3, null, -1, v3, vcc_lo
	s_mov_b32 s18, exec_lo
	v_cmpx_gt_i64_e64 s[4:5], v[2:3]
	s_cbranch_execz .LBB105_7
; %bb.6:                                ;   in Loop: Header=BB105_3 Depth=1
	v_lshlrev_b64_e32 v[2:3], 2, v[2:3]
	s_delay_alu instid0(VALU_DEP_1) | instskip(SKIP_1) | instid1(VALU_DEP_2)
	v_add_co_u32 v4, vcc_lo, s12, v2
	s_wait_alu 0xfffd
	v_add_co_ci_u32_e64 v5, null, s13, v3, vcc_lo
	v_add_co_u32 v2, vcc_lo, s14, v2
	s_wait_alu 0xfffd
	v_add_co_ci_u32_e64 v3, null, s15, v3, vcc_lo
	global_load_b32 v107, v[4:5], off
	global_load_b32 v108, v[2:3], off
.LBB105_7:                              ;   in Loop: Header=BB105_3 Depth=1
	s_wait_alu 0xfffe
	s_or_b32 exec_lo, exec_lo, s18
.LBB105_8:                              ;   in Loop: Header=BB105_3 Depth=1
	s_wait_alu 0xfffe
	s_or_b32 exec_lo, exec_lo, s3
	v_add_co_u32 v17, vcc_lo, 0xffffff01, v105
	s_wait_alu 0xfffd
	v_add_co_ci_u32_e64 v18, null, -1, v106, vcc_lo
	v_mov_b32_e32 v16, v1
	v_dual_mov_b32 v2, v1 :: v_dual_mov_b32 v3, v1
	v_dual_mov_b32 v4, v1 :: v_dual_mov_b32 v5, v1
	;; [unrolled: 1-line block ×7, first 2 shown]
	v_cmp_gt_i64_e32 vcc_lo, s[4:5], v[17:18]
	s_delay_alu instid0(VALU_DEP_3) | instskip(NEXT) | instid1(VALU_DEP_3)
	v_dual_mov_b32 v33, v16 :: v_dual_mov_b32 v30, v13
	v_dual_mov_b32 v31, v14 :: v_dual_mov_b32 v32, v15
	;; [unrolled: 1-line block ×8, first 2 shown]
	v_mov_b32_e32 v17, v16
	v_mov_b32_e32 v16, v15
	;; [unrolled: 1-line block ×16, first 2 shown]
	s_and_b32 s18, s2, vcc_lo
	s_wait_alu 0xfffe
	s_and_saveexec_b32 s3, s18
	s_cbranch_execz .LBB105_10
; %bb.9:                                ;   in Loop: Header=BB105_3 Depth=1
	v_add_co_u32 v2, vcc_lo, v39, v34
	s_wait_alu 0xfffd
	v_add_co_ci_u32_e64 v3, null, v40, v35, vcc_lo
	v_add_co_u32 v4, vcc_lo, v41, v34
	s_wait_alu 0xfffd
	v_add_co_ci_u32_e64 v5, null, v42, v35, vcc_lo
	global_load_u16 v2, v[2:3], off
	global_load_u16 v18, v[4:5], off
	v_dual_mov_b32 v3, v1 :: v_dual_mov_b32 v4, v1
	v_dual_mov_b32 v5, v1 :: v_dual_mov_b32 v6, v1
	;; [unrolled: 1-line block ×14, first 2 shown]
	v_mov_b32_e32 v31, v1
	s_wait_loadcnt 0x1
	v_dual_mov_b32 v33, v1 :: v_dual_lshlrev_b32 v2, 16, v2
	s_wait_loadcnt 0x0
	v_lshlrev_b32_e32 v18, 16, v18
.LBB105_10:                             ;   in Loop: Header=BB105_3 Depth=1
	s_wait_alu 0xfffe
	s_or_b32 exec_lo, exec_lo, s3
	v_add_co_u32 v109, vcc_lo, 0xffffff02, v105
	s_wait_alu 0xfffd
	v_add_co_ci_u32_e64 v110, null, -1, v106, vcc_lo
	s_delay_alu instid0(VALU_DEP_1)
	v_cmp_gt_i64_e32 vcc_lo, s[4:5], v[109:110]
	s_and_b32 s18, s2, vcc_lo
	s_wait_alu 0xfffe
	s_and_saveexec_b32 s3, s18
	s_cbranch_execz .LBB105_12
; %bb.11:                               ;   in Loop: Header=BB105_3 Depth=1
	v_add_co_u32 v109, vcc_lo, v99, v34
	s_wait_alu 0xfffd
	v_add_co_ci_u32_e64 v110, null, v101, v35, vcc_lo
	v_add_co_u32 v111, vcc_lo, v102, v34
	s_wait_alu 0xfffd
	v_add_co_ci_u32_e64 v112, null, v103, v35, vcc_lo
	global_load_u16 v3, v[109:110], off
	global_load_u16 v19, v[111:112], off
	s_wait_loadcnt 0x1
	v_lshlrev_b32_e32 v3, 16, v3
	s_wait_loadcnt 0x0
	v_lshlrev_b32_e32 v19, 16, v19
.LBB105_12:                             ;   in Loop: Header=BB105_3 Depth=1
	s_wait_alu 0xfffe
	s_or_b32 exec_lo, exec_lo, s3
	v_add_co_u32 v109, vcc_lo, 0xffffff03, v105
	s_wait_alu 0xfffd
	v_add_co_ci_u32_e64 v110, null, -1, v106, vcc_lo
	s_delay_alu instid0(VALU_DEP_1)
	v_cmp_gt_i64_e32 vcc_lo, s[4:5], v[109:110]
	s_and_b32 s18, s2, vcc_lo
	s_wait_alu 0xfffe
	s_and_saveexec_b32 s3, s18
	s_cbranch_execz .LBB105_14
; %bb.13:                               ;   in Loop: Header=BB105_3 Depth=1
	v_add_co_u32 v109, vcc_lo, v95, v34
	s_wait_alu 0xfffd
	v_add_co_ci_u32_e64 v110, null, v96, v35, vcc_lo
	v_add_co_u32 v111, vcc_lo, v97, v34
	s_wait_alu 0xfffd
	v_add_co_ci_u32_e64 v112, null, v98, v35, vcc_lo
	global_load_u16 v4, v[109:110], off
	global_load_u16 v20, v[111:112], off
	s_wait_loadcnt 0x1
	v_lshlrev_b32_e32 v4, 16, v4
	s_wait_loadcnt 0x0
	v_lshlrev_b32_e32 v20, 16, v20
.LBB105_14:                             ;   in Loop: Header=BB105_3 Depth=1
	;; [unrolled: 25-line block ×15, first 2 shown]
	s_wait_alu 0xfffe
	s_or_b32 exec_lo, exec_lo, s3
	s_wait_loadcnt 0x1
	ds_bpermute_b32 v109, v1, v107
	ds_bpermute_b32 v110, v1, v107 offset:4
	s_wait_loadcnt 0x0
	ds_bpermute_b32 v111, v1, v108
	ds_bpermute_b32 v113, v1, v107 offset:8
	ds_bpermute_b32 v117, v1, v107 offset:12
	;; [unrolled: 1-line block ×14, first 2 shown]
	s_mov_b32 s3, 0
	s_wait_dscnt 0xf
	v_dual_sub_f32 v18, v18, v109 :: v_dual_sub_f32 v19, v19, v110
	v_add_f32_e32 v112, v100, v2
	s_wait_dscnt 0xd
	v_sub_f32_e32 v20, v20, v113
	ds_bpermute_b32 v109, v1, v107 offset:28
	s_wait_dscnt 0xd
	v_dual_mul_f32 v2, v2, v18 :: v_dual_sub_f32 v21, v21, v117
	v_mul_f32_e32 v19, v3, v19
	v_add_f32_e32 v3, v3, v112
	v_mul_f32_e32 v20, v4, v20
	s_delay_alu instid0(VALU_DEP_4)
	v_fma_f32 v2, v2, v111, v104
	ds_bpermute_b32 v110, v1, v107 offset:36
	v_mul_f32_e32 v21, v5, v21
	ds_bpermute_b32 v113, v1, v107 offset:40
	ds_bpermute_b32 v18, v1, v108 offset:36
	s_wait_dscnt 0xf
	v_dual_fmac_f32 v2, v19, v114 :: v_dual_add_f32 v3, v4, v3
	ds_bpermute_b32 v4, v1, v107 offset:44
	ds_bpermute_b32 v111, v1, v108 offset:40
	;; [unrolled: 1-line block ×3, first 2 shown]
	s_wait_dscnt 0x11
	v_fmac_f32_e32 v2, v20, v115
	s_wait_dscnt 0x10
	v_dual_sub_f32 v20, v23, v121 :: v_dual_add_f32 v3, v5, v3
	ds_bpermute_b32 v5, v1, v108 offset:48
	s_wait_dscnt 0xe
	v_dual_fmac_f32 v2, v21, v116 :: v_dual_sub_f32 v21, v24, v123
	v_sub_f32_e32 v22, v22, v119
	v_dual_mul_f32 v20, v7, v20 :: v_dual_add_f32 v3, v6, v3
	s_delay_alu instid0(VALU_DEP_2)
	v_dual_mul_f32 v21, v8, v21 :: v_dual_mul_f32 v22, v6, v22
	ds_bpermute_b32 v6, v1, v107 offset:48
	v_add_f32_e32 v3, v7, v3
	ds_bpermute_b32 v7, v1, v108 offset:52
	s_wait_dscnt 0xf
	v_fmac_f32_e32 v2, v22, v118
	s_wait_dscnt 0x5
	v_dual_sub_f32 v4, v29, v4 :: v_dual_add_f32 v3, v8, v3
	ds_bpermute_b32 v8, v1, v107 offset:52
	v_fmac_f32_e32 v2, v20, v120
	v_mul_f32_e32 v4, v13, v4
	v_add_f32_e32 v3, v9, v3
	s_delay_alu instid0(VALU_DEP_1) | instskip(NEXT) | instid1(VALU_DEP_1)
	v_dual_sub_f32 v22, v25, v109 :: v_dual_add_f32 v3, v10, v3
	v_mul_f32_e32 v22, v9, v22
	ds_bpermute_b32 v9, v1, v107 offset:56
	s_wait_dscnt 0x3
	v_dual_sub_f32 v6, v30, v6 :: v_dual_add_f32 v3, v11, v3
	v_fmac_f32_e32 v2, v21, v122
	v_sub_f32_e32 v21, v27, v110
	v_sub_f32_e32 v20, v26, v126
	s_delay_alu instid0(VALU_DEP_4) | instskip(SKIP_2) | instid1(VALU_DEP_3)
	v_mul_f32_e32 v6, v14, v6
	s_wait_dscnt 0x1
	v_sub_f32_e32 v8, v31, v8
	v_dual_mul_f32 v21, v11, v21 :: v_dual_mul_f32 v20, v10, v20
	v_add_f32_e32 v11, v12, v3
	ds_bpermute_b32 v10, v1, v108 offset:56
	ds_bpermute_b32 v108, v1, v108 offset:60
	ds_bpermute_b32 v3, v1, v107 offset:60
	s_wait_dscnt 0x3
	v_dual_mul_f32 v8, v15, v8 :: v_dual_sub_f32 v9, v32, v9
	v_fmac_f32_e32 v2, v22, v124
	v_sub_f32_e32 v22, v28, v113
	s_delay_alu instid0(VALU_DEP_2) | instskip(NEXT) | instid1(VALU_DEP_2)
	v_fmac_f32_e32 v2, v20, v125
	v_mul_f32_e32 v20, v12, v22
	s_delay_alu instid0(VALU_DEP_2) | instskip(NEXT) | instid1(VALU_DEP_1)
	v_fmac_f32_e32 v2, v21, v18
	v_fmac_f32_e32 v2, v20, v111
	s_delay_alu instid0(VALU_DEP_1) | instskip(SKIP_1) | instid1(VALU_DEP_2)
	v_fmac_f32_e32 v2, v4, v19
	v_add_f32_e32 v4, v13, v11
	v_fmac_f32_e32 v2, v6, v5
	s_delay_alu instid0(VALU_DEP_2) | instskip(NEXT) | instid1(VALU_DEP_2)
	v_dual_add_f32 v4, v14, v4 :: v_dual_mul_f32 v5, v16, v9
	v_fmac_f32_e32 v2, v8, v7
	s_delay_alu instid0(VALU_DEP_2) | instskip(SKIP_1) | instid1(VALU_DEP_2)
	v_add_f32_e32 v4, v15, v4
	s_wait_dscnt 0x2
	v_fmac_f32_e32 v2, v5, v10
	s_delay_alu instid0(VALU_DEP_2)
	v_add_f32_e32 v4, v16, v4
.LBB105_41:                             ;   in Loop: Header=BB105_3 Depth=1
	s_wait_alu 0xfffe
	s_and_b32 vcc_lo, exec_lo, s3
	s_wait_alu 0xfffe
	s_cbranch_vccz .LBB105_64
; %bb.42:                               ;   in Loop: Header=BB105_3 Depth=1
	s_load_b32 s3, s[20:21], 0x0
	s_wait_dscnt 0x1
	v_dual_mov_b32 v108, 0 :: v_dual_mov_b32 v107, 0
	s_wait_kmcnt 0x0
	s_cmp_lt_u32 ttmp9, s3
	s_cselect_b32 s18, 12, 18
	s_wait_alu 0xfffe
	s_add_nc_u64 s[34:35], s[20:21], s[18:19]
	s_load_u16 s3, s[34:35], 0x0
	s_wait_kmcnt 0x0
	v_mad_u32_u24 v2, v36, s3, v38
	s_mov_b32 s3, exec_lo
	s_delay_alu instid0(VALU_DEP_1) | instskip(NEXT) | instid1(VALU_DEP_1)
	v_and_b32_e32 v2, 31, v2
	v_cmpx_gt_u32_e32 16, v2
	s_cbranch_execz .LBB105_46
; %bb.43:                               ;   in Loop: Header=BB105_3 Depth=1
	v_add_co_u32 v2, vcc_lo, v105, v2
	s_wait_dscnt 0x0
	s_wait_alu 0xfffd
	v_add_co_ci_u32_e64 v3, null, 0, v106, vcc_lo
	v_dual_mov_b32 v107, 0 :: v_dual_mov_b32 v108, 0
	v_add_co_u32 v2, vcc_lo, 0xffffff01, v2
	s_wait_alu 0xfffd
	s_delay_alu instid0(VALU_DEP_3)
	v_add_co_ci_u32_e64 v3, null, -1, v3, vcc_lo
	s_mov_b32 s18, exec_lo
	v_cmpx_gt_i64_e64 s[4:5], v[2:3]
	s_cbranch_execz .LBB105_45
; %bb.44:                               ;   in Loop: Header=BB105_3 Depth=1
	v_lshlrev_b64_e32 v[2:3], 2, v[2:3]
	s_delay_alu instid0(VALU_DEP_1) | instskip(SKIP_1) | instid1(VALU_DEP_2)
	v_add_co_u32 v4, vcc_lo, s12, v2
	s_wait_alu 0xfffd
	v_add_co_ci_u32_e64 v5, null, s13, v3, vcc_lo
	v_add_co_u32 v2, vcc_lo, s14, v2
	s_wait_alu 0xfffd
	v_add_co_ci_u32_e64 v3, null, s15, v3, vcc_lo
	global_load_b32 v107, v[4:5], off
	global_load_b32 v108, v[2:3], off
.LBB105_45:                             ;   in Loop: Header=BB105_3 Depth=1
	s_wait_alu 0xfffe
	s_or_b32 exec_lo, exec_lo, s18
.LBB105_46:                             ;   in Loop: Header=BB105_3 Depth=1
	s_wait_alu 0xfffe
	s_or_b32 exec_lo, exec_lo, s3
	v_mov_b32_e32 v16, v1
	s_wait_dscnt 0x0
	v_dual_mov_b32 v2, v1 :: v_dual_mov_b32 v3, v1
	v_dual_mov_b32 v4, v1 :: v_dual_mov_b32 v5, v1
	;; [unrolled: 1-line block ×7, first 2 shown]
	v_mov_b32_e32 v33, v16
	s_delay_alu instid0(VALU_DEP_3) | instskip(NEXT) | instid1(VALU_DEP_3)
	v_dual_mov_b32 v29, v12 :: v_dual_mov_b32 v28, v11
	v_dual_mov_b32 v31, v14 :: v_dual_mov_b32 v30, v13
	s_delay_alu instid0(VALU_DEP_4)
	v_dual_mov_b32 v32, v15 :: v_dual_mov_b32 v27, v10
	v_dual_mov_b32 v26, v9 :: v_dual_mov_b32 v25, v8
	;; [unrolled: 1-line block ×6, first 2 shown]
	v_mov_b32_e32 v16, v15
	v_mov_b32_e32 v15, v14
	;; [unrolled: 1-line block ×15, first 2 shown]
	s_and_saveexec_b32 s3, s2
	s_cbranch_execnz .LBB105_66
; %bb.47:                               ;   in Loop: Header=BB105_3 Depth=1
	s_wait_alu 0xfffe
	s_or_b32 exec_lo, exec_lo, s3
	s_and_saveexec_b32 s3, s2
	s_cbranch_execnz .LBB105_67
.LBB105_48:                             ;   in Loop: Header=BB105_3 Depth=1
	s_wait_alu 0xfffe
	s_or_b32 exec_lo, exec_lo, s3
	s_and_saveexec_b32 s3, s2
	s_cbranch_execnz .LBB105_68
.LBB105_49:                             ;   in Loop: Header=BB105_3 Depth=1
	s_wait_alu 0xfffe
	s_or_b32 exec_lo, exec_lo, s3
	s_and_saveexec_b32 s3, s2
	s_cbranch_execnz .LBB105_69
.LBB105_50:                             ;   in Loop: Header=BB105_3 Depth=1
	s_wait_alu 0xfffe
	s_or_b32 exec_lo, exec_lo, s3
	s_and_saveexec_b32 s3, s2
	s_cbranch_execnz .LBB105_70
.LBB105_51:                             ;   in Loop: Header=BB105_3 Depth=1
	s_wait_alu 0xfffe
	s_or_b32 exec_lo, exec_lo, s3
	s_and_saveexec_b32 s3, s2
	s_cbranch_execnz .LBB105_71
.LBB105_52:                             ;   in Loop: Header=BB105_3 Depth=1
	s_wait_alu 0xfffe
	s_or_b32 exec_lo, exec_lo, s3
	s_and_saveexec_b32 s3, s2
	s_cbranch_execnz .LBB105_72
.LBB105_53:                             ;   in Loop: Header=BB105_3 Depth=1
	s_wait_alu 0xfffe
	s_or_b32 exec_lo, exec_lo, s3
	s_and_saveexec_b32 s3, s2
	s_cbranch_execnz .LBB105_73
.LBB105_54:                             ;   in Loop: Header=BB105_3 Depth=1
	s_wait_alu 0xfffe
	s_or_b32 exec_lo, exec_lo, s3
	s_and_saveexec_b32 s3, s2
	s_cbranch_execnz .LBB105_74
.LBB105_55:                             ;   in Loop: Header=BB105_3 Depth=1
	s_wait_alu 0xfffe
	s_or_b32 exec_lo, exec_lo, s3
	s_and_saveexec_b32 s3, s2
	s_cbranch_execnz .LBB105_75
.LBB105_56:                             ;   in Loop: Header=BB105_3 Depth=1
	s_wait_alu 0xfffe
	s_or_b32 exec_lo, exec_lo, s3
	s_and_saveexec_b32 s3, s2
	s_cbranch_execnz .LBB105_76
.LBB105_57:                             ;   in Loop: Header=BB105_3 Depth=1
	s_wait_alu 0xfffe
	s_or_b32 exec_lo, exec_lo, s3
	s_and_saveexec_b32 s3, s2
	s_cbranch_execnz .LBB105_77
.LBB105_58:                             ;   in Loop: Header=BB105_3 Depth=1
	s_wait_alu 0xfffe
	s_or_b32 exec_lo, exec_lo, s3
	s_and_saveexec_b32 s3, s2
	s_cbranch_execnz .LBB105_78
.LBB105_59:                             ;   in Loop: Header=BB105_3 Depth=1
	s_wait_alu 0xfffe
	s_or_b32 exec_lo, exec_lo, s3
	s_and_saveexec_b32 s3, s2
	s_cbranch_execnz .LBB105_79
.LBB105_60:                             ;   in Loop: Header=BB105_3 Depth=1
	s_wait_alu 0xfffe
	s_or_b32 exec_lo, exec_lo, s3
	s_and_saveexec_b32 s3, s2
	s_cbranch_execnz .LBB105_80
.LBB105_61:                             ;   in Loop: Header=BB105_3 Depth=1
	s_wait_alu 0xfffe
	s_or_b32 exec_lo, exec_lo, s3
	s_and_saveexec_b32 s3, s2
	s_cbranch_execz .LBB105_63
.LBB105_62:                             ;   in Loop: Header=BB105_3 Depth=1
	v_add_co_u32 v105, vcc_lo, v43, v34
	s_wait_alu 0xfffd
	v_add_co_ci_u32_e64 v106, null, v44, v35, vcc_lo
	v_add_co_u32 v109, vcc_lo, v45, v34
	s_wait_alu 0xfffd
	v_add_co_ci_u32_e64 v110, null, v46, v35, vcc_lo
	global_load_u16 v17, v[105:106], off
	global_load_u16 v33, v[109:110], off
	s_wait_loadcnt 0x1
	v_lshlrev_b32_e32 v17, 16, v17
	s_wait_loadcnt 0x0
	v_lshlrev_b32_e32 v33, 16, v33
.LBB105_63:                             ;   in Loop: Header=BB105_3 Depth=1
	s_wait_alu 0xfffe
	s_or_b32 exec_lo, exec_lo, s3
	s_wait_loadcnt 0x1
	ds_bpermute_b32 v105, v1, v107
	ds_bpermute_b32 v106, v1, v107 offset:4
	s_wait_loadcnt 0x0
	ds_bpermute_b32 v109, v1, v108
	ds_bpermute_b32 v110, v1, v107 offset:8
	ds_bpermute_b32 v114, v1, v107 offset:12
	;; [unrolled: 1-line block ×13, first 2 shown]
	s_wait_dscnt 0xe
	v_dual_sub_f32 v18, v18, v105 :: v_dual_sub_f32 v19, v19, v106
	v_add_f32_e32 v100, v100, v2
	ds_bpermute_b32 v105, v1, v108 offset:28
	ds_bpermute_b32 v106, v1, v108 offset:36
	v_dual_mul_f32 v2, v2, v18 :: v_dual_mul_f32 v19, v3, v19
	v_add_f32_e32 v3, v3, v100
	s_wait_dscnt 0xc
	v_sub_f32_e32 v22, v22, v116
	ds_bpermute_b32 v18, v1, v107 offset:32
	v_dual_fmac_f32 v104, v2, v109 :: v_dual_sub_f32 v21, v21, v114
	v_sub_f32_e32 v20, v20, v110
	v_add_f32_e32 v3, v4, v3
	ds_bpermute_b32 v2, v1, v107 offset:36
	s_wait_dscnt 0xd
	v_dual_fmac_f32 v104, v19, v111 :: v_dual_mul_f32 v21, v5, v21
	v_dual_mul_f32 v20, v4, v20 :: v_dual_add_f32 v3, v5, v3
	s_wait_dscnt 0xa
	v_dual_sub_f32 v5, v24, v120 :: v_dual_sub_f32 v4, v23, v118
	ds_bpermute_b32 v19, v1, v107 offset:40
	v_dual_fmac_f32 v104, v20, v112 :: v_dual_add_f32 v3, v6, v3
	v_dual_mul_f32 v22, v6, v22 :: v_dual_mul_f32 v5, v8, v5
	ds_bpermute_b32 v109, v1, v108 offset:40
	ds_bpermute_b32 v20, v1, v108 offset:44
	v_add_f32_e32 v3, v7, v3
	s_delay_alu instid0(VALU_DEP_1) | instskip(SKIP_1) | instid1(VALU_DEP_1)
	v_dual_mul_f32 v4, v7, v4 :: v_dual_add_f32 v3, v8, v3
	s_wait_dscnt 0x4
	v_dual_sub_f32 v18, v26, v18 :: v_dual_add_f32 v3, v9, v3
	s_delay_alu instid0(VALU_DEP_1)
	v_dual_fmac_f32 v104, v21, v113 :: v_dual_mul_f32 v7, v10, v18
	ds_bpermute_b32 v21, v1, v107 offset:44
	v_dual_sub_f32 v6, v25, v121 :: v_dual_add_f32 v3, v10, v3
	v_fmac_f32_e32 v104, v22, v115
	ds_bpermute_b32 v22, v1, v108 offset:48
	v_dual_mul_f32 v6, v9, v6 :: v_dual_add_f32 v3, v11, v3
	s_wait_dscnt 0x5
	v_sub_f32_e32 v2, v27, v2
	s_wait_dscnt 0x1
	s_delay_alu instid0(VALU_DEP_1)
	v_dual_mul_f32 v2, v11, v2 :: v_dual_sub_f32 v9, v29, v21
	v_fmac_f32_e32 v104, v4, v117
	ds_bpermute_b32 v4, v1, v107 offset:48
	v_fmac_f32_e32 v104, v5, v119
	ds_bpermute_b32 v5, v1, v107 offset:52
	s_wait_dscnt 0x0
	v_sub_f32_e32 v5, v31, v5
	v_fmac_f32_e32 v104, v6, v105
	ds_bpermute_b32 v6, v1, v108 offset:52
	v_fmac_f32_e32 v104, v7, v122
	ds_bpermute_b32 v7, v1, v107 offset:56
	v_fmac_f32_e32 v104, v2, v106
	v_sub_f32_e32 v2, v30, v4
	v_dual_mul_f32 v4, v13, v9 :: v_dual_add_f32 v9, v12, v3
	v_sub_f32_e32 v8, v28, v19
	ds_bpermute_b32 v3, v1, v107 offset:60
	v_mul_f32_e32 v2, v14, v2
	v_mul_f32_e32 v8, v12, v8
	s_delay_alu instid0(VALU_DEP_1) | instskip(SKIP_4) | instid1(VALU_DEP_2)
	v_fmac_f32_e32 v104, v8, v109
	ds_bpermute_b32 v8, v1, v108 offset:56
	ds_bpermute_b32 v108, v1, v108 offset:60
	v_fmac_f32_e32 v104, v4, v20
	v_mul_f32_e32 v4, v15, v5
	v_dual_add_f32 v5, v13, v9 :: v_dual_fmac_f32 v104, v2, v22
	s_wait_dscnt 0x3
	s_delay_alu instid0(VALU_DEP_1) | instskip(NEXT) | instid1(VALU_DEP_2)
	v_dual_sub_f32 v2, v32, v7 :: v_dual_add_f32 v5, v14, v5
	v_fmac_f32_e32 v104, v4, v6
	s_delay_alu instid0(VALU_DEP_2) | instskip(NEXT) | instid1(VALU_DEP_3)
	v_mul_f32_e32 v2, v16, v2
	v_add_f32_e32 v4, v15, v5
	s_wait_dscnt 0x1
	s_delay_alu instid0(VALU_DEP_2) | instskip(NEXT) | instid1(VALU_DEP_2)
	v_fmac_f32_e32 v104, v2, v8
	v_add_f32_e32 v4, v16, v4
	s_delay_alu instid0(VALU_DEP_2)
	v_mov_b32_e32 v2, v104
.LBB105_64:                             ;   in Loop: Header=BB105_3 Depth=1
	v_add_co_u32 v39, vcc_lo, v39, s24
	s_wait_alu 0xfffd
	v_add_co_ci_u32_e64 v40, null, s25, v40, vcc_lo
	v_add_co_u32 v41, vcc_lo, v41, s24
	s_wait_alu 0xfffd
	v_add_co_ci_u32_e64 v42, null, s25, v42, vcc_lo
	;; [unrolled: 3-line block ×26, first 2 shown]
	v_add_co_u32 v91, vcc_lo, v91, s24
	s_wait_dscnt 0x0
	v_dual_sub_f32 v3, v33, v3 :: v_dual_add_f32 v100, v4, v17
	s_wait_alu 0xfffd
	v_add_co_ci_u32_e64 v92, null, s25, v92, vcc_lo
	v_add_co_u32 v93, vcc_lo, v93, s24
	s_wait_alu 0xfffd
	v_add_co_ci_u32_e64 v94, null, s25, v94, vcc_lo
	v_add_co_u32 v95, vcc_lo, v95, s24
	;; [unrolled: 3-line block ×3, first 2 shown]
	s_add_nc_u64 s[28:29], s[28:29], s[22:23]
	v_mul_f32_e32 v3, v17, v3
	s_wait_alu 0xfffd
	v_add_co_ci_u32_e64 v98, null, s25, v98, vcc_lo
	v_add_co_u32 v99, vcc_lo, v99, s24
	s_wait_alu 0xfffe
	v_cmp_lt_i64_e64 s3, s[28:29], s[4:5]
	s_wait_alu 0xfffd
	v_add_co_ci_u32_e64 v101, null, s25, v101, vcc_lo
	v_add_co_u32 v102, vcc_lo, v102, s24
	v_fmac_f32_e32 v2, v3, v108
	s_wait_alu 0xfffd
	v_add_co_ci_u32_e64 v103, null, s25, v103, vcc_lo
	s_and_b32 vcc_lo, exec_lo, s3
	s_add_nc_u64 s[26:27], s[26:27], s[22:23]
	s_wait_alu 0xfffe
	s_cbranch_vccz .LBB105_82
; %bb.65:                               ;   in Loop: Header=BB105_3 Depth=1
	v_mov_b32_e32 v104, v2
	s_branch .LBB105_3
.LBB105_66:                             ;   in Loop: Header=BB105_3 Depth=1
	v_add_co_u32 v2, vcc_lo, v39, v34
	s_wait_alu 0xfffd
	v_add_co_ci_u32_e64 v3, null, v40, v35, vcc_lo
	v_add_co_u32 v4, vcc_lo, v41, v34
	s_wait_alu 0xfffd
	v_add_co_ci_u32_e64 v5, null, v42, v35, vcc_lo
	global_load_u16 v2, v[2:3], off
	global_load_u16 v18, v[4:5], off
	v_dual_mov_b32 v3, v1 :: v_dual_mov_b32 v4, v1
	v_dual_mov_b32 v5, v1 :: v_dual_mov_b32 v6, v1
	v_dual_mov_b32 v7, v1 :: v_dual_mov_b32 v8, v1
	v_dual_mov_b32 v9, v1 :: v_dual_mov_b32 v10, v1
	v_dual_mov_b32 v11, v1 :: v_dual_mov_b32 v12, v1
	v_dual_mov_b32 v13, v1 :: v_dual_mov_b32 v14, v1
	v_dual_mov_b32 v15, v1 :: v_dual_mov_b32 v16, v1
	v_dual_mov_b32 v17, v1 :: v_dual_mov_b32 v20, v1
	v_dual_mov_b32 v19, v1 :: v_dual_mov_b32 v22, v1
	v_dual_mov_b32 v21, v1 :: v_dual_mov_b32 v24, v1
	v_dual_mov_b32 v23, v1 :: v_dual_mov_b32 v26, v1
	v_dual_mov_b32 v25, v1 :: v_dual_mov_b32 v28, v1
	v_dual_mov_b32 v27, v1 :: v_dual_mov_b32 v30, v1
	v_dual_mov_b32 v29, v1 :: v_dual_mov_b32 v32, v1
	v_mov_b32_e32 v31, v1
	s_wait_loadcnt 0x1
	v_dual_mov_b32 v33, v1 :: v_dual_lshlrev_b32 v2, 16, v2
	s_wait_loadcnt 0x0
	v_lshlrev_b32_e32 v18, 16, v18
	s_wait_alu 0xfffe
	s_or_b32 exec_lo, exec_lo, s3
	s_and_saveexec_b32 s3, s2
	s_cbranch_execz .LBB105_48
.LBB105_67:                             ;   in Loop: Header=BB105_3 Depth=1
	v_add_co_u32 v105, vcc_lo, v99, v34
	s_wait_alu 0xfffd
	v_add_co_ci_u32_e64 v106, null, v101, v35, vcc_lo
	v_add_co_u32 v109, vcc_lo, v102, v34
	s_wait_alu 0xfffd
	v_add_co_ci_u32_e64 v110, null, v103, v35, vcc_lo
	global_load_u16 v3, v[105:106], off
	global_load_u16 v19, v[109:110], off
	s_wait_loadcnt 0x1
	v_lshlrev_b32_e32 v3, 16, v3
	s_wait_loadcnt 0x0
	v_lshlrev_b32_e32 v19, 16, v19
	s_wait_alu 0xfffe
	s_or_b32 exec_lo, exec_lo, s3
	s_and_saveexec_b32 s3, s2
	s_cbranch_execz .LBB105_49
.LBB105_68:                             ;   in Loop: Header=BB105_3 Depth=1
	v_add_co_u32 v105, vcc_lo, v95, v34
	s_wait_alu 0xfffd
	v_add_co_ci_u32_e64 v106, null, v96, v35, vcc_lo
	v_add_co_u32 v109, vcc_lo, v97, v34
	s_wait_alu 0xfffd
	v_add_co_ci_u32_e64 v110, null, v98, v35, vcc_lo
	global_load_u16 v4, v[105:106], off
	global_load_u16 v20, v[109:110], off
	s_wait_loadcnt 0x1
	v_lshlrev_b32_e32 v4, 16, v4
	s_wait_loadcnt 0x0
	v_lshlrev_b32_e32 v20, 16, v20
	s_wait_alu 0xfffe
	s_or_b32 exec_lo, exec_lo, s3
	s_and_saveexec_b32 s3, s2
	s_cbranch_execz .LBB105_50
.LBB105_69:                             ;   in Loop: Header=BB105_3 Depth=1
	v_add_co_u32 v105, vcc_lo, v91, v34
	s_wait_alu 0xfffd
	v_add_co_ci_u32_e64 v106, null, v92, v35, vcc_lo
	v_add_co_u32 v109, vcc_lo, v93, v34
	s_wait_alu 0xfffd
	v_add_co_ci_u32_e64 v110, null, v94, v35, vcc_lo
	global_load_u16 v5, v[105:106], off
	global_load_u16 v21, v[109:110], off
	s_wait_loadcnt 0x1
	v_lshlrev_b32_e32 v5, 16, v5
	s_wait_loadcnt 0x0
	v_lshlrev_b32_e32 v21, 16, v21
	s_wait_alu 0xfffe
	s_or_b32 exec_lo, exec_lo, s3
	s_and_saveexec_b32 s3, s2
	s_cbranch_execz .LBB105_51
.LBB105_70:                             ;   in Loop: Header=BB105_3 Depth=1
	v_add_co_u32 v105, vcc_lo, v87, v34
	s_wait_alu 0xfffd
	v_add_co_ci_u32_e64 v106, null, v88, v35, vcc_lo
	v_add_co_u32 v109, vcc_lo, v89, v34
	s_wait_alu 0xfffd
	v_add_co_ci_u32_e64 v110, null, v90, v35, vcc_lo
	global_load_u16 v6, v[105:106], off
	global_load_u16 v22, v[109:110], off
	s_wait_loadcnt 0x1
	v_lshlrev_b32_e32 v6, 16, v6
	s_wait_loadcnt 0x0
	v_lshlrev_b32_e32 v22, 16, v22
	s_wait_alu 0xfffe
	s_or_b32 exec_lo, exec_lo, s3
	s_and_saveexec_b32 s3, s2
	s_cbranch_execz .LBB105_52
.LBB105_71:                             ;   in Loop: Header=BB105_3 Depth=1
	v_add_co_u32 v105, vcc_lo, v83, v34
	s_wait_alu 0xfffd
	v_add_co_ci_u32_e64 v106, null, v84, v35, vcc_lo
	v_add_co_u32 v109, vcc_lo, v85, v34
	s_wait_alu 0xfffd
	v_add_co_ci_u32_e64 v110, null, v86, v35, vcc_lo
	global_load_u16 v7, v[105:106], off
	global_load_u16 v23, v[109:110], off
	s_wait_loadcnt 0x1
	v_lshlrev_b32_e32 v7, 16, v7
	s_wait_loadcnt 0x0
	v_lshlrev_b32_e32 v23, 16, v23
	s_wait_alu 0xfffe
	s_or_b32 exec_lo, exec_lo, s3
	s_and_saveexec_b32 s3, s2
	s_cbranch_execz .LBB105_53
.LBB105_72:                             ;   in Loop: Header=BB105_3 Depth=1
	v_add_co_u32 v105, vcc_lo, v79, v34
	s_wait_alu 0xfffd
	v_add_co_ci_u32_e64 v106, null, v80, v35, vcc_lo
	v_add_co_u32 v109, vcc_lo, v81, v34
	s_wait_alu 0xfffd
	v_add_co_ci_u32_e64 v110, null, v82, v35, vcc_lo
	global_load_u16 v8, v[105:106], off
	global_load_u16 v24, v[109:110], off
	s_wait_loadcnt 0x1
	v_lshlrev_b32_e32 v8, 16, v8
	s_wait_loadcnt 0x0
	v_lshlrev_b32_e32 v24, 16, v24
	s_wait_alu 0xfffe
	s_or_b32 exec_lo, exec_lo, s3
	s_and_saveexec_b32 s3, s2
	s_cbranch_execz .LBB105_54
.LBB105_73:                             ;   in Loop: Header=BB105_3 Depth=1
	v_add_co_u32 v105, vcc_lo, v75, v34
	s_wait_alu 0xfffd
	v_add_co_ci_u32_e64 v106, null, v76, v35, vcc_lo
	v_add_co_u32 v109, vcc_lo, v77, v34
	s_wait_alu 0xfffd
	v_add_co_ci_u32_e64 v110, null, v78, v35, vcc_lo
	global_load_u16 v9, v[105:106], off
	global_load_u16 v25, v[109:110], off
	s_wait_loadcnt 0x1
	v_lshlrev_b32_e32 v9, 16, v9
	s_wait_loadcnt 0x0
	v_lshlrev_b32_e32 v25, 16, v25
	s_wait_alu 0xfffe
	s_or_b32 exec_lo, exec_lo, s3
	s_and_saveexec_b32 s3, s2
	s_cbranch_execz .LBB105_55
.LBB105_74:                             ;   in Loop: Header=BB105_3 Depth=1
	v_add_co_u32 v105, vcc_lo, v71, v34
	s_wait_alu 0xfffd
	v_add_co_ci_u32_e64 v106, null, v72, v35, vcc_lo
	v_add_co_u32 v109, vcc_lo, v73, v34
	s_wait_alu 0xfffd
	v_add_co_ci_u32_e64 v110, null, v74, v35, vcc_lo
	global_load_u16 v10, v[105:106], off
	global_load_u16 v26, v[109:110], off
	s_wait_loadcnt 0x1
	v_lshlrev_b32_e32 v10, 16, v10
	s_wait_loadcnt 0x0
	v_lshlrev_b32_e32 v26, 16, v26
	s_wait_alu 0xfffe
	s_or_b32 exec_lo, exec_lo, s3
	s_and_saveexec_b32 s3, s2
	s_cbranch_execz .LBB105_56
.LBB105_75:                             ;   in Loop: Header=BB105_3 Depth=1
	v_add_co_u32 v105, vcc_lo, v67, v34
	s_wait_alu 0xfffd
	v_add_co_ci_u32_e64 v106, null, v68, v35, vcc_lo
	v_add_co_u32 v109, vcc_lo, v69, v34
	s_wait_alu 0xfffd
	v_add_co_ci_u32_e64 v110, null, v70, v35, vcc_lo
	global_load_u16 v11, v[105:106], off
	global_load_u16 v27, v[109:110], off
	s_wait_loadcnt 0x1
	v_lshlrev_b32_e32 v11, 16, v11
	s_wait_loadcnt 0x0
	v_lshlrev_b32_e32 v27, 16, v27
	s_wait_alu 0xfffe
	s_or_b32 exec_lo, exec_lo, s3
	s_and_saveexec_b32 s3, s2
	s_cbranch_execz .LBB105_57
.LBB105_76:                             ;   in Loop: Header=BB105_3 Depth=1
	v_add_co_u32 v105, vcc_lo, v63, v34
	s_wait_alu 0xfffd
	v_add_co_ci_u32_e64 v106, null, v64, v35, vcc_lo
	v_add_co_u32 v109, vcc_lo, v65, v34
	s_wait_alu 0xfffd
	v_add_co_ci_u32_e64 v110, null, v66, v35, vcc_lo
	global_load_u16 v12, v[105:106], off
	global_load_u16 v28, v[109:110], off
	s_wait_loadcnt 0x1
	v_lshlrev_b32_e32 v12, 16, v12
	s_wait_loadcnt 0x0
	v_lshlrev_b32_e32 v28, 16, v28
	s_wait_alu 0xfffe
	s_or_b32 exec_lo, exec_lo, s3
	s_and_saveexec_b32 s3, s2
	s_cbranch_execz .LBB105_58
.LBB105_77:                             ;   in Loop: Header=BB105_3 Depth=1
	v_add_co_u32 v105, vcc_lo, v59, v34
	s_wait_alu 0xfffd
	v_add_co_ci_u32_e64 v106, null, v60, v35, vcc_lo
	v_add_co_u32 v109, vcc_lo, v61, v34
	s_wait_alu 0xfffd
	v_add_co_ci_u32_e64 v110, null, v62, v35, vcc_lo
	global_load_u16 v13, v[105:106], off
	global_load_u16 v29, v[109:110], off
	s_wait_loadcnt 0x1
	v_lshlrev_b32_e32 v13, 16, v13
	s_wait_loadcnt 0x0
	v_lshlrev_b32_e32 v29, 16, v29
	s_wait_alu 0xfffe
	s_or_b32 exec_lo, exec_lo, s3
	s_and_saveexec_b32 s3, s2
	s_cbranch_execz .LBB105_59
.LBB105_78:                             ;   in Loop: Header=BB105_3 Depth=1
	v_add_co_u32 v105, vcc_lo, v55, v34
	s_wait_alu 0xfffd
	v_add_co_ci_u32_e64 v106, null, v56, v35, vcc_lo
	v_add_co_u32 v109, vcc_lo, v57, v34
	s_wait_alu 0xfffd
	v_add_co_ci_u32_e64 v110, null, v58, v35, vcc_lo
	global_load_u16 v14, v[105:106], off
	global_load_u16 v30, v[109:110], off
	s_wait_loadcnt 0x1
	v_lshlrev_b32_e32 v14, 16, v14
	s_wait_loadcnt 0x0
	v_lshlrev_b32_e32 v30, 16, v30
	s_wait_alu 0xfffe
	s_or_b32 exec_lo, exec_lo, s3
	s_and_saveexec_b32 s3, s2
	s_cbranch_execz .LBB105_60
.LBB105_79:                             ;   in Loop: Header=BB105_3 Depth=1
	v_add_co_u32 v105, vcc_lo, v51, v34
	s_wait_alu 0xfffd
	v_add_co_ci_u32_e64 v106, null, v52, v35, vcc_lo
	v_add_co_u32 v109, vcc_lo, v53, v34
	s_wait_alu 0xfffd
	v_add_co_ci_u32_e64 v110, null, v54, v35, vcc_lo
	global_load_u16 v15, v[105:106], off
	global_load_u16 v31, v[109:110], off
	s_wait_loadcnt 0x1
	v_lshlrev_b32_e32 v15, 16, v15
	s_wait_loadcnt 0x0
	v_lshlrev_b32_e32 v31, 16, v31
	s_wait_alu 0xfffe
	s_or_b32 exec_lo, exec_lo, s3
	s_and_saveexec_b32 s3, s2
	s_cbranch_execz .LBB105_61
.LBB105_80:                             ;   in Loop: Header=BB105_3 Depth=1
	v_add_co_u32 v105, vcc_lo, v47, v34
	s_wait_alu 0xfffd
	v_add_co_ci_u32_e64 v106, null, v48, v35, vcc_lo
	v_add_co_u32 v109, vcc_lo, v49, v34
	s_wait_alu 0xfffd
	v_add_co_ci_u32_e64 v110, null, v50, v35, vcc_lo
	global_load_u16 v16, v[105:106], off
	global_load_u16 v32, v[109:110], off
	s_wait_loadcnt 0x1
	v_lshlrev_b32_e32 v16, 16, v16
	s_wait_loadcnt 0x0
	v_lshlrev_b32_e32 v32, 16, v32
	s_wait_alu 0xfffe
	s_or_b32 exec_lo, exec_lo, s3
	s_and_saveexec_b32 s3, s2
	s_cbranch_execnz .LBB105_62
	s_branch .LBB105_63
.LBB105_81:
                                        ; implicit-def: $vgpr2
                                        ; implicit-def: $vgpr100
	s_branch .LBB105_83
.LBB105_82:
	s_cbranch_execnz .LBB105_131
.LBB105_83:
	v_mov_b32_e32 v2, 0
	v_mov_b32_e32 v100, 0
	s_and_not1_b32 vcc_lo, exec_lo, s31
	s_wait_alu 0xfffe
	s_cbranch_vccnz .LBB105_131
; %bb.84:
	v_bfe_u32 v96, v0, 10, 10
	s_lshl_b64 s[2:3], s[16:17], 1
	v_and_b32_e32 v159, 0x3ff, v0
	v_mov_b32_e32 v165, 0
	s_add_nc_u64 s[20:21], s[16:17], 0xff
	v_dual_mov_b32 v164, 0 :: v_dual_lshlrev_b32 v97, 4, v96
	v_lshlrev_b32_e32 v1, 5, v96
	s_delay_alu instid0(VALU_DEP_2)
	v_add_co_u32 v3, s18, v97, s16
	s_wait_alu 0xf1ff
	v_add_co_ci_u32_e64 v4, null, 0, 0, s18
	s_wait_alu 0xfffe
	v_add_co_u32 v5, s2, v1, s2
	v_mul_lo_u32 v7, s7, v3
	s_delay_alu instid0(VALU_DEP_3)
	v_mul_lo_u32 v8, s6, v4
	v_mad_co_u64_u32 v[1:2], null, s6, v3, 0
	s_wait_alu 0xf1ff
	v_add_co_ci_u32_e64 v6, null, 0, s3, s2
	v_add_co_u32 v9, vcc_lo, v5, 2
	s_load_b32 s2, s[0:1], 0x44
	v_add_co_ci_u32_e64 v10, null, 0, v6, vcc_lo
	v_add_co_u32 v11, vcc_lo, v5, 4
	s_wait_alu 0xfffd
	v_add_co_ci_u32_e64 v12, null, 0, v6, vcc_lo
	v_add3_u32 v2, v2, v8, v7
	v_add_co_u32 v7, vcc_lo, v5, 6
	s_wait_alu 0xfffd
	v_add_co_ci_u32_e64 v8, null, 0, v6, vcc_lo
	v_add_co_u32 v15, vcc_lo, v5, 8
	s_wait_alu 0xfffd
	v_add_co_ci_u32_e64 v16, null, 0, v6, vcc_lo
	;; [unrolled: 3-line block ×12, first 2 shown]
	v_add_co_u32 v5, vcc_lo, v5, 30
	v_mad_co_u64_u32 v[52:53], null, s6, v33, s[8:9]
	v_mul_lo_u32 v91, s6, v54
	v_mul_lo_u32 v92, s7, v33
	v_mad_co_u64_u32 v[54:55], null, s6, v84, s[8:9]
	v_mul_lo_u32 v93, s6, v56
	v_mul_lo_u32 v94, s7, v84
	v_mad_co_u64_u32 v[82:83], null, s6, v33, s[10:11]
	v_mad_co_u64_u32 v[84:85], null, s6, v84, s[10:11]
	s_wait_alu 0xfffd
	v_add_co_ci_u32_e64 v6, null, 0, v6, vcc_lo
	v_mad_co_u64_u32 v[38:39], null, s6, v7, s[8:9]
	v_mul_lo_u32 v8, s6, v8
	v_mul_lo_u32 v17, s7, v7
	v_mad_co_u64_u32 v[68:69], null, s6, v7, s[10:11]
	v_mul_lo_u32 v104, s6, v6
	v_add_co_u32 v6, vcc_lo, v3, 15
	v_mad_co_u64_u32 v[36:37], null, s6, v11, s[8:9]
	v_mul_lo_u32 v12, s6, v12
	v_mul_lo_u32 v14, s7, v11
	v_mad_co_u64_u32 v[66:67], null, s6, v11, s[10:11]
	v_add3_u32 v53, v92, v53, v91
	v_add3_u32 v55, v94, v55, v93
	v_mul_lo_u32 v102, s6, v62
	v_mad_co_u64_u32 v[62:63], null, s6, v5, s[8:9]
	v_mul_lo_u32 v105, s7, v5
	v_add3_u32 v83, v92, v83, v91
	v_add3_u32 v85, v94, v85, v93
	v_mad_co_u64_u32 v[92:93], null, s6, v5, s[10:11]
	s_wait_alu 0xfffd
	v_add_co_ci_u32_e64 v5, null, 0, v4, vcc_lo
	v_add_co_u32 v7, vcc_lo, v3, 14
	v_mad_co_u64_u32 v[34:35], null, s6, v9, s[8:9]
	v_mul_lo_u32 v10, s6, v10
	v_mul_lo_u32 v13, s7, v9
	v_mad_co_u64_u32 v[64:65], null, s6, v9, s[10:11]
	v_add3_u32 v39, v17, v39, v8
	v_add3_u32 v69, v17, v69, v8
	s_wait_alu 0xfffd
	v_add_co_ci_u32_e64 v8, null, 0, v4, vcc_lo
	v_add3_u32 v37, v14, v37, v12
	v_add3_u32 v67, v14, v67, v12
	v_mul_lo_u32 v11, s7, v7
	s_delay_alu instid0(VALU_DEP_4)
	v_mul_lo_u32 v12, s6, v8
	v_mad_co_u64_u32 v[7:8], null, s6, v7, 0
	v_add3_u32 v35, v13, v35, v10
	v_mad_co_u64_u32 v[40:41], null, s6, v15, s[8:9]
	v_mul_lo_u32 v16, s6, v16
	v_mul_lo_u32 v19, s7, v15
	v_mad_co_u64_u32 v[70:71], null, s6, v15, s[10:11]
	v_add3_u32 v65, v13, v65, v10
	v_mul_lo_u32 v9, s7, v6
	v_mul_lo_u32 v10, s6, v5
	v_mad_co_u64_u32 v[5:6], null, s6, v6, 0
	v_mad_co_u64_u32 v[42:43], null, s6, v18, s[8:9]
	v_mul_lo_u32 v20, s6, v20
	v_mul_lo_u32 v23, s7, v18
	v_mad_co_u64_u32 v[72:73], null, s6, v18, s[10:11]
	v_add_co_u32 v13, vcc_lo, v3, 13
	v_mad_co_u64_u32 v[44:45], null, s6, v21, s[8:9]
	v_mul_lo_u32 v22, s6, v22
	v_mul_lo_u32 v25, s7, v21
	v_mad_co_u64_u32 v[74:75], null, s6, v21, s[10:11]
	s_wait_alu 0xfffd
	v_add_co_ci_u32_e64 v14, null, 0, v4, vcc_lo
	v_add3_u32 v8, v8, v12, v11
	v_add_co_u32 v11, vcc_lo, v3, 12
	v_add3_u32 v41, v19, v41, v16
	v_add3_u32 v71, v19, v71, v16
	;; [unrolled: 1-line block ×3, first 2 shown]
	v_mul_lo_u32 v19, s7, v13
	v_mad_co_u64_u32 v[9:10], null, s6, v13, 0
	s_wait_alu 0xfffd
	v_add_co_ci_u32_e64 v12, null, 0, v4, vcc_lo
	v_add_co_u32 v13, vcc_lo, v3, 11
	v_mad_co_u64_u32 v[46:47], null, s6, v24, s[8:9]
	v_mul_lo_u32 v26, s6, v26
	v_mul_lo_u32 v29, s7, v24
	v_mad_co_u64_u32 v[76:77], null, s6, v24, s[10:11]
	v_add3_u32 v43, v23, v43, v20
	v_add3_u32 v73, v23, v73, v20
	v_mul_lo_u32 v20, s6, v14
	s_wait_alu 0xfffd
	v_add_co_ci_u32_e64 v14, null, 0, v4, vcc_lo
	v_add_co_u32 v15, vcc_lo, v3, 10
	s_wait_alu 0xfffd
	v_add_co_ci_u32_e64 v16, null, 0, v4, vcc_lo
	v_add3_u32 v45, v25, v45, v22
	v_add3_u32 v75, v25, v75, v22
	v_mul_lo_u32 v21, s7, v11
	v_mul_lo_u32 v22, s6, v12
	v_mad_co_u64_u32 v[11:12], null, s6, v11, 0
	v_mul_lo_u32 v23, s7, v13
	v_mul_lo_u32 v24, s6, v14
	v_mad_co_u64_u32 v[13:14], null, s6, v13, 0
	v_mad_co_u64_u32 v[50:51], null, s6, v31, s[8:9]
	v_mul_lo_u32 v32, s6, v32
	v_mul_lo_u32 v90, s7, v31
	v_mad_co_u64_u32 v[80:81], null, s6, v31, s[10:11]
	v_add3_u32 v47, v29, v47, v26
	v_add3_u32 v77, v29, v77, v26
	v_mul_lo_u32 v25, s7, v15
	v_add_co_u32 v17, vcc_lo, v3, 9
	v_mul_lo_u32 v26, s6, v16
	v_mad_co_u64_u32 v[15:16], null, s6, v15, 0
	s_wait_alu 0xfffd
	v_add_co_ci_u32_e64 v18, null, 0, v4, vcc_lo
	v_add3_u32 v10, v10, v20, v19
	v_add_co_u32 v19, vcc_lo, v3, 8
	v_mad_co_u64_u32 v[48:49], null, s6, v27, s[8:9]
	v_mul_lo_u32 v28, s6, v28
	v_mul_lo_u32 v30, s7, v27
	v_mad_co_u64_u32 v[78:79], null, s6, v27, s[10:11]
	v_add3_u32 v12, v12, v22, v21
	s_wait_alu 0xfffd
	v_add_co_ci_u32_e64 v20, null, 0, v4, vcc_lo
	v_add_co_u32 v21, vcc_lo, v3, 7
	v_mad_co_u64_u32 v[56:57], null, s6, v86, s[8:9]
	v_mul_lo_u32 v95, s6, v58
	v_mul_lo_u32 v98, s7, v86
	v_mad_co_u64_u32 v[86:87], null, s6, v86, s[10:11]
	v_add3_u32 v14, v14, v24, v23
	s_wait_alu 0xfffd
	v_add_co_ci_u32_e64 v22, null, 0, v4, vcc_lo
	v_add_co_u32 v23, vcc_lo, v3, 6
	v_add3_u32 v51, v90, v51, v32
	v_mad_co_u64_u32 v[58:59], null, s6, v88, s[8:9]
	v_mul_lo_u32 v99, s6, v60
	v_mul_lo_u32 v101, s7, v88
	v_mad_co_u64_u32 v[60:61], null, s6, v100, s[8:9]
	v_mul_lo_u32 v103, s7, v100
	v_mad_co_u64_u32 v[88:89], null, s6, v88, s[10:11]
	v_add3_u32 v81, v90, v81, v32
	v_mad_co_u64_u32 v[90:91], null, s6, v100, s[10:11]
	v_mul_lo_u32 v31, s7, v17
	v_mul_lo_u32 v32, s6, v18
	v_mad_co_u64_u32 v[17:18], null, s6, v17, 0
	v_add3_u32 v16, v16, v26, v25
	s_wait_alu 0xfffd
	v_add_co_ci_u32_e64 v24, null, 0, v4, vcc_lo
	v_add_co_u32 v25, vcc_lo, v3, 5
	s_wait_alu 0xfffd
	v_add_co_ci_u32_e64 v26, null, 0, v4, vcc_lo
	v_add_co_u32 v27, vcc_lo, v3, 4
	v_add3_u32 v49, v30, v49, v28
	v_add3_u32 v79, v30, v79, v28
	s_wait_alu 0xfffd
	v_add_co_ci_u32_e64 v28, null, 0, v4, vcc_lo
	v_add_co_u32 v29, vcc_lo, v3, 3
	v_add3_u32 v57, v98, v57, v95
	v_add3_u32 v87, v98, v87, v95
	v_mul_lo_u32 v95, s7, v21
	v_mul_lo_u32 v98, s6, v22
	v_mad_co_u64_u32 v[21:22], null, s6, v21, 0
	v_add3_u32 v63, v105, v63, v104
	v_add3_u32 v93, v105, v93, v104
	s_wait_alu 0xfffd
	v_add_co_ci_u32_e64 v30, null, 0, v4, vcc_lo
	v_add_co_u32 v105, vcc_lo, v3, 2
	v_add3_u32 v59, v101, v59, v99
	v_add3_u32 v61, v103, v61, v102
	;; [unrolled: 1-line block ×4, first 2 shown]
	v_mul_lo_u32 v99, s7, v23
	v_mul_lo_u32 v100, s6, v24
	v_mad_co_u64_u32 v[23:24], null, s6, v23, 0
	v_mul_lo_u32 v101, s7, v25
	v_mul_lo_u32 v102, s6, v26
	v_mad_co_u64_u32 v[25:26], null, s6, v25, 0
	v_add3_u32 v18, v18, v32, v31
	v_lshlrev_b64_e32 v[31:32], 1, v[1:2]
	s_wait_alu 0xfffd
	v_add_co_ci_u32_e64 v106, null, 0, v4, vcc_lo
	v_mul_lo_u32 v103, s7, v27
	v_mul_lo_u32 v104, s6, v28
	v_mad_co_u64_u32 v[27:28], null, s6, v27, 0
	v_add_co_u32 v1, vcc_lo, v1, s6
	v_lshlrev_b64_e32 v[5:6], 1, v[5:6]
	v_mul_lo_u32 v107, s6, v30
	v_mul_lo_u32 v108, s7, v29
	v_mad_co_u64_u32 v[3:4], null, s6, v29, 0
	v_mul_lo_u32 v106, s6, v106
	v_mul_lo_u32 v109, s7, v105
	v_mad_co_u64_u32 v[29:30], null, s6, v105, 0
	v_add3_u32 v22, v22, v98, v95
	s_wait_alu 0xfffd
	v_add_co_ci_u32_e64 v2, null, s7, v2, vcc_lo
	v_add_co_u32 v98, vcc_lo, s8, v31
	v_add3_u32 v24, v24, v100, v99
	v_add3_u32 v26, v26, v102, v101
	s_wait_alu 0xfffd
	v_add_co_ci_u32_e64 v99, null, s9, v32, vcc_lo
	v_add_co_u32 v101, vcc_lo, s10, v31
	v_lshlrev_b64_e32 v[7:8], 1, v[7:8]
	v_add3_u32 v28, v28, v104, v103
	s_wait_alu 0xfffd
	v_add_co_ci_u32_e64 v102, null, s11, v32, vcc_lo
	v_add_co_u32 v103, vcc_lo, s8, v5
	s_wait_alu 0xfffd
	v_add_co_ci_u32_e64 v104, null, s9, v6, vcc_lo
	v_add_co_u32 v105, vcc_lo, s10, v5
	v_add3_u32 v4, v4, v107, v108
	v_add3_u32 v30, v30, v106, v109
	s_wait_alu 0xfffd
	v_add_co_ci_u32_e64 v106, null, s11, v6, vcc_lo
	v_add_co_u32 v107, vcc_lo, s8, v7
	v_lshlrev_b64_e32 v[5:6], 1, v[9:10]
	s_wait_alu 0xfffd
	v_add_co_ci_u32_e64 v108, null, s9, v8, vcc_lo
	v_add_co_u32 v109, vcc_lo, s10, v7
	s_wait_alu 0xfffd
	v_add_co_ci_u32_e64 v110, null, s11, v8, vcc_lo
	v_lshlrev_b64_e32 v[7:8], 1, v[11:12]
	v_add_co_u32 v111, vcc_lo, s8, v5
	s_wait_alu 0xfffd
	v_add_co_ci_u32_e64 v112, null, s9, v6, vcc_lo
	v_add_co_u32 v113, vcc_lo, s10, v5
	s_wait_alu 0xfffd
	v_add_co_ci_u32_e64 v114, null, s11, v6, vcc_lo
	v_add_co_u32 v115, vcc_lo, s8, v7
	v_lshlrev_b64_e32 v[5:6], 1, v[13:14]
	v_mul_lo_u32 v33, s7, v19
	v_mul_lo_u32 v94, s6, v20
	v_mad_co_u64_u32 v[19:20], null, s6, v19, 0
	s_wait_alu 0xfffd
	v_add_co_ci_u32_e64 v116, null, s9, v8, vcc_lo
	v_add_co_u32 v117, vcc_lo, s10, v7
	s_wait_alu 0xfffd
	v_add_co_ci_u32_e64 v118, null, s11, v8, vcc_lo
	v_lshlrev_b64_e32 v[7:8], 1, v[15:16]
	v_add_co_u32 v119, vcc_lo, s8, v5
	s_wait_alu 0xfffd
	v_add_co_ci_u32_e64 v120, null, s9, v6, vcc_lo
	v_add_co_u32 v121, vcc_lo, s10, v5
	v_add3_u32 v20, v20, v94, v33
	s_wait_alu 0xfffd
	v_add_co_ci_u32_e64 v122, null, s11, v6, vcc_lo
	v_add_co_u32 v123, vcc_lo, s8, v7
	v_lshlrev_b64_e32 v[5:6], 1, v[17:18]
	s_wait_alu 0xfffd
	v_add_co_ci_u32_e64 v124, null, s9, v8, vcc_lo
	v_add_co_u32 v125, vcc_lo, s10, v7
	s_wait_alu 0xfffd
	v_add_co_ci_u32_e64 v126, null, s11, v8, vcc_lo
	v_lshlrev_b64_e32 v[7:8], 1, v[19:20]
	v_add_co_u32 v127, vcc_lo, s8, v5
	s_wait_alu 0xfffd
	v_add_co_ci_u32_e64 v128, null, s9, v6, vcc_lo
	v_add_co_u32 v129, vcc_lo, s10, v5
	s_wait_alu 0xfffd
	v_add_co_ci_u32_e64 v130, null, s11, v6, vcc_lo
	v_add_co_u32 v131, vcc_lo, s8, v7
	v_lshlrev_b64_e32 v[5:6], 1, v[21:22]
	s_wait_alu 0xfffd
	v_add_co_ci_u32_e64 v132, null, s9, v8, vcc_lo
	v_add_co_u32 v133, vcc_lo, s10, v7
	s_wait_alu 0xfffd
	v_add_co_ci_u32_e64 v134, null, s11, v8, vcc_lo
	v_lshlrev_b64_e32 v[7:8], 1, v[23:24]
	v_add_co_u32 v135, vcc_lo, s8, v5
	s_wait_alu 0xfffd
	v_add_co_ci_u32_e64 v136, null, s9, v6, vcc_lo
	v_add_co_u32 v137, vcc_lo, s10, v5
	s_wait_alu 0xfffd
	v_add_co_ci_u32_e64 v138, null, s11, v6, vcc_lo
	v_add_co_u32 v139, vcc_lo, s8, v7
	v_lshlrev_b64_e32 v[5:6], 1, v[25:26]
	s_wait_alu 0xfffd
	v_add_co_ci_u32_e64 v140, null, s9, v8, vcc_lo
	v_add_co_u32 v141, vcc_lo, s10, v7
	s_wait_alu 0xfffd
	v_add_co_ci_u32_e64 v142, null, s11, v8, vcc_lo
	v_lshlrev_b64_e32 v[7:8], 1, v[27:28]
	v_add_co_u32 v143, vcc_lo, s8, v5
	s_wait_alu 0xfffd
	v_add_co_ci_u32_e64 v144, null, s9, v6, vcc_lo
	v_add_co_u32 v145, vcc_lo, s10, v5
	v_lshlrev_b64_e32 v[3:4], 1, v[3:4]
	s_wait_alu 0xfffd
	v_add_co_ci_u32_e64 v146, null, s11, v6, vcc_lo
	v_add_co_u32 v147, vcc_lo, s8, v7
	s_wait_alu 0xfffd
	v_add_co_ci_u32_e64 v148, null, s9, v8, vcc_lo
	v_add_co_u32 v149, vcc_lo, s10, v7
	v_lshlrev_b64_e32 v[5:6], 1, v[29:30]
	s_wait_alu 0xfffd
	v_add_co_ci_u32_e64 v150, null, s11, v8, vcc_lo
	v_add_co_u32 v151, vcc_lo, s8, v3
	s_wait_alu 0xfffd
	v_add_co_ci_u32_e64 v152, null, s9, v4, vcc_lo
	v_add_co_u32 v153, vcc_lo, s10, v3
	v_lshlrev_b64_e32 v[2:3], 1, v[1:2]
	v_mov_b32_e32 v1, 0
	s_wait_alu 0xfffd
	v_add_co_ci_u32_e64 v154, null, s11, v4, vcc_lo
	v_add_co_u32 v155, vcc_lo, s8, v5
	s_wait_alu 0xfffd
	v_add_co_ci_u32_e64 v156, null, s9, v6, vcc_lo
	v_add_co_u32 v157, vcc_lo, s10, v5
	v_dual_mov_b32 v5, v1 :: v_dual_add_nc_u32 v4, s30, v159
	s_wait_alu 0xfffd
	v_add_co_ci_u32_e64 v158, null, s11, v6, vcc_lo
	v_add_co_u32 v160, vcc_lo, s8, v2
	s_mov_b32 s3, 0
	s_wait_alu 0xfffd
	v_add_co_ci_u32_e64 v161, null, s9, v3, vcc_lo
	v_add_co_u32 v162, vcc_lo, s10, v2
	s_wait_kmcnt 0x0
	s_lshl_b32 s8, s2, 8
	s_wait_alu 0xfffe
	s_mov_b32 s9, s3
	v_lshlrev_b64_e32 v[94:95], 1, v[4:5]
	s_wait_alu 0xfffd
	v_add_co_ci_u32_e64 v163, null, s11, v3, vcc_lo
	s_wait_alu 0xfffe
	s_mul_u64 s[18:19], s[6:7], s[8:9]
	s_add_nc_u64 s[10:11], s[0:1], 64
	s_wait_alu 0xfffe
	s_lshl_b64 s[18:19], s[18:19], 1
.LBB105_85:                             ; =>This Inner Loop Header: Depth=1
	v_cmp_ge_i64_e64 s2, s[20:21], s[4:5]
	v_add_co_u32 v166, s22, v97, s20
	s_wait_alu 0xf1ff
	v_add_co_ci_u32_e64 v167, null, 0, s21, s22
                                        ; implicit-def: $vgpr100
                                        ; implicit-def: $vgpr2
	s_and_b32 vcc_lo, exec_lo, s2
	s_mov_b32 s2, -1
	s_wait_alu 0xfffe
	s_cbranch_vccz .LBB105_123
; %bb.86:                               ;   in Loop: Header=BB105_85 Depth=1
	s_load_b32 s2, s[10:11], 0xc
	v_mov_b32_e32 v100, 0
	v_mov_b32_e32 v168, 0
	s_wait_kmcnt 0x0
	s_and_b32 s2, s2, 0xffff
	s_wait_alu 0xfffe
	v_mad_u32_u24 v2, v96, s2, v159
	s_mov_b32 s2, exec_lo
	s_delay_alu instid0(VALU_DEP_1) | instskip(NEXT) | instid1(VALU_DEP_1)
	v_and_b32_e32 v2, 31, v2
	v_cmpx_gt_u32_e32 16, v2
	s_cbranch_execz .LBB105_90
; %bb.87:                               ;   in Loop: Header=BB105_85 Depth=1
	v_add_co_u32 v2, vcc_lo, v166, v2
	s_wait_alu 0xfffd
	v_add_co_ci_u32_e64 v3, null, 0, v167, vcc_lo
	v_mov_b32_e32 v168, 0
	s_delay_alu instid0(VALU_DEP_3) | instskip(SKIP_1) | instid1(VALU_DEP_3)
	v_add_co_u32 v2, vcc_lo, 0xffffff01, v2
	s_wait_alu 0xfffd
	v_add_co_ci_u32_e64 v3, null, -1, v3, vcc_lo
	v_mov_b32_e32 v100, 0
	s_mov_b32 s22, exec_lo
	s_delay_alu instid0(VALU_DEP_2)
	v_cmpx_gt_i64_e64 s[4:5], v[2:3]
	s_cbranch_execz .LBB105_89
; %bb.88:                               ;   in Loop: Header=BB105_85 Depth=1
	v_lshlrev_b64_e32 v[2:3], 2, v[2:3]
	s_delay_alu instid0(VALU_DEP_1) | instskip(SKIP_1) | instid1(VALU_DEP_2)
	v_add_co_u32 v4, vcc_lo, s12, v2
	s_wait_alu 0xfffd
	v_add_co_ci_u32_e64 v5, null, s13, v3, vcc_lo
	v_add_co_u32 v2, vcc_lo, s14, v2
	s_wait_alu 0xfffd
	v_add_co_ci_u32_e64 v3, null, s15, v3, vcc_lo
	global_load_b32 v168, v[4:5], off
	global_load_b32 v100, v[2:3], off
.LBB105_89:                             ;   in Loop: Header=BB105_85 Depth=1
	s_wait_alu 0xfffe
	s_or_b32 exec_lo, exec_lo, s22
.LBB105_90:                             ;   in Loop: Header=BB105_85 Depth=1
	s_wait_alu 0xfffe
	s_or_b32 exec_lo, exec_lo, s2
	v_add_co_u32 v17, vcc_lo, 0xffffff01, v166
	s_wait_alu 0xfffd
	v_add_co_ci_u32_e64 v18, null, -1, v167, vcc_lo
	v_mov_b32_e32 v16, v1
	v_dual_mov_b32 v2, v1 :: v_dual_mov_b32 v3, v1
	v_dual_mov_b32 v4, v1 :: v_dual_mov_b32 v5, v1
	;; [unrolled: 1-line block ×7, first 2 shown]
	v_cmp_gt_i64_e32 vcc_lo, s[4:5], v[17:18]
	s_delay_alu instid0(VALU_DEP_3) | instskip(NEXT) | instid1(VALU_DEP_3)
	v_dual_mov_b32 v33, v16 :: v_dual_mov_b32 v30, v13
	v_dual_mov_b32 v31, v14 :: v_dual_mov_b32 v32, v15
	;; [unrolled: 1-line block ×8, first 2 shown]
	v_mov_b32_e32 v17, v16
	v_mov_b32_e32 v16, v15
	;; [unrolled: 1-line block ×16, first 2 shown]
	s_and_saveexec_b32 s2, vcc_lo
	s_cbranch_execz .LBB105_92
; %bb.91:                               ;   in Loop: Header=BB105_85 Depth=1
	v_add_co_u32 v2, vcc_lo, v98, v94
	s_wait_alu 0xfffd
	v_add_co_ci_u32_e64 v3, null, v99, v95, vcc_lo
	v_add_co_u32 v4, vcc_lo, v101, v94
	s_wait_alu 0xfffd
	v_add_co_ci_u32_e64 v5, null, v102, v95, vcc_lo
	global_load_u16 v2, v[2:3], off
	global_load_u16 v18, v[4:5], off
	v_dual_mov_b32 v3, v1 :: v_dual_mov_b32 v4, v1
	v_dual_mov_b32 v5, v1 :: v_dual_mov_b32 v6, v1
	;; [unrolled: 1-line block ×14, first 2 shown]
	v_mov_b32_e32 v31, v1
	s_wait_loadcnt 0x1
	v_dual_mov_b32 v33, v1 :: v_dual_lshlrev_b32 v2, 16, v2
	s_wait_loadcnt 0x0
	v_lshlrev_b32_e32 v18, 16, v18
.LBB105_92:                             ;   in Loop: Header=BB105_85 Depth=1
	s_wait_alu 0xfffe
	s_or_b32 exec_lo, exec_lo, s2
	v_add_co_u32 v169, vcc_lo, 0xffffff02, v166
	s_wait_alu 0xfffd
	v_add_co_ci_u32_e64 v170, null, -1, v167, vcc_lo
	s_mov_b32 s2, exec_lo
	v_cmpx_gt_i64_e64 s[4:5], v[169:170]
	s_cbranch_execz .LBB105_94
; %bb.93:                               ;   in Loop: Header=BB105_85 Depth=1
	v_add_co_u32 v169, vcc_lo, v160, v94
	s_wait_alu 0xfffd
	v_add_co_ci_u32_e64 v170, null, v161, v95, vcc_lo
	v_add_co_u32 v171, vcc_lo, v162, v94
	s_wait_alu 0xfffd
	v_add_co_ci_u32_e64 v172, null, v163, v95, vcc_lo
	global_load_u16 v3, v[169:170], off
	global_load_u16 v19, v[171:172], off
	s_wait_loadcnt 0x1
	v_lshlrev_b32_e32 v3, 16, v3
	s_wait_loadcnt 0x0
	v_lshlrev_b32_e32 v19, 16, v19
.LBB105_94:                             ;   in Loop: Header=BB105_85 Depth=1
	s_wait_alu 0xfffe
	s_or_b32 exec_lo, exec_lo, s2
	v_add_co_u32 v169, vcc_lo, 0xffffff03, v166
	s_wait_alu 0xfffd
	v_add_co_ci_u32_e64 v170, null, -1, v167, vcc_lo
	s_mov_b32 s2, exec_lo
	v_cmpx_gt_i64_e64 s[4:5], v[169:170]
	s_cbranch_execz .LBB105_96
; %bb.95:                               ;   in Loop: Header=BB105_85 Depth=1
	v_add_co_u32 v169, vcc_lo, v155, v94
	s_wait_alu 0xfffd
	v_add_co_ci_u32_e64 v170, null, v156, v95, vcc_lo
	v_add_co_u32 v171, vcc_lo, v157, v94
	s_wait_alu 0xfffd
	v_add_co_ci_u32_e64 v172, null, v158, v95, vcc_lo
	global_load_u16 v4, v[169:170], off
	global_load_u16 v20, v[171:172], off
	s_wait_loadcnt 0x1
	v_lshlrev_b32_e32 v4, 16, v4
	s_wait_loadcnt 0x0
	v_lshlrev_b32_e32 v20, 16, v20
.LBB105_96:                             ;   in Loop: Header=BB105_85 Depth=1
	;; [unrolled: 22-line block ×3, first 2 shown]
	s_wait_alu 0xfffe
	s_or_b32 exec_lo, exec_lo, s2
	v_add_co_u32 v169, vcc_lo, 0xffffff05, v166
	s_wait_alu 0xfffd
	v_add_co_ci_u32_e64 v170, null, -1, v167, vcc_lo
	s_mov_b32 s2, exec_lo
	v_cmpx_gt_i64_e64 s[4:5], v[169:170]
	s_cbranch_execz .LBB105_100
; %bb.99:                               ;   in Loop: Header=BB105_85 Depth=1
	v_add_co_u32 v169, vcc_lo, v147, v94
	s_wait_alu 0xfffd
	v_add_co_ci_u32_e64 v170, null, v148, v95, vcc_lo
	v_add_co_u32 v171, vcc_lo, v149, v94
	s_wait_alu 0xfffd
	v_add_co_ci_u32_e64 v172, null, v150, v95, vcc_lo
	global_load_u16 v6, v[169:170], off
	global_load_u16 v22, v[171:172], off
	s_wait_loadcnt 0x1
	v_lshlrev_b32_e32 v6, 16, v6
	s_wait_loadcnt 0x0
	v_lshlrev_b32_e32 v22, 16, v22
.LBB105_100:                            ;   in Loop: Header=BB105_85 Depth=1
	s_wait_alu 0xfffe
	s_or_b32 exec_lo, exec_lo, s2
	v_add_co_u32 v169, vcc_lo, 0xffffff06, v166
	s_wait_alu 0xfffd
	v_add_co_ci_u32_e64 v170, null, -1, v167, vcc_lo
	s_mov_b32 s2, exec_lo
	v_cmpx_gt_i64_e64 s[4:5], v[169:170]
	s_cbranch_execz .LBB105_102
; %bb.101:                              ;   in Loop: Header=BB105_85 Depth=1
	v_add_co_u32 v169, vcc_lo, v143, v94
	s_wait_alu 0xfffd
	v_add_co_ci_u32_e64 v170, null, v144, v95, vcc_lo
	v_add_co_u32 v171, vcc_lo, v145, v94
	s_wait_alu 0xfffd
	v_add_co_ci_u32_e64 v172, null, v146, v95, vcc_lo
	global_load_u16 v7, v[169:170], off
	global_load_u16 v23, v[171:172], off
	s_wait_loadcnt 0x1
	v_lshlrev_b32_e32 v7, 16, v7
	s_wait_loadcnt 0x0
	v_lshlrev_b32_e32 v23, 16, v23
.LBB105_102:                            ;   in Loop: Header=BB105_85 Depth=1
	s_wait_alu 0xfffe
	s_or_b32 exec_lo, exec_lo, s2
	v_add_co_u32 v169, vcc_lo, 0xffffff07, v166
	s_wait_alu 0xfffd
	v_add_co_ci_u32_e64 v170, null, -1, v167, vcc_lo
	s_mov_b32 s2, exec_lo
	v_cmpx_gt_i64_e64 s[4:5], v[169:170]
	s_cbranch_execz .LBB105_104
; %bb.103:                              ;   in Loop: Header=BB105_85 Depth=1
	v_add_co_u32 v169, vcc_lo, v139, v94
	s_wait_alu 0xfffd
	v_add_co_ci_u32_e64 v170, null, v140, v95, vcc_lo
	v_add_co_u32 v171, vcc_lo, v141, v94
	s_wait_alu 0xfffd
	v_add_co_ci_u32_e64 v172, null, v142, v95, vcc_lo
	global_load_u16 v8, v[169:170], off
	global_load_u16 v24, v[171:172], off
	s_wait_loadcnt 0x1
	v_lshlrev_b32_e32 v8, 16, v8
	s_wait_loadcnt 0x0
	v_lshlrev_b32_e32 v24, 16, v24
.LBB105_104:                            ;   in Loop: Header=BB105_85 Depth=1
	;; [unrolled: 22-line block ×11, first 2 shown]
	s_wait_alu 0xfffe
	s_or_b32 exec_lo, exec_lo, s2
	s_wait_loadcnt 0x1
	ds_bpermute_b32 v169, v1, v168
	ds_bpermute_b32 v170, v1, v168 offset:4
	s_wait_loadcnt 0x0
	ds_bpermute_b32 v171, v1, v100
	ds_bpermute_b32 v173, v1, v168 offset:8
	ds_bpermute_b32 v177, v1, v168 offset:12
	;; [unrolled: 1-line block ×14, first 2 shown]
	s_mov_b32 s2, 0
	s_wait_dscnt 0xf
	v_dual_sub_f32 v18, v18, v169 :: v_dual_sub_f32 v19, v19, v170
	v_add_f32_e32 v172, v165, v2
	s_wait_dscnt 0xd
	v_sub_f32_e32 v20, v20, v173
	ds_bpermute_b32 v170, v1, v168 offset:36
	s_wait_dscnt 0xd
	v_dual_mul_f32 v2, v2, v18 :: v_dual_sub_f32 v21, v21, v177
	v_mul_f32_e32 v19, v3, v19
	v_add_f32_e32 v3, v3, v172
	v_mul_f32_e32 v20, v4, v20
	s_delay_alu instid0(VALU_DEP_4)
	v_fma_f32 v2, v2, v171, v164
	v_mul_f32_e32 v21, v5, v21
	ds_bpermute_b32 v169, v1, v168 offset:28
	ds_bpermute_b32 v173, v1, v168 offset:40
	;; [unrolled: 1-line block ×3, first 2 shown]
	s_wait_dscnt 0xf
	v_dual_fmac_f32 v2, v19, v174 :: v_dual_add_f32 v3, v4, v3
	ds_bpermute_b32 v4, v1, v168 offset:44
	ds_bpermute_b32 v171, v1, v100 offset:40
	;; [unrolled: 1-line block ×3, first 2 shown]
	s_wait_dscnt 0x11
	v_fmac_f32_e32 v2, v20, v175
	s_wait_dscnt 0x10
	v_dual_sub_f32 v20, v23, v181 :: v_dual_add_f32 v3, v5, v3
	ds_bpermute_b32 v5, v1, v100 offset:48
	s_wait_dscnt 0xe
	v_dual_fmac_f32 v2, v21, v176 :: v_dual_sub_f32 v21, v24, v183
	v_sub_f32_e32 v22, v22, v179
	v_dual_mul_f32 v20, v7, v20 :: v_dual_add_f32 v3, v6, v3
	s_delay_alu instid0(VALU_DEP_2)
	v_dual_mul_f32 v21, v8, v21 :: v_dual_mul_f32 v22, v6, v22
	ds_bpermute_b32 v6, v1, v168 offset:48
	v_add_f32_e32 v3, v7, v3
	ds_bpermute_b32 v7, v1, v100 offset:52
	s_wait_dscnt 0xf
	v_dual_fmac_f32 v2, v22, v178 :: v_dual_add_f32 v3, v8, v3
	ds_bpermute_b32 v8, v1, v168 offset:52
	s_wait_dscnt 0xf
	v_dual_fmac_f32 v2, v20, v180 :: v_dual_add_f32 v3, v9, v3
	s_wait_dscnt 0x9
	s_delay_alu instid0(VALU_DEP_1) | instskip(NEXT) | instid1(VALU_DEP_1)
	v_dual_sub_f32 v22, v25, v169 :: v_dual_add_f32 v3, v10, v3
	v_mul_f32_e32 v22, v9, v22
	ds_bpermute_b32 v9, v1, v168 offset:56
	s_wait_dscnt 0x3
	v_dual_sub_f32 v6, v30, v6 :: v_dual_add_f32 v3, v11, v3
	v_fmac_f32_e32 v2, v21, v182
	v_sub_f32_e32 v21, v27, v170
	v_sub_f32_e32 v20, v26, v186
	s_delay_alu instid0(VALU_DEP_4) | instskip(SKIP_2) | instid1(VALU_DEP_3)
	v_dual_mul_f32 v6, v14, v6 :: v_dual_add_f32 v3, v12, v3
	s_wait_dscnt 0x1
	v_sub_f32_e32 v8, v31, v8
	v_dual_mul_f32 v21, v11, v21 :: v_dual_mul_f32 v20, v10, v20
	ds_bpermute_b32 v10, v1, v168 offset:60
	v_dual_fmac_f32 v2, v22, v184 :: v_dual_add_f32 v3, v13, v3
	v_sub_f32_e32 v22, v28, v173
	ds_bpermute_b32 v11, v1, v100 offset:56
	v_dual_mul_f32 v8, v15, v8 :: v_dual_add_f32 v3, v14, v3
	v_fmac_f32_e32 v2, v20, v185
	v_mul_f32_e32 v20, v12, v22
	ds_bpermute_b32 v12, v1, v100 offset:60
	v_dual_add_f32 v3, v15, v3 :: v_dual_sub_f32 v4, v29, v4
	s_delay_alu instid0(VALU_DEP_1) | instskip(NEXT) | instid1(VALU_DEP_2)
	v_dual_fmac_f32 v2, v21, v18 :: v_dual_add_f32 v3, v16, v3
	v_mul_f32_e32 v4, v13, v4
	s_delay_alu instid0(VALU_DEP_2) | instskip(NEXT) | instid1(VALU_DEP_3)
	v_fmac_f32_e32 v2, v20, v171
	v_add_f32_e32 v100, v17, v3
	s_delay_alu instid0(VALU_DEP_2) | instskip(SKIP_3) | instid1(VALU_DEP_2)
	v_fmac_f32_e32 v2, v4, v19
	s_wait_dscnt 0x3
	v_sub_f32_e32 v4, v32, v9
	s_wait_dscnt 0x2
	v_dual_fmac_f32 v2, v6, v5 :: v_dual_sub_f32 v5, v33, v10
	s_delay_alu instid0(VALU_DEP_2) | instskip(NEXT) | instid1(VALU_DEP_2)
	v_mul_f32_e32 v4, v16, v4
	v_dual_fmac_f32 v2, v8, v7 :: v_dual_mul_f32 v5, v17, v5
	s_wait_dscnt 0x1
	s_delay_alu instid0(VALU_DEP_1) | instskip(SKIP_1) | instid1(VALU_DEP_1)
	v_fmac_f32_e32 v2, v4, v11
	s_wait_dscnt 0x0
	v_fmac_f32_e32 v2, v5, v12
.LBB105_123:                            ;   in Loop: Header=BB105_85 Depth=1
	s_wait_alu 0xfffe
	s_and_b32 vcc_lo, exec_lo, s2
	s_wait_alu 0xfffe
	s_cbranch_vccz .LBB105_129
; %bb.124:                              ;   in Loop: Header=BB105_85 Depth=1
	s_load_b32 s2, s[10:11], 0x0
	v_dual_mov_b32 v4, 0 :: v_dual_mov_b32 v5, 0
	s_wait_kmcnt 0x0
	s_cmp_lt_u32 ttmp9, s2
	s_cselect_b32 s2, 12, 18
	s_wait_alu 0xfffe
	s_add_nc_u64 s[22:23], s[10:11], s[2:3]
	s_load_u16 s2, s[22:23], 0x0
	s_wait_kmcnt 0x0
	v_mad_u32_u24 v2, v96, s2, v159
	s_mov_b32 s2, exec_lo
	s_delay_alu instid0(VALU_DEP_1) | instskip(NEXT) | instid1(VALU_DEP_1)
	v_and_b32_e32 v2, 31, v2
	v_cmpx_gt_u32_e32 16, v2
	s_cbranch_execz .LBB105_128
; %bb.125:                              ;   in Loop: Header=BB105_85 Depth=1
	v_add_co_u32 v2, vcc_lo, v166, v2
	s_wait_alu 0xfffd
	v_add_co_ci_u32_e64 v3, null, 0, v167, vcc_lo
	v_dual_mov_b32 v5, 0 :: v_dual_mov_b32 v4, 0
	s_delay_alu instid0(VALU_DEP_3) | instskip(SKIP_1) | instid1(VALU_DEP_3)
	v_add_co_u32 v2, vcc_lo, 0xffffff01, v2
	s_wait_alu 0xfffd
	v_add_co_ci_u32_e64 v3, null, -1, v3, vcc_lo
	s_mov_b32 s22, exec_lo
	v_cmpx_gt_i64_e64 s[4:5], v[2:3]
	s_cbranch_execz .LBB105_127
; %bb.126:                              ;   in Loop: Header=BB105_85 Depth=1
	v_lshlrev_b64_e32 v[2:3], 2, v[2:3]
	s_delay_alu instid0(VALU_DEP_1) | instskip(SKIP_1) | instid1(VALU_DEP_2)
	v_add_co_u32 v4, vcc_lo, s12, v2
	s_wait_alu 0xfffd
	v_add_co_ci_u32_e64 v5, null, s13, v3, vcc_lo
	v_add_co_u32 v2, vcc_lo, s14, v2
	s_wait_alu 0xfffd
	v_add_co_ci_u32_e64 v3, null, s15, v3, vcc_lo
	global_load_b32 v5, v[4:5], off
	global_load_b32 v4, v[2:3], off
.LBB105_127:                            ;   in Loop: Header=BB105_85 Depth=1
	s_wait_alu 0xfffe
	s_or_b32 exec_lo, exec_lo, s22
.LBB105_128:                            ;   in Loop: Header=BB105_85 Depth=1
	s_wait_alu 0xfffe
	s_or_b32 exec_lo, exec_lo, s2
	v_add_co_u32 v2, vcc_lo, v101, v94
	s_wait_alu 0xfffd
	v_add_co_ci_u32_e64 v3, null, v102, v95, vcc_lo
	global_load_u16 v6, v[2:3], off
	v_add_co_u32 v2, vcc_lo, v98, v94
	s_wait_alu 0xfffd
	v_add_co_ci_u32_e64 v3, null, v99, v95, vcc_lo
	global_load_u16 v2, v[2:3], off
	s_wait_loadcnt 0x1
	v_lshlrev_b32_e32 v3, 16, v6
	ds_bpermute_b32 v6, v1, v5
	s_wait_dscnt 0x0
	v_sub_f32_e32 v3, v3, v6
	s_wait_loadcnt 0x0
	v_lshlrev_b32_e32 v6, 16, v2
	s_delay_alu instid0(VALU_DEP_1)
	v_mul_f32_e32 v2, v3, v6
	ds_bpermute_b32 v3, v1, v4
	s_wait_dscnt 0x0
	v_fmac_f32_e32 v164, v2, v3
	v_add_co_u32 v2, vcc_lo, v64, v94
	s_wait_alu 0xfffd
	v_add_co_ci_u32_e64 v3, null, v65, v95, vcc_lo
	global_load_u16 v7, v[2:3], off
	v_add_co_u32 v2, vcc_lo, v34, v94
	s_wait_alu 0xfffd
	v_add_co_ci_u32_e64 v3, null, v35, v95, vcc_lo
	global_load_u16 v2, v[2:3], off
	s_wait_loadcnt 0x1
	v_lshlrev_b32_e32 v3, 16, v7
	ds_bpermute_b32 v7, v1, v5 offset:4
	s_wait_dscnt 0x0
	v_sub_f32_e32 v3, v3, v7
	s_wait_loadcnt 0x0
	v_lshlrev_b32_e32 v7, 16, v2
	s_delay_alu instid0(VALU_DEP_1)
	v_mul_f32_e32 v2, v3, v7
	ds_bpermute_b32 v3, v1, v4 offset:4
	s_wait_dscnt 0x0
	v_fmac_f32_e32 v164, v2, v3
	v_add_co_u32 v2, vcc_lo, v66, v94
	s_wait_alu 0xfffd
	v_add_co_ci_u32_e64 v3, null, v67, v95, vcc_lo
	global_load_u16 v8, v[2:3], off
	v_add_co_u32 v2, vcc_lo, v36, v94
	s_wait_alu 0xfffd
	v_add_co_ci_u32_e64 v3, null, v37, v95, vcc_lo
	global_load_u16 v2, v[2:3], off
	s_wait_loadcnt 0x1
	v_lshlrev_b32_e32 v3, 16, v8
	ds_bpermute_b32 v8, v1, v5 offset:8
	s_wait_loadcnt_dscnt 0x0
	v_dual_sub_f32 v3, v3, v8 :: v_dual_lshlrev_b32 v8, 16, v2
	s_delay_alu instid0(VALU_DEP_1)
	v_mul_f32_e32 v2, v3, v8
	ds_bpermute_b32 v3, v1, v4 offset:8
	s_wait_dscnt 0x0
	v_fmac_f32_e32 v164, v2, v3
	v_add_co_u32 v2, vcc_lo, v68, v94
	s_wait_alu 0xfffd
	v_add_co_ci_u32_e64 v3, null, v69, v95, vcc_lo
	global_load_u16 v9, v[2:3], off
	v_add_co_u32 v2, vcc_lo, v38, v94
	s_wait_alu 0xfffd
	v_add_co_ci_u32_e64 v3, null, v39, v95, vcc_lo
	global_load_u16 v2, v[2:3], off
	s_wait_loadcnt 0x1
	v_lshlrev_b32_e32 v3, 16, v9
	ds_bpermute_b32 v9, v1, v5 offset:12
	s_wait_dscnt 0x0
	v_sub_f32_e32 v3, v3, v9
	s_wait_loadcnt 0x0
	v_lshlrev_b32_e32 v9, 16, v2
	s_delay_alu instid0(VALU_DEP_1)
	v_mul_f32_e32 v2, v3, v9
	ds_bpermute_b32 v3, v1, v4 offset:12
	s_wait_dscnt 0x0
	v_fmac_f32_e32 v164, v2, v3
	v_add_co_u32 v2, vcc_lo, v70, v94
	s_wait_alu 0xfffd
	v_add_co_ci_u32_e64 v3, null, v71, v95, vcc_lo
	global_load_u16 v10, v[2:3], off
	v_add_co_u32 v2, vcc_lo, v40, v94
	s_wait_alu 0xfffd
	v_add_co_ci_u32_e64 v3, null, v41, v95, vcc_lo
	global_load_u16 v2, v[2:3], off
	s_wait_loadcnt 0x1
	v_lshlrev_b32_e32 v3, 16, v10
	ds_bpermute_b32 v10, v1, v5 offset:16
	s_wait_dscnt 0x0
	v_sub_f32_e32 v3, v3, v10
	s_wait_loadcnt 0x0
	v_lshlrev_b32_e32 v10, 16, v2
	;; [unrolled: 20-line block ×3, first 2 shown]
	s_delay_alu instid0(VALU_DEP_1)
	v_mul_f32_e32 v2, v3, v11
	ds_bpermute_b32 v3, v1, v4 offset:20
	s_wait_dscnt 0x0
	v_fmac_f32_e32 v164, v2, v3
	v_add_co_u32 v2, vcc_lo, v74, v94
	s_wait_alu 0xfffd
	v_add_co_ci_u32_e64 v3, null, v75, v95, vcc_lo
	global_load_u16 v12, v[2:3], off
	v_add_co_u32 v2, vcc_lo, v44, v94
	s_wait_alu 0xfffd
	v_add_co_ci_u32_e64 v3, null, v45, v95, vcc_lo
	global_load_u16 v2, v[2:3], off
	s_wait_loadcnt 0x1
	v_lshlrev_b32_e32 v3, 16, v12
	ds_bpermute_b32 v12, v1, v5 offset:24
	s_wait_loadcnt_dscnt 0x0
	v_dual_sub_f32 v3, v3, v12 :: v_dual_lshlrev_b32 v12, 16, v2
	s_delay_alu instid0(VALU_DEP_1)
	v_mul_f32_e32 v2, v3, v12
	ds_bpermute_b32 v3, v1, v4 offset:24
	s_wait_dscnt 0x0
	v_fmac_f32_e32 v164, v2, v3
	v_add_co_u32 v2, vcc_lo, v76, v94
	s_wait_alu 0xfffd
	v_add_co_ci_u32_e64 v3, null, v77, v95, vcc_lo
	global_load_u16 v13, v[2:3], off
	v_add_co_u32 v2, vcc_lo, v46, v94
	s_wait_alu 0xfffd
	v_add_co_ci_u32_e64 v3, null, v47, v95, vcc_lo
	global_load_u16 v2, v[2:3], off
	s_wait_loadcnt 0x1
	v_lshlrev_b32_e32 v3, 16, v13
	ds_bpermute_b32 v13, v1, v5 offset:28
	s_wait_dscnt 0x0
	v_sub_f32_e32 v3, v3, v13
	s_wait_loadcnt 0x0
	v_lshlrev_b32_e32 v13, 16, v2
	s_delay_alu instid0(VALU_DEP_1)
	v_mul_f32_e32 v2, v3, v13
	ds_bpermute_b32 v3, v1, v4 offset:28
	s_wait_dscnt 0x0
	v_fmac_f32_e32 v164, v2, v3
	v_add_co_u32 v2, vcc_lo, v78, v94
	s_wait_alu 0xfffd
	v_add_co_ci_u32_e64 v3, null, v79, v95, vcc_lo
	global_load_u16 v14, v[2:3], off
	v_add_co_u32 v2, vcc_lo, v48, v94
	s_wait_alu 0xfffd
	v_add_co_ci_u32_e64 v3, null, v49, v95, vcc_lo
	global_load_u16 v2, v[2:3], off
	s_wait_loadcnt 0x1
	v_lshlrev_b32_e32 v3, 16, v14
	ds_bpermute_b32 v14, v1, v5 offset:32
	s_wait_dscnt 0x0
	v_sub_f32_e32 v3, v3, v14
	s_wait_loadcnt 0x0
	v_lshlrev_b32_e32 v14, 16, v2
	;; [unrolled: 20-line block ×3, first 2 shown]
	s_delay_alu instid0(VALU_DEP_1)
	v_mul_f32_e32 v2, v3, v15
	ds_bpermute_b32 v3, v1, v4 offset:36
	s_wait_dscnt 0x0
	v_fmac_f32_e32 v164, v2, v3
	v_add_co_u32 v2, vcc_lo, v82, v94
	s_wait_alu 0xfffd
	v_add_co_ci_u32_e64 v3, null, v83, v95, vcc_lo
	global_load_u16 v16, v[2:3], off
	v_add_co_u32 v2, vcc_lo, v52, v94
	s_wait_alu 0xfffd
	v_add_co_ci_u32_e64 v3, null, v53, v95, vcc_lo
	global_load_u16 v2, v[2:3], off
	s_wait_loadcnt 0x1
	v_lshlrev_b32_e32 v3, 16, v16
	ds_bpermute_b32 v16, v1, v5 offset:40
	s_wait_loadcnt_dscnt 0x0
	v_dual_sub_f32 v3, v3, v16 :: v_dual_lshlrev_b32 v16, 16, v2
	s_delay_alu instid0(VALU_DEP_1)
	v_mul_f32_e32 v2, v3, v16
	ds_bpermute_b32 v3, v1, v4 offset:40
	s_wait_dscnt 0x0
	v_fmac_f32_e32 v164, v2, v3
	v_add_co_u32 v2, vcc_lo, v84, v94
	s_wait_alu 0xfffd
	v_add_co_ci_u32_e64 v3, null, v85, v95, vcc_lo
	global_load_u16 v17, v[2:3], off
	v_add_co_u32 v2, vcc_lo, v54, v94
	s_wait_alu 0xfffd
	v_add_co_ci_u32_e64 v3, null, v55, v95, vcc_lo
	global_load_u16 v2, v[2:3], off
	s_wait_loadcnt 0x1
	v_lshlrev_b32_e32 v3, 16, v17
	ds_bpermute_b32 v17, v1, v5 offset:44
	s_wait_dscnt 0x0
	v_sub_f32_e32 v3, v3, v17
	s_wait_loadcnt 0x0
	v_lshlrev_b32_e32 v17, 16, v2
	s_delay_alu instid0(VALU_DEP_1)
	v_mul_f32_e32 v2, v3, v17
	ds_bpermute_b32 v3, v1, v4 offset:44
	s_wait_dscnt 0x0
	v_fmac_f32_e32 v164, v2, v3
	v_add_co_u32 v2, vcc_lo, v86, v94
	s_wait_alu 0xfffd
	v_add_co_ci_u32_e64 v3, null, v87, v95, vcc_lo
	global_load_u16 v18, v[2:3], off
	v_add_co_u32 v2, vcc_lo, v56, v94
	s_wait_alu 0xfffd
	v_add_co_ci_u32_e64 v3, null, v57, v95, vcc_lo
	global_load_u16 v2, v[2:3], off
	s_wait_loadcnt 0x1
	v_lshlrev_b32_e32 v3, 16, v18
	ds_bpermute_b32 v18, v1, v5 offset:48
	s_wait_dscnt 0x0
	v_sub_f32_e32 v3, v3, v18
	s_wait_loadcnt 0x0
	v_lshlrev_b32_e32 v18, 16, v2
	;; [unrolled: 20-line block ×3, first 2 shown]
	s_delay_alu instid0(VALU_DEP_1)
	v_mul_f32_e32 v2, v3, v19
	ds_bpermute_b32 v3, v1, v4 offset:52
	s_wait_dscnt 0x0
	v_fmac_f32_e32 v164, v2, v3
	v_add_co_u32 v2, vcc_lo, v90, v94
	s_wait_alu 0xfffd
	v_add_co_ci_u32_e64 v3, null, v91, v95, vcc_lo
	global_load_u16 v20, v[2:3], off
	v_add_co_u32 v2, vcc_lo, v60, v94
	s_wait_alu 0xfffd
	v_add_co_ci_u32_e64 v3, null, v61, v95, vcc_lo
	global_load_u16 v2, v[2:3], off
	s_wait_loadcnt 0x1
	v_lshlrev_b32_e32 v3, 16, v20
	ds_bpermute_b32 v20, v1, v5 offset:56
	s_wait_loadcnt_dscnt 0x0
	v_dual_sub_f32 v3, v3, v20 :: v_dual_lshlrev_b32 v20, 16, v2
	s_delay_alu instid0(VALU_DEP_1)
	v_mul_f32_e32 v2, v3, v20
	ds_bpermute_b32 v3, v1, v4 offset:56
	ds_bpermute_b32 v4, v1, v4 offset:60
	s_wait_dscnt 0x1
	v_fmac_f32_e32 v164, v2, v3
	v_add_co_u32 v2, vcc_lo, v92, v94
	s_wait_alu 0xfffd
	v_add_co_ci_u32_e64 v3, null, v93, v95, vcc_lo
	global_load_u16 v21, v[2:3], off
	v_add_co_u32 v2, vcc_lo, v62, v94
	s_wait_alu 0xfffd
	v_add_co_ci_u32_e64 v3, null, v63, v95, vcc_lo
	global_load_u16 v2, v[2:3], off
	ds_bpermute_b32 v3, v1, v5 offset:60
	s_wait_loadcnt 0x1
	v_lshlrev_b32_e32 v5, 16, v21
	s_wait_loadcnt_dscnt 0x0
	s_delay_alu instid0(VALU_DEP_1) | instskip(NEXT) | instid1(VALU_DEP_1)
	v_dual_sub_f32 v3, v5, v3 :: v_dual_lshlrev_b32 v2, 16, v2
	v_mul_f32_e32 v3, v3, v2
	s_delay_alu instid0(VALU_DEP_1) | instskip(NEXT) | instid1(VALU_DEP_1)
	v_dual_fmac_f32 v164, v3, v4 :: v_dual_add_f32 v3, v165, v6
	v_add_f32_e32 v3, v3, v7
	s_delay_alu instid0(VALU_DEP_1) | instskip(NEXT) | instid1(VALU_DEP_1)
	v_add_f32_e32 v3, v3, v8
	v_add_f32_e32 v3, v3, v9
	s_delay_alu instid0(VALU_DEP_1) | instskip(NEXT) | instid1(VALU_DEP_1)
	v_add_f32_e32 v3, v3, v10
	;; [unrolled: 3-line block ×7, first 2 shown]
	v_add_f32_e32 v100, v3, v2
	v_mov_b32_e32 v2, v164
.LBB105_129:                            ;   in Loop: Header=BB105_85 Depth=1
	v_add_co_u32 v98, vcc_lo, v98, s18
	s_wait_alu 0xfffd
	v_add_co_ci_u32_e64 v99, null, s19, v99, vcc_lo
	v_add_co_u32 v101, vcc_lo, v101, s18
	s_wait_alu 0xfffd
	v_add_co_ci_u32_e64 v102, null, s19, v102, vcc_lo
	;; [unrolled: 3-line block ×59, first 2 shown]
	v_add_co_u32 v157, vcc_lo, v157, s18
	s_add_nc_u64 s[16:17], s[16:17], s[8:9]
	s_wait_alu 0xfffd
	v_add_co_ci_u32_e64 v158, null, s19, v158, vcc_lo
	v_add_co_u32 v160, vcc_lo, v160, s18
	s_wait_alu 0xfffe
	v_cmp_ge_i64_e64 s2, s[16:17], s[4:5]
	s_wait_alu 0xfffd
	v_add_co_ci_u32_e64 v161, null, s19, v161, vcc_lo
	v_add_co_u32 v162, vcc_lo, v162, s18
	s_wait_alu 0xfffd
	v_add_co_ci_u32_e64 v163, null, s19, v163, vcc_lo
	s_and_b32 vcc_lo, exec_lo, s2
	s_add_nc_u64 s[20:21], s[20:21], s[8:9]
	s_wait_alu 0xfffe
	s_cbranch_vccnz .LBB105_131
; %bb.130:                              ;   in Loop: Header=BB105_85 Depth=1
	v_dual_mov_b32 v165, v100 :: v_dual_mov_b32 v164, v2
	s_branch .LBB105_85
.LBB105_131:
	v_and_b32_e32 v9, 0x3ff, v0
	v_bfe_u32 v0, v0, 10, 10
	s_mov_b32 s2, exec_lo
	s_delay_alu instid0(VALU_DEP_1) | instskip(NEXT) | instid1(VALU_DEP_1)
	v_mad_u32_u24 v1, 0x41, v0, v9
	v_lshl_add_u32 v4, v1, 2, 0
	v_sub_nc_u32_e32 v3, v1, v0
	ds_store_b32 v4, v2
	ds_store_b32 v4, v100 offset:4160
	s_wait_dscnt 0x0
	s_barrier_signal -1
	s_barrier_wait -1
	global_inv scope:SCOPE_SE
	v_cmpx_gt_u32_e32 0x800, v3
	s_cbranch_execz .LBB105_147
; %bb.132:
	s_load_b128 s[8:11], s[0:1], 0x30
	v_and_b32_e32 v0, 31, v9
	v_lshrrev_b32_e32 v2, 5, v3
                                        ; implicit-def: $vgpr1
	s_delay_alu instid0(VALU_DEP_2)
	v_cmp_gt_u32_e64 s0, 16, v0
	v_mul_u32_u24_e32 v4, 0x41, v0
                                        ; implicit-def: $vgpr0
	s_and_saveexec_b32 s1, s0
	s_cbranch_execz .LBB105_134
; %bb.133:
	s_delay_alu instid0(VALU_DEP_1) | instskip(NEXT) | instid1(VALU_DEP_1)
	v_add_nc_u32_e32 v0, v2, v4
	v_lshl_add_u32 v0, v0, 2, 0
	ds_load_b32 v1, v0
	ds_load_b32 v0, v0 offset:4160
.LBB105_134:
	s_or_b32 exec_lo, exec_lo, s1
	v_mbcnt_lo_u32_b32 v8, -1, 0
	s_mov_b32 s2, ttmp9
	s_mov_b32 s3, 0
	v_cmp_eq_u32_e64 s1, 0, v9
	s_wait_alu 0xfffe
	s_lshl_b64 s[2:3], s[2:3], 6
	v_xor_b32_e32 v5, 8, v8
	v_xor_b32_e32 v6, 4, v8
	;; [unrolled: 1-line block ×3, first 2 shown]
	s_wait_kmcnt 0x0
	s_cmp_lg_u64 s[8:9], 0
	s_cselect_b32 s5, -1, 0
	v_cmp_gt_i32_e32 vcc_lo, 32, v5
	s_cmp_lg_u64 s[10:11], 0
	s_cselect_b32 s4, -1, 0
	s_wait_alu 0xfffd
	v_cndmask_b32_e32 v5, v8, v5, vcc_lo
	v_cmp_gt_i32_e32 vcc_lo, 32, v6
	s_wait_alu 0xfffd
	v_cndmask_b32_e32 v6, v8, v6, vcc_lo
	s_delay_alu instid0(VALU_DEP_1)
	v_lshlrev_b32_e32 v6, 2, v6
	v_lshlrev_b32_e32 v5, 2, v5
	s_wait_dscnt 0x0
	ds_bpermute_b32 v10, v5, v0
	s_wait_dscnt 0x0
	v_add_f32_e32 v0, v0, v10
	ds_bpermute_b32 v7, v5, v1
	ds_bpermute_b32 v11, v6, v0
	s_wait_dscnt 0x1
	v_add_f32_e32 v1, v1, v7
	v_xor_b32_e32 v7, 2, v8
	s_wait_dscnt 0x0
	v_add_f32_e32 v0, v0, v11
	ds_bpermute_b32 v10, v6, v1
	v_cmp_gt_i32_e32 vcc_lo, 32, v7
	s_wait_alu 0xfffd
	v_cndmask_b32_e32 v7, v8, v7, vcc_lo
	v_cmp_gt_i32_e32 vcc_lo, 32, v12
	s_wait_alu 0xfffd
	v_cndmask_b32_e32 v8, v8, v12, vcc_lo
	s_wait_dscnt 0x0
	s_delay_alu instid0(VALU_DEP_1)
	v_dual_add_f32 v1, v1, v10 :: v_dual_lshlrev_b32 v8, 2, v8
	v_lshlrev_b32_e32 v7, 2, v7
	ds_bpermute_b32 v10, v7, v1
	s_wait_dscnt 0x0
	v_add_f32_e32 v10, v1, v10
	ds_bpermute_b32 v11, v7, v0
	s_wait_alu 0xfffe
	v_mov_b32_e32 v1, s3
	ds_bpermute_b32 v12, v8, v10
	s_wait_dscnt 0x1
	v_add_f32_e32 v11, v0, v11
	v_or_b32_e32 v0, s2, v2
	ds_bpermute_b32 v13, v8, v11
	v_cmp_gt_i64_e32 vcc_lo, s[6:7], v[0:1]
	s_wait_dscnt 0x1
	v_add_f32_e32 v9, v10, v12
	s_and_b32 s13, s1, vcc_lo
	s_wait_dscnt 0x0
	v_add_f32_e32 v10, v11, v13
	s_wait_alu 0xfffe
	s_and_saveexec_b32 s12, s13
	s_cbranch_execz .LBB105_139
; %bb.135:
	v_lshlrev_b64_e32 v[0:1], 1, v[0:1]
	s_and_not1_b32 vcc_lo, exec_lo, s5
	s_wait_alu 0xfffe
	s_cbranch_vccnz .LBB105_137
; %bb.136:
	v_bfe_u32 v11, v9, 16, 1
	v_cmp_o_f32_e32 vcc_lo, v9, v9
	s_delay_alu instid0(VALU_DEP_2) | instskip(NEXT) | instid1(VALU_DEP_1)
	v_add3_u32 v11, v9, v11, 0x7fff
	v_lshrrev_b32_e32 v11, 16, v11
	s_wait_alu 0xfffd
	s_delay_alu instid0(VALU_DEP_1)
	v_cndmask_b32_e32 v13, 0x7fc0, v11, vcc_lo
	v_add_co_u32 v11, vcc_lo, s8, v0
	s_wait_alu 0xfffd
	v_add_co_ci_u32_e64 v12, null, s9, v1, vcc_lo
	global_store_b16 v[11:12], v13, off
.LBB105_137:
	s_and_not1_b32 vcc_lo, exec_lo, s4
	s_wait_alu 0xfffe
	s_cbranch_vccnz .LBB105_139
; %bb.138:
	v_bfe_u32 v11, v10, 16, 1
	v_cmp_o_f32_e32 vcc_lo, v10, v10
	s_delay_alu instid0(VALU_DEP_2) | instskip(NEXT) | instid1(VALU_DEP_1)
	v_add3_u32 v11, v10, v11, 0x7fff
	v_lshrrev_b32_e32 v11, 16, v11
	s_wait_alu 0xfffd
	s_delay_alu instid0(VALU_DEP_1)
	v_cndmask_b32_e32 v11, 0x7fc0, v11, vcc_lo
	v_add_co_u32 v0, vcc_lo, s10, v0
	s_wait_alu 0xfffd
	v_add_co_ci_u32_e64 v1, null, s11, v1, vcc_lo
	global_store_b16 v[0:1], v11, off
.LBB105_139:
	s_wait_alu 0xfffe
	s_or_b32 exec_lo, exec_lo, s12
	v_cmp_gt_u32_e32 vcc_lo, 0x400, v3
	s_and_b32 exec_lo, exec_lo, vcc_lo
	s_cbranch_execz .LBB105_147
; %bb.140:
	s_and_saveexec_b32 s12, s0
	s_cbranch_execz .LBB105_142
; %bb.141:
	v_add_nc_u32_e32 v0, v2, v4
	s_delay_alu instid0(VALU_DEP_1)
	v_lshl_add_u32 v0, v0, 2, 0
	ds_load_b32 v9, v0 offset:128
	ds_load_b32 v10, v0 offset:4288
.LBB105_142:
	s_wait_alu 0xfffe
	s_or_b32 exec_lo, exec_lo, s12
	s_wait_dscnt 0x1
	ds_bpermute_b32 v0, v5, v9
	s_wait_dscnt 0x1
	ds_bpermute_b32 v1, v5, v10
	s_wait_dscnt 0x1
	v_dual_add_f32 v0, v9, v0 :: v_dual_add_nc_u32 v5, 32, v2
	s_wait_dscnt 0x0
	v_add_f32_e32 v1, v10, v1
	ds_bpermute_b32 v3, v6, v0
	ds_bpermute_b32 v4, v6, v1
	v_mov_b32_e32 v6, s3
	v_or_b32_e32 v5, s2, v5
	s_delay_alu instid0(VALU_DEP_1)
	v_cmp_gt_i64_e32 vcc_lo, s[6:7], v[5:6]
	s_and_b32 s0, s1, vcc_lo
	s_wait_dscnt 0x0
	v_dual_add_f32 v0, v0, v3 :: v_dual_add_f32 v1, v1, v4
	ds_bpermute_b32 v3, v7, v0
	ds_bpermute_b32 v4, v7, v1
	s_wait_dscnt 0x0
	v_dual_add_f32 v3, v0, v3 :: v_dual_add_f32 v0, v1, v4
	ds_bpermute_b32 v4, v8, v3
	ds_bpermute_b32 v1, v8, v0
	s_and_b32 exec_lo, exec_lo, s0
	s_cbranch_execz .LBB105_147
; %bb.143:
	s_and_not1_b32 vcc_lo, exec_lo, s5
	s_wait_alu 0xfffe
	s_cbranch_vccnz .LBB105_145
; %bb.144:
	s_wait_dscnt 0x1
	v_add_f32_e32 v5, v3, v4
	s_delay_alu instid0(VALU_DEP_1) | instskip(SKIP_1) | instid1(VALU_DEP_2)
	v_bfe_u32 v3, v5, 16, 1
	v_cmp_o_f32_e32 vcc_lo, v5, v5
	v_add3_u32 v6, v5, v3, 0x7fff
	v_add_co_u32 v3, s0, s2, v2
	s_delay_alu instid0(VALU_DEP_1) | instskip(NEXT) | instid1(VALU_DEP_3)
	v_add_co_ci_u32_e64 v4, null, s3, 0, s0
	v_lshrrev_b32_e32 v6, 16, v6
	s_delay_alu instid0(VALU_DEP_2) | instskip(SKIP_1) | instid1(VALU_DEP_2)
	v_lshlrev_b64_e32 v[3:4], 1, v[3:4]
	s_wait_alu 0xfffd
	v_cndmask_b32_e32 v5, 0x7fc0, v6, vcc_lo
	s_delay_alu instid0(VALU_DEP_2) | instskip(SKIP_1) | instid1(VALU_DEP_3)
	v_add_co_u32 v3, vcc_lo, s8, v3
	s_wait_alu 0xfffd
	v_add_co_ci_u32_e64 v4, null, s9, v4, vcc_lo
	global_store_b16 v[3:4], v5, off offset:64
.LBB105_145:
	s_and_not1_b32 vcc_lo, exec_lo, s4
	s_wait_alu 0xfffe
	s_cbranch_vccnz .LBB105_147
; %bb.146:
	s_wait_dscnt 0x0
	v_add_f32_e32 v3, v0, v1
	s_delay_alu instid0(VALU_DEP_1) | instskip(SKIP_1) | instid1(VALU_DEP_2)
	v_bfe_u32 v0, v3, 16, 1
	v_cmp_o_f32_e32 vcc_lo, v3, v3
	v_add3_u32 v4, v3, v0, 0x7fff
	v_add_co_u32 v0, s0, s2, v2
	s_wait_alu 0xf1ff
	v_add_co_ci_u32_e64 v1, null, s3, 0, s0
	s_delay_alu instid0(VALU_DEP_3) | instskip(NEXT) | instid1(VALU_DEP_2)
	v_lshrrev_b32_e32 v2, 16, v4
	v_lshlrev_b64_e32 v[0:1], 1, v[0:1]
	s_wait_alu 0xfffd
	s_delay_alu instid0(VALU_DEP_2) | instskip(NEXT) | instid1(VALU_DEP_2)
	v_cndmask_b32_e32 v2, 0x7fc0, v2, vcc_lo
	v_add_co_u32 v0, vcc_lo, s10, v0
	s_wait_alu 0xfffd
	s_delay_alu instid0(VALU_DEP_3)
	v_add_co_ci_u32_e64 v1, null, s11, v1, vcc_lo
	global_store_b16 v[0:1], v2, off offset:64
.LBB105_147:
	s_nop 0
	s_sendmsg sendmsg(MSG_DEALLOC_VGPRS)
	s_endpgm
	.section	.rodata,"a",@progbits
	.p2align	6, 0x0
	.amdhsa_kernel _ZN2at6native12_GLOBAL__N_135GammaBetaBackwardCUDAKernelTemplateIN3c108BFloat16EfLj64ELj16ELj256ELb0ELb0ELb0EEEvllPKT_S7_PKT0_SA_PS5_SB_
		.amdhsa_group_segment_fixed_size 0
		.amdhsa_private_segment_fixed_size 0
		.amdhsa_kernarg_size 320
		.amdhsa_user_sgpr_count 2
		.amdhsa_user_sgpr_dispatch_ptr 0
		.amdhsa_user_sgpr_queue_ptr 0
		.amdhsa_user_sgpr_kernarg_segment_ptr 1
		.amdhsa_user_sgpr_dispatch_id 0
		.amdhsa_user_sgpr_private_segment_size 0
		.amdhsa_wavefront_size32 1
		.amdhsa_uses_dynamic_stack 0
		.amdhsa_enable_private_segment 0
		.amdhsa_system_sgpr_workgroup_id_x 1
		.amdhsa_system_sgpr_workgroup_id_y 1
		.amdhsa_system_sgpr_workgroup_id_z 0
		.amdhsa_system_sgpr_workgroup_info 0
		.amdhsa_system_vgpr_workitem_id 1
		.amdhsa_next_free_vgpr 187
		.amdhsa_next_free_sgpr 36
		.amdhsa_reserve_vcc 1
		.amdhsa_float_round_mode_32 0
		.amdhsa_float_round_mode_16_64 0
		.amdhsa_float_denorm_mode_32 3
		.amdhsa_float_denorm_mode_16_64 3
		.amdhsa_fp16_overflow 0
		.amdhsa_workgroup_processor_mode 1
		.amdhsa_memory_ordered 1
		.amdhsa_forward_progress 1
		.amdhsa_inst_pref_size 152
		.amdhsa_round_robin_scheduling 0
		.amdhsa_exception_fp_ieee_invalid_op 0
		.amdhsa_exception_fp_denorm_src 0
		.amdhsa_exception_fp_ieee_div_zero 0
		.amdhsa_exception_fp_ieee_overflow 0
		.amdhsa_exception_fp_ieee_underflow 0
		.amdhsa_exception_fp_ieee_inexact 0
		.amdhsa_exception_int_div_zero 0
	.end_amdhsa_kernel
	.section	.text._ZN2at6native12_GLOBAL__N_135GammaBetaBackwardCUDAKernelTemplateIN3c108BFloat16EfLj64ELj16ELj256ELb0ELb0ELb0EEEvllPKT_S7_PKT0_SA_PS5_SB_,"axG",@progbits,_ZN2at6native12_GLOBAL__N_135GammaBetaBackwardCUDAKernelTemplateIN3c108BFloat16EfLj64ELj16ELj256ELb0ELb0ELb0EEEvllPKT_S7_PKT0_SA_PS5_SB_,comdat
.Lfunc_end105:
	.size	_ZN2at6native12_GLOBAL__N_135GammaBetaBackwardCUDAKernelTemplateIN3c108BFloat16EfLj64ELj16ELj256ELb0ELb0ELb0EEEvllPKT_S7_PKT0_SA_PS5_SB_, .Lfunc_end105-_ZN2at6native12_GLOBAL__N_135GammaBetaBackwardCUDAKernelTemplateIN3c108BFloat16EfLj64ELj16ELj256ELb0ELb0ELb0EEEvllPKT_S7_PKT0_SA_PS5_SB_
                                        ; -- End function
	.set _ZN2at6native12_GLOBAL__N_135GammaBetaBackwardCUDAKernelTemplateIN3c108BFloat16EfLj64ELj16ELj256ELb0ELb0ELb0EEEvllPKT_S7_PKT0_SA_PS5_SB_.num_vgpr, 187
	.set _ZN2at6native12_GLOBAL__N_135GammaBetaBackwardCUDAKernelTemplateIN3c108BFloat16EfLj64ELj16ELj256ELb0ELb0ELb0EEEvllPKT_S7_PKT0_SA_PS5_SB_.num_agpr, 0
	.set _ZN2at6native12_GLOBAL__N_135GammaBetaBackwardCUDAKernelTemplateIN3c108BFloat16EfLj64ELj16ELj256ELb0ELb0ELb0EEEvllPKT_S7_PKT0_SA_PS5_SB_.numbered_sgpr, 36
	.set _ZN2at6native12_GLOBAL__N_135GammaBetaBackwardCUDAKernelTemplateIN3c108BFloat16EfLj64ELj16ELj256ELb0ELb0ELb0EEEvllPKT_S7_PKT0_SA_PS5_SB_.num_named_barrier, 0
	.set _ZN2at6native12_GLOBAL__N_135GammaBetaBackwardCUDAKernelTemplateIN3c108BFloat16EfLj64ELj16ELj256ELb0ELb0ELb0EEEvllPKT_S7_PKT0_SA_PS5_SB_.private_seg_size, 0
	.set _ZN2at6native12_GLOBAL__N_135GammaBetaBackwardCUDAKernelTemplateIN3c108BFloat16EfLj64ELj16ELj256ELb0ELb0ELb0EEEvllPKT_S7_PKT0_SA_PS5_SB_.uses_vcc, 1
	.set _ZN2at6native12_GLOBAL__N_135GammaBetaBackwardCUDAKernelTemplateIN3c108BFloat16EfLj64ELj16ELj256ELb0ELb0ELb0EEEvllPKT_S7_PKT0_SA_PS5_SB_.uses_flat_scratch, 0
	.set _ZN2at6native12_GLOBAL__N_135GammaBetaBackwardCUDAKernelTemplateIN3c108BFloat16EfLj64ELj16ELj256ELb0ELb0ELb0EEEvllPKT_S7_PKT0_SA_PS5_SB_.has_dyn_sized_stack, 0
	.set _ZN2at6native12_GLOBAL__N_135GammaBetaBackwardCUDAKernelTemplateIN3c108BFloat16EfLj64ELj16ELj256ELb0ELb0ELb0EEEvllPKT_S7_PKT0_SA_PS5_SB_.has_recursion, 0
	.set _ZN2at6native12_GLOBAL__N_135GammaBetaBackwardCUDAKernelTemplateIN3c108BFloat16EfLj64ELj16ELj256ELb0ELb0ELb0EEEvllPKT_S7_PKT0_SA_PS5_SB_.has_indirect_call, 0
	.section	.AMDGPU.csdata,"",@progbits
; Kernel info:
; codeLenInByte = 19368
; TotalNumSgprs: 38
; NumVgprs: 187
; ScratchSize: 0
; MemoryBound: 0
; FloatMode: 240
; IeeeMode: 1
; LDSByteSize: 0 bytes/workgroup (compile time only)
; SGPRBlocks: 0
; VGPRBlocks: 23
; NumSGPRsForWavesPerEU: 38
; NumVGPRsForWavesPerEU: 187
; Occupancy: 8
; WaveLimiterHint : 0
; COMPUTE_PGM_RSRC2:SCRATCH_EN: 0
; COMPUTE_PGM_RSRC2:USER_SGPR: 2
; COMPUTE_PGM_RSRC2:TRAP_HANDLER: 0
; COMPUTE_PGM_RSRC2:TGID_X_EN: 1
; COMPUTE_PGM_RSRC2:TGID_Y_EN: 1
; COMPUTE_PGM_RSRC2:TGID_Z_EN: 0
; COMPUTE_PGM_RSRC2:TIDIG_COMP_CNT: 1
	.section	.text._ZN2at6native12_GLOBAL__N_135GammaBetaBackwardCUDAKernelTemplateIN3c108BFloat16EfLj32ELj1ELj32ELb1ELb1ELb0EEEvllPKT_S7_PKT0_SA_PS5_SB_,"axG",@progbits,_ZN2at6native12_GLOBAL__N_135GammaBetaBackwardCUDAKernelTemplateIN3c108BFloat16EfLj32ELj1ELj32ELb1ELb1ELb0EEEvllPKT_S7_PKT0_SA_PS5_SB_,comdat
	.globl	_ZN2at6native12_GLOBAL__N_135GammaBetaBackwardCUDAKernelTemplateIN3c108BFloat16EfLj32ELj1ELj32ELb1ELb1ELb0EEEvllPKT_S7_PKT0_SA_PS5_SB_ ; -- Begin function _ZN2at6native12_GLOBAL__N_135GammaBetaBackwardCUDAKernelTemplateIN3c108BFloat16EfLj32ELj1ELj32ELb1ELb1ELb0EEEvllPKT_S7_PKT0_SA_PS5_SB_
	.p2align	8
	.type	_ZN2at6native12_GLOBAL__N_135GammaBetaBackwardCUDAKernelTemplateIN3c108BFloat16EfLj32ELj1ELj32ELb1ELb1ELb0EEEvllPKT_S7_PKT0_SA_PS5_SB_,@function
_ZN2at6native12_GLOBAL__N_135GammaBetaBackwardCUDAKernelTemplateIN3c108BFloat16EfLj32ELj1ELj32ELb1ELb1ELb0EEEvllPKT_S7_PKT0_SA_PS5_SB_: ; @_ZN2at6native12_GLOBAL__N_135GammaBetaBackwardCUDAKernelTemplateIN3c108BFloat16EfLj32ELj1ELj32ELb1ELb1ELb0EEEvllPKT_S7_PKT0_SA_PS5_SB_
; %bb.0:
	s_load_b128 s[8:11], s[0:1], 0x0
	s_lshl_b32 s16, ttmp7, 5
	s_mov_b32 s17, 0
	v_bfe_u32 v6, v0, 10, 10
	s_add_nc_u64 s[18:19], s[0:1], 64
	s_wait_kmcnt 0x0
	v_cmp_gt_i64_e64 s2, s[8:9], s[16:17]
	s_and_b32 vcc_lo, exec_lo, s2
	s_cbranch_vccnz .LBB106_2
; %bb.1:
	v_bfe_u32 v1, v0, 10, 10
	s_add_nc_u64 s[2:3], s[0:1], 64
	s_mov_b32 s4, s17
	s_branch .LBB106_3
.LBB106_2:
	s_mov_b32 s4, -1
                                        ; implicit-def: $sgpr2_sgpr3
                                        ; implicit-def: $vgpr1
.LBB106_3:
	s_load_b128 s[12:15], s[0:1], 0x30
	v_and_b32_e32 v7, 0x3ff, v0
	v_mov_b32_e32 v23, 0
	v_mov_b32_e32 v43, 0
	s_and_not1_b32 vcc_lo, exec_lo, s4
	s_cbranch_vccnz .LBB106_9
; %bb.4:
	s_clause 0x2
	s_load_b32 s20, s[0:1], 0x4c
	s_load_b32 s22, s[0:1], 0x44
	s_load_b256 s[0:7], s[0:1], 0x10
	v_dual_mov_b32 v1, 0 :: v_dual_lshlrev_b32 v2, 5, v6
	v_lshl_add_u32 v0, ttmp9, 5, v7
	s_mov_b32 s21, 0
	v_dual_mov_b32 v8, 4 :: v_dual_mov_b32 v9, 8
	v_dual_mov_b32 v10, 12 :: v_dual_mov_b32 v11, 16
	s_delay_alu instid0(VALU_DEP_3)
	v_lshlrev_b64_e32 v[40:41], 1, v[0:1]
	v_dual_mov_b32 v12, 20 :: v_dual_mov_b32 v13, 24
	v_dual_mov_b32 v14, 28 :: v_dual_mov_b32 v15, 32
	;; [unrolled: 1-line block ×4, first 2 shown]
	s_wait_kmcnt 0x0
	s_and_b32 s20, s20, 0xffff
	v_dual_mov_b32 v20, 52 :: v_dual_mov_b32 v21, 56
	v_mad_u32_u24 v3, v6, s20, v7
	v_add_co_u32 v42, s20, v2, s16
	s_wait_alu 0xf1ff
	v_add_co_ci_u32_e64 v43, null, 0, 0, s20
	s_delay_alu instid0(VALU_DEP_3) | instskip(NEXT) | instid1(VALU_DEP_3)
	v_dual_mov_b32 v24, 64 :: v_dual_and_b32 v23, 31, v3
	v_mul_lo_u32 v4, s11, v42
	s_delay_alu instid0(VALU_DEP_3)
	v_mul_lo_u32 v5, s10, v43
	v_mad_co_u64_u32 v[2:3], null, s10, v42, 0
	s_lshl_b32 s20, s22, 5
	v_dual_mov_b32 v22, 60 :: v_dual_mov_b32 v25, 0x44
	v_mov_b32_e32 v26, 0x48
	v_mov_b32_e32 v27, 0x4c
	;; [unrolled: 1-line block ×3, first 2 shown]
	v_add3_u32 v3, v3, v5, v4
	v_mov_b32_e32 v29, 0x54
	v_mov_b32_e32 v30, 0x58
	;; [unrolled: 1-line block ×4, first 2 shown]
	v_lshlrev_b64_e32 v[4:5], 1, v[2:3]
	v_add_co_u32 v2, vcc_lo, v42, v23
	s_delay_alu instid0(VALU_DEP_1) | instskip(SKIP_1) | instid1(VALU_DEP_4)
	v_add_co_ci_u32_e64 v3, null, 0, v43, vcc_lo
	v_mov_b32_e32 v33, 0x64
	v_add_co_u32 v0, vcc_lo, v4, v40
	s_wait_alu 0xfffd
	v_add_co_ci_u32_e64 v40, null, v5, v41, vcc_lo
	v_lshlrev_b64_e32 v[4:5], 2, v[2:3]
	v_mov_b32_e32 v34, 0x68
	v_mov_b32_e32 v35, 0x6c
	;; [unrolled: 1-line block ×8, first 2 shown]
	s_wait_alu 0xfffe
	s_mul_u64 s[22:23], s[10:11], s[20:21]
	s_lshl_b64 s[24:25], s[20:21], 2
	s_lshl_b64 s[22:23], s[22:23], 1
	;; [unrolled: 1-line block ×3, first 2 shown]
	s_branch .LBB106_6
.LBB106_5:                              ;   in Loop: Header=BB106_6 Depth=1
	s_or_b32 exec_lo, exec_lo, s28
	v_add_co_u32 v45, vcc_lo, s2, v0
	s_wait_alu 0xfffd
	v_add_co_ci_u32_e64 v46, null, s3, v40, vcc_lo
	v_add_co_u32 v47, vcc_lo, s0, v0
	s_wait_alu 0xfffd
	v_add_co_ci_u32_e64 v48, null, s1, v40, vcc_lo
	global_load_u16 v44, v[45:46], off
	v_add_co_u32 v45, vcc_lo, v45, s26
	s_wait_alu 0xfffd
	v_add_co_ci_u32_e64 v46, null, s27, v46, vcc_lo
	v_add_co_u32 v50, vcc_lo, v47, s26
	s_wait_alu 0xfffd
	v_add_co_ci_u32_e64 v51, null, s27, v48, vcc_lo
	;; [unrolled: 3-line block ×4, first 2 shown]
	global_load_u16 v49, v[47:48], off
	global_load_u16 v48, v[45:46], off
	;; [unrolled: 1-line block ×5, first 2 shown]
	v_add_co_u32 v51, vcc_lo, v52, s26
	s_wait_alu 0xfffd
	v_add_co_ci_u32_e64 v52, null, s27, v53, vcc_lo
	v_add_co_u32 v53, vcc_lo, v54, s26
	s_wait_alu 0xfffd
	v_add_co_ci_u32_e64 v54, null, s27, v55, vcc_lo
	global_load_u16 v50, v[51:52], off
	v_add_co_u32 v55, vcc_lo, v53, s26
	s_wait_alu 0xfffd
	v_add_co_ci_u32_e64 v56, null, s27, v54, vcc_lo
	v_add_co_u32 v57, vcc_lo, v51, s26
	s_wait_alu 0xfffd
	v_add_co_ci_u32_e64 v58, null, s27, v52, vcc_lo
	v_add_co_u32 v59, vcc_lo, v55, s26
	s_wait_alu 0xfffd
	v_add_co_ci_u32_e64 v60, null, s27, v56, vcc_lo
	v_add_co_u32 v61, vcc_lo, v57, s26
	s_wait_alu 0xfffd
	v_add_co_ci_u32_e64 v62, null, s27, v58, vcc_lo
	s_clause 0x1
	global_load_u16 v52, v[53:54], off
	global_load_u16 v51, v[55:56], off
	global_load_u16 v53, v[57:58], off
	global_load_u16 v54, v[59:60], off
	global_load_u16 v55, v[61:62], off
	v_add_co_u32 v57, vcc_lo, v59, s26
	s_wait_alu 0xfffd
	v_add_co_ci_u32_e64 v58, null, s27, v60, vcc_lo
	v_add_co_u32 v59, vcc_lo, v61, s26
	s_wait_alu 0xfffd
	v_add_co_ci_u32_e64 v60, null, s27, v62, vcc_lo
	global_load_u16 v56, v[57:58], off
	v_add_co_u32 v57, vcc_lo, v57, s26
	s_wait_alu 0xfffd
	v_add_co_ci_u32_e64 v58, null, s27, v58, vcc_lo
	v_add_co_u32 v61, vcc_lo, v59, s26
	s_wait_alu 0xfffd
	v_add_co_ci_u32_e64 v62, null, s27, v60, vcc_lo
	v_add_co_u32 v63, vcc_lo, v57, s26
	s_wait_alu 0xfffd
	v_add_co_ci_u32_e64 v64, null, s27, v58, vcc_lo
	v_add_co_u32 v65, vcc_lo, v61, s26
	s_wait_alu 0xfffd
	v_add_co_ci_u32_e64 v66, null, s27, v62, vcc_lo
	global_load_u16 v60, v[59:60], off
	global_load_u16 v57, v[57:58], off
	global_load_u16 v58, v[61:62], off
	global_load_u16 v59, v[63:64], off
	global_load_u16 v61, v[65:66], off
	v_add_co_u32 v63, vcc_lo, v63, s26
	s_wait_alu 0xfffd
	v_add_co_ci_u32_e64 v64, null, s27, v64, vcc_lo
	v_add_co_u32 v65, vcc_lo, v65, s26
	s_wait_alu 0xfffd
	v_add_co_ci_u32_e64 v66, null, s27, v66, vcc_lo
	global_load_u16 v62, v[63:64], off
	v_add_co_u32 v63, vcc_lo, v63, s26
	s_wait_alu 0xfffd
	v_add_co_ci_u32_e64 v64, null, s27, v64, vcc_lo
	v_add_co_u32 v67, vcc_lo, v65, s26
	s_wait_alu 0xfffd
	v_add_co_ci_u32_e64 v68, null, s27, v66, vcc_lo
	v_add_co_u32 v69, vcc_lo, v63, s26
	s_wait_alu 0xfffd
	v_add_co_ci_u32_e64 v70, null, s27, v64, vcc_lo
	v_add_co_u32 v71, vcc_lo, v67, s26
	s_wait_alu 0xfffd
	v_add_co_ci_u32_e64 v72, null, s27, v68, vcc_lo
	;; [unrolled: 24-line block ×3, first 2 shown]
	global_load_u16 v73, v[71:72], off
	global_load_u16 v69, v[69:70], off
	;; [unrolled: 1-line block ×5, first 2 shown]
	v_add_co_u32 v75, vcc_lo, v76, s26
	s_wait_alu 0xfffd
	v_add_co_ci_u32_e64 v76, null, s27, v77, vcc_lo
	v_add_co_u32 v77, vcc_lo, v78, s26
	s_wait_alu 0xfffd
	v_add_co_ci_u32_e64 v78, null, s27, v79, vcc_lo
	;; [unrolled: 3-line block ×6, first 2 shown]
	global_load_u16 v74, v[75:76], off
	global_load_u16 v75, v[77:78], off
	;; [unrolled: 1-line block ×4, first 2 shown]
	v_add_co_u32 v80, vcc_lo, v83, s26
	s_wait_alu 0xfffd
	v_add_co_ci_u32_e64 v81, null, s27, v84, vcc_lo
	v_add_co_u32 v82, vcc_lo, v85, s26
	global_load_u16 v79, v[83:84], off
	global_load_u16 v78, v[85:86], off
	s_wait_alu 0xfffd
	v_add_co_ci_u32_e64 v83, null, s27, v86, vcc_lo
	v_add_co_u32 v84, vcc_lo, v80, s26
	s_wait_alu 0xfffd
	v_add_co_ci_u32_e64 v85, null, s27, v81, vcc_lo
	v_add_co_u32 v86, vcc_lo, v82, s26
	s_wait_alu 0xfffd
	v_add_co_ci_u32_e64 v87, null, s27, v83, vcc_lo
	global_load_u16 v80, v[80:81], off
	v_add_co_u32 v81, vcc_lo, v84, s26
	global_load_u16 v88, v[82:83], off
	s_wait_alu 0xfffd
	v_add_co_ci_u32_e64 v82, null, s27, v85, vcc_lo
	v_add_co_u32 v83, vcc_lo, v86, s26
	global_load_u16 v89, v[84:85], off
	s_wait_alu 0xfffd
	v_add_co_ci_u32_e64 v84, null, s27, v87, vcc_lo
	;; [unrolled: 4-line block ×3, first 2 shown]
	global_load_u16 v90, v[81:82], off
	v_add_co_u32 v81, vcc_lo, v83, s26
	s_wait_alu 0xfffd
	v_add_co_ci_u32_e64 v82, null, s27, v84, vcc_lo
	global_load_u16 v91, v[83:84], off
	v_add_co_u32 v83, vcc_lo, v85, s26
	s_wait_alu 0xfffd
	v_add_co_ci_u32_e64 v84, null, s27, v86, vcc_lo
	;; [unrolled: 4-line block ×4, first 2 shown]
	global_load_u16 v94, v[83:84], off
	global_load_u16 v95, v[85:86], off
	v_add_co_u32 v83, vcc_lo, v85, s26
	s_wait_alu 0xfffd
	v_add_co_ci_u32_e64 v84, null, s27, v86, vcc_lo
	v_add_co_u32 v85, vcc_lo, v81, s26
	s_wait_alu 0xfffd
	v_add_co_ci_u32_e64 v86, null, s27, v82, vcc_lo
	global_load_u16 v96, v[81:82], off
	global_load_u16 v97, v[83:84], off
	;; [unrolled: 1-line block ×3, first 2 shown]
	v_add_co_u32 v81, vcc_lo, v83, s26
	s_wait_alu 0xfffd
	v_add_co_ci_u32_e64 v82, null, s27, v84, vcc_lo
	v_add_co_u32 v83, vcc_lo, v85, s26
	s_wait_alu 0xfffd
	v_add_co_ci_u32_e64 v84, null, s27, v86, vcc_lo
	global_load_u16 v99, v[81:82], off
	global_load_u16 v100, v[83:84], off
	v_add_co_u32 v81, vcc_lo, v81, s26
	s_wait_alu 0xfffd
	v_add_co_ci_u32_e64 v82, null, s27, v82, vcc_lo
	v_add_co_u32 v83, vcc_lo, v83, s26
	s_wait_alu 0xfffd
	v_add_co_ci_u32_e64 v84, null, s27, v84, vcc_lo
	global_load_u16 v101, v[81:82], off
	global_load_u16 v102, v[83:84], off
	;; [unrolled: 8-line block ×4, first 2 shown]
	v_add_co_u32 v81, vcc_lo, v81, s26
	s_wait_alu 0xfffd
	v_add_co_ci_u32_e64 v82, null, s27, v82, vcc_lo
	v_add_co_u32 v83, vcc_lo, v83, s26
	s_wait_alu 0xfffd
	v_add_co_ci_u32_e64 v84, null, s27, v84, vcc_lo
	global_load_u16 v107, v[81:82], off
	v_add_co_u32 v81, vcc_lo, v81, s26
	s_wait_alu 0xfffd
	v_add_co_ci_u32_e64 v82, null, s27, v82, vcc_lo
	global_load_u16 v108, v[83:84], off
	global_load_u16 v109, v[81:82], off
	v_add_co_u32 v83, vcc_lo, v83, s26
	s_wait_alu 0xfffd
	v_add_co_ci_u32_e64 v84, null, s27, v84, vcc_lo
	v_add_co_u32 v81, vcc_lo, v81, s26
	s_wait_alu 0xfffd
	v_add_co_ci_u32_e64 v82, null, s27, v82, vcc_lo
	global_load_u16 v110, v[83:84], off
	v_add_co_u32 v85, vcc_lo, v81, s26
	s_wait_alu 0xfffd
	v_add_co_ci_u32_e64 v86, null, s27, v82, vcc_lo
	global_load_u16 v111, v[81:82], off
	;; [unrolled: 4-line block ×3, first 2 shown]
	global_load_u16 v81, v[81:82], off
	s_wait_loadcnt 0x3e
	ds_bpermute_b32 v82, v1, v42
	ds_bpermute_b32 v84, v8, v42
	;; [unrolled: 1-line block ×7, first 2 shown]
	v_add_co_u32 v0, vcc_lo, v0, s22
	s_add_nc_u64 s[16:17], s[16:17], s[20:21]
	s_wait_alu 0xfffd
	v_add_co_ci_u32_e64 v40, null, s23, v40, vcc_lo
	v_add_co_u32 v4, vcc_lo, v4, s24
	s_wait_alu 0xfffe
	v_cmp_lt_i64_e64 s28, s[16:17], s[8:9]
	s_wait_alu 0xfffd
	v_add_co_ci_u32_e64 v5, null, s25, v5, vcc_lo
	v_add_co_u32 v2, vcc_lo, v2, s20
	s_wait_alu 0xfffd
	v_add_co_ci_u32_e64 v3, null, 0, v3, vcc_lo
	s_and_b32 vcc_lo, exec_lo, s28
	v_lshlrev_b32_e32 v44, 16, v44
	s_wait_dscnt 0x6
	s_delay_alu instid0(VALU_DEP_1)
	v_sub_f32_e32 v44, v44, v82
	ds_bpermute_b32 v82, v9, v41
	v_lshlrev_b32_e32 v49, 16, v49
	s_wait_loadcnt 0x3c
	v_lshlrev_b32_e32 v47, 16, v47
	s_wait_loadcnt 0x3a
	v_lshlrev_b32_e32 v45, 16, v45
	v_mul_f32_e32 v44, v44, v49
	v_dual_add_f32 v43, v43, v49 :: v_dual_lshlrev_b32 v48, 16, v48
	s_wait_dscnt 0x5
	s_delay_alu instid0(VALU_DEP_2) | instskip(NEXT) | instid1(VALU_DEP_2)
	v_fmac_f32_e32 v23, v44, v85
	v_sub_f32_e32 v48, v48, v84
	ds_bpermute_b32 v84, v10, v41
	ds_bpermute_b32 v85, v13, v42
	v_add_f32_e32 v43, v43, v47
	s_delay_alu instid0(VALU_DEP_1)
	v_dual_mul_f32 v44, v48, v47 :: v_dual_add_f32 v43, v43, v45
	s_wait_loadcnt 0x37
	v_lshlrev_b32_e32 v51, 16, v51
	s_wait_loadcnt 0x36
	v_lshlrev_b32_e32 v53, 16, v53
	s_wait_dscnt 0x5
	v_dual_fmac_f32 v23, v44, v112 :: v_dual_lshlrev_b32 v46, 16, v46
	s_wait_loadcnt 0x34
	s_delay_alu instid0(VALU_DEP_1) | instskip(NEXT) | instid1(VALU_DEP_1)
	v_dual_sub_f32 v46, v46, v86 :: v_dual_lshlrev_b32 v55, 16, v55
	v_mul_f32_e32 v44, v46, v45
	ds_bpermute_b32 v45, v19, v41
	s_wait_dscnt 0x3
	v_fmac_f32_e32 v23, v44, v82
	v_lshlrev_b32_e32 v48, 16, v50
	ds_bpermute_b32 v50, v12, v42
	ds_bpermute_b32 v82, v14, v42
	v_sub_f32_e32 v46, v48, v113
	v_lshlrev_b32_e32 v48, 16, v52
	ds_bpermute_b32 v52, v11, v41
	v_mul_f32_e32 v44, v46, v48
	s_wait_dscnt 0x5
	s_delay_alu instid0(VALU_DEP_1)
	v_dual_fmac_f32 v23, v44, v84 :: v_dual_sub_f32 v46, v53, v114
	ds_bpermute_b32 v53, v12, v41
	v_mul_f32_e32 v44, v46, v51
	s_wait_dscnt 0x3
	v_sub_f32_e32 v46, v55, v50
	v_lshlrev_b32_e32 v50, 16, v54
	ds_bpermute_b32 v54, v13, v41
	s_wait_loadcnt 0x32
	v_lshlrev_b32_e32 v55, 16, v60
	ds_bpermute_b32 v60, v15, v42
	s_wait_dscnt 0x3
	v_dual_fmac_f32 v23, v44, v52 :: v_dual_mul_f32 v44, v46, v50
	s_wait_loadcnt 0x2b
	v_lshlrev_b32_e32 v49, 16, v63
	s_wait_dscnt 0x2
	s_delay_alu instid0(VALU_DEP_2)
	v_fmac_f32_e32 v23, v44, v53
	v_sub_f32_e32 v46, v55, v85
	ds_bpermute_b32 v53, v15, v41
	v_lshlrev_b32_e32 v52, 16, v56
	ds_bpermute_b32 v55, v14, v41
	v_lshlrev_b32_e32 v56, 16, v58
	ds_bpermute_b32 v58, v16, v42
	v_add_f32_e32 v43, v43, v48
	v_mul_f32_e32 v44, v46, v52
	ds_bpermute_b32 v48, v20, v41
	v_dual_sub_f32 v46, v56, v82 :: v_dual_add_f32 v43, v43, v51
	s_wait_dscnt 0x5
	v_fmac_f32_e32 v23, v44, v54
	ds_bpermute_b32 v54, v16, v41
	v_lshlrev_b32_e32 v56, 16, v57
	v_lshlrev_b32_e32 v57, 16, v61
	ds_bpermute_b32 v61, v17, v42
	v_mul_f32_e32 v44, v46, v56
	s_wait_dscnt 0x6
	v_sub_f32_e32 v46, v57, v60
	ds_bpermute_b32 v60, v18, v42
	v_lshlrev_b32_e32 v57, 16, v59
	v_lshlrev_b32_e32 v59, 16, v66
	s_wait_dscnt 0x5
	v_fmac_f32_e32 v23, v44, v55
	s_delay_alu instid0(VALU_DEP_3)
	v_dual_mul_f32 v44, v46, v57 :: v_dual_lshlrev_b32 v55, 16, v62
	s_wait_dscnt 0x4
	v_sub_f32_e32 v46, v59, v58
	s_wait_loadcnt 0x2a
	v_lshlrev_b32_e32 v58, 16, v65
	ds_bpermute_b32 v59, v17, v41
	v_fmac_f32_e32 v23, v44, v53
	s_wait_dscnt 0x2
	v_sub_f32_e32 v53, v58, v61
	ds_bpermute_b32 v61, v18, v41
	s_wait_loadcnt 0x28
	v_dual_mul_f32 v47, v53, v49 :: v_dual_lshlrev_b32 v58, 16, v67
	s_wait_loadcnt_dscnt 0x2602
	s_delay_alu instid0(VALU_DEP_1)
	v_dual_sub_f32 v53, v58, v60 :: v_dual_lshlrev_b32 v58, 16, v73
	v_mul_f32_e32 v44, v46, v55
	ds_bpermute_b32 v46, v19, v42
	v_fmac_f32_e32 v23, v44, v54
	ds_bpermute_b32 v44, v20, v42
	s_wait_dscnt 0x3
	v_dual_fmac_f32 v23, v47, v59 :: v_dual_lshlrev_b32 v54, 16, v64
	s_delay_alu instid0(VALU_DEP_1) | instskip(SKIP_2) | instid1(VALU_DEP_2)
	v_mul_f32_e32 v47, v53, v54
	v_lshlrev_b32_e32 v53, 16, v68
	s_wait_dscnt 0x2
	v_fmac_f32_e32 v23, v47, v61
	s_wait_loadcnt 0x25
	v_lshlrev_b32_e32 v47, 16, v69
	ds_bpermute_b32 v61, v21, v41
	s_wait_dscnt 0x2
	v_sub_f32_e32 v46, v58, v46
	s_wait_loadcnt 0x24
	v_lshlrev_b32_e32 v51, 16, v70
	s_wait_loadcnt 0x1b
	v_lshlrev_b32_e32 v58, 16, v80
	v_mul_f32_e32 v46, v46, v53
	s_wait_dscnt 0x1
	v_sub_f32_e32 v44, v51, v44
	v_dual_add_f32 v43, v43, v50 :: v_dual_lshlrev_b32 v50, 16, v75
	s_delay_alu instid0(VALU_DEP_2) | instskip(NEXT) | instid1(VALU_DEP_2)
	v_dual_fmac_f32 v23, v46, v45 :: v_dual_mul_f32 v44, v44, v47
	v_add_f32_e32 v43, v43, v52
	ds_bpermute_b32 v46, v21, v42
	v_dual_fmac_f32 v23, v44, v48 :: v_dual_lshlrev_b32 v52, 16, v77
	v_dual_add_f32 v43, v43, v56 :: v_dual_lshlrev_b32 v44, 16, v71
	v_lshlrev_b32_e32 v56, 16, v79
	s_wait_loadcnt 0x18
	v_lshlrev_b32_e32 v60, 16, v87
	s_delay_alu instid0(VALU_DEP_3) | instskip(NEXT) | instid1(VALU_DEP_1)
	v_dual_add_f32 v43, v43, v57 :: v_dual_lshlrev_b32 v48, 16, v74
	v_add_f32_e32 v43, v43, v55
	ds_bpermute_b32 v55, v22, v42
	v_lshlrev_b32_e32 v45, 16, v72
	s_wait_loadcnt 0x15
	v_dual_add_f32 v43, v43, v49 :: v_dual_lshlrev_b32 v64, 16, v92
	s_delay_alu instid0(VALU_DEP_1)
	v_add_f32_e32 v43, v43, v54
	ds_bpermute_b32 v54, v24, v42
	v_lshlrev_b32_e32 v62, 16, v90
	v_lshlrev_b32_e32 v51, 16, v76
	v_add_f32_e32 v43, v43, v53
	ds_bpermute_b32 v53, v25, v42
	s_wait_loadcnt 0x11
	v_dual_add_f32 v43, v43, v47 :: v_dual_lshlrev_b32 v68, 16, v96
	s_wait_dscnt 0x2
	v_dual_sub_f32 v50, v50, v55 :: v_dual_sub_f32 v45, v45, v46
	ds_bpermute_b32 v46, v22, v41
	ds_bpermute_b32 v55, v24, v41
	v_lshlrev_b32_e32 v66, 16, v94
	ds_bpermute_b32 v47, v26, v42
	v_mul_f32_e32 v45, v45, v44
	v_dual_mul_f32 v50, v50, v48 :: v_dual_lshlrev_b32 v57, 16, v78
	s_wait_dscnt 0x4
	v_dual_sub_f32 v52, v52, v54 :: v_dual_lshlrev_b32 v63, 16, v91
	s_delay_alu instid0(VALU_DEP_3)
	v_fmac_f32_e32 v23, v45, v61
	ds_bpermute_b32 v45, v25, v41
	ds_bpermute_b32 v54, v27, v42
	v_lshlrev_b32_e32 v59, 16, v88
	v_add_f32_e32 v43, v43, v44
	ds_bpermute_b32 v44, v26, v41
	v_lshlrev_b32_e32 v65, 16, v93
	v_add_f32_e32 v43, v43, v48
	s_wait_dscnt 0x5
	v_dual_fmac_f32 v23, v50, v46 :: v_dual_mul_f32 v46, v52, v51
	v_sub_f32_e32 v50, v57, v53
	ds_bpermute_b32 v52, v28, v42
	v_lshlrev_b32_e32 v49, 16, v89
	v_add_f32_e32 v43, v43, v51
	s_wait_dscnt 0x5
	v_fmac_f32_e32 v23, v46, v55
	ds_bpermute_b32 v46, v27, v41
	v_mul_f32_e32 v48, v50, v56
	ds_bpermute_b32 v50, v29, v42
	s_wait_loadcnt 0xa
	v_lshlrev_b32_e32 v57, 16, v103
	s_wait_dscnt 0x6
	v_sub_f32_e32 v47, v59, v47
	ds_bpermute_b32 v51, v30, v42
	v_lshlrev_b32_e32 v67, 16, v95
	v_dual_add_f32 v43, v43, v56 :: v_dual_lshlrev_b32 v56, 16, v102
	v_mul_f32_e32 v47, v47, v58
	s_wait_loadcnt 0x8
	s_delay_alu instid0(VALU_DEP_2) | instskip(NEXT) | instid1(VALU_DEP_1)
	v_dual_add_f32 v43, v43, v58 :: v_dual_lshlrev_b32 v58, 16, v105
	v_add_f32_e32 v43, v43, v49
	s_delay_alu instid0(VALU_DEP_1) | instskip(NEXT) | instid1(VALU_DEP_1)
	v_add_f32_e32 v43, v43, v62
	v_add_f32_e32 v43, v43, v64
	s_wait_loadcnt 0x4
	v_lshlrev_b32_e32 v59, 16, v109
	s_wait_dscnt 0x6
	v_fmac_f32_e32 v23, v48, v45
	ds_bpermute_b32 v45, v28, v41
	s_wait_dscnt 0x6
	v_dual_sub_f32 v48, v60, v54 :: v_dual_lshlrev_b32 v69, 16, v97
	s_wait_dscnt 0x5
	v_dual_fmac_f32 v23, v47, v44 :: v_dual_lshlrev_b32 v54, 16, v101
	ds_bpermute_b32 v44, v29, v41
	s_wait_dscnt 0x5
	v_dual_mul_f32 v47, v48, v49 :: v_dual_sub_f32 v48, v63, v52
	ds_bpermute_b32 v52, v31, v42
	v_lshlrev_b32_e32 v61, 16, v98
	ds_bpermute_b32 v49, v33, v42
	s_wait_dscnt 0x6
	v_fmac_f32_e32 v23, v47, v46
	ds_bpermute_b32 v46, v30, v41
	v_mul_f32_e32 v47, v48, v62
	s_wait_dscnt 0x6
	v_sub_f32_e32 v48, v65, v50
	ds_bpermute_b32 v50, v32, v42
	v_lshlrev_b32_e32 v53, 16, v99
	v_add_f32_e32 v43, v43, v66
	s_wait_dscnt 0x5
	v_fmac_f32_e32 v23, v47, v45
	v_dual_mul_f32 v47, v48, v64 :: v_dual_sub_f32 v48, v67, v51
	ds_bpermute_b32 v45, v31, v41
	v_lshlrev_b32_e32 v51, 16, v104
	v_add_f32_e32 v43, v43, v68
	s_wait_dscnt 0x5
	v_fmac_f32_e32 v23, v47, v44
	s_wait_dscnt 0x4
	v_dual_mul_f32 v47, v48, v66 :: v_dual_sub_f32 v48, v69, v52
	ds_bpermute_b32 v44, v32, v41
	ds_bpermute_b32 v52, v34, v42
	v_add_f32_e32 v43, v43, v61
	s_wait_dscnt 0x4
	v_fmac_f32_e32 v23, v47, v46
	v_mul_f32_e32 v47, v48, v68
	ds_bpermute_b32 v46, v33, v41
	s_wait_dscnt 0x4
	v_sub_f32_e32 v48, v53, v50
	ds_bpermute_b32 v53, v35, v42
	s_wait_dscnt 0x4
	v_dual_fmac_f32 v23, v47, v45 :: v_dual_lshlrev_b32 v50, 16, v106
	ds_bpermute_b32 v47, v34, v41
	v_mul_f32_e32 v45, v48, v61
	v_sub_f32_e32 v48, v54, v49
	ds_bpermute_b32 v54, v36, v42
	v_lshlrev_b32_e32 v49, 16, v107
	s_wait_dscnt 0x5
	v_fmac_f32_e32 v23, v45, v44
	ds_bpermute_b32 v45, v35, v41
	s_wait_dscnt 0x3
	v_sub_f32_e32 v53, v58, v53
	v_lshlrev_b32_e32 v55, 16, v100
	s_delay_alu instid0(VALU_DEP_1)
	v_mul_f32_e32 v44, v48, v55
	v_sub_f32_e32 v48, v57, v52
	ds_bpermute_b32 v52, v37, v42
	v_lshlrev_b32_e32 v57, 16, v108
	v_fmac_f32_e32 v23, v44, v46
	ds_bpermute_b32 v44, v36, v41
	v_mul_f32_e32 v46, v48, v56
	ds_bpermute_b32 v48, v38, v42
	ds_bpermute_b32 v42, v39, v42
	s_wait_dscnt 0x6
	v_fmac_f32_e32 v23, v46, v47
	v_mul_f32_e32 v46, v53, v51
	v_add_f32_e32 v43, v43, v55
	ds_bpermute_b32 v55, v37, v41
	s_wait_dscnt 0x6
	v_sub_f32_e32 v47, v49, v54
	ds_bpermute_b32 v53, v38, v41
	s_wait_dscnt 0x6
	v_fmac_f32_e32 v23, v46, v45
	v_add_f32_e32 v43, v43, v56
	ds_bpermute_b32 v41, v39, v41
	v_mul_f32_e32 v45, v47, v50
	s_wait_loadcnt_dscnt 0x206
	v_dual_sub_f32 v46, v59, v52 :: v_dual_lshlrev_b32 v47, 16, v111
	v_add_f32_e32 v43, v43, v51
	v_lshlrev_b32_e32 v49, 16, v110
	s_wait_dscnt 0x5
	s_delay_alu instid0(VALU_DEP_3) | instskip(SKIP_4) | instid1(VALU_DEP_2)
	v_dual_fmac_f32 v23, v45, v44 :: v_dual_mul_f32 v44, v46, v57
	s_wait_loadcnt_dscnt 0x104
	v_dual_sub_f32 v45, v47, v48 :: v_dual_lshlrev_b32 v46, 16, v83
	v_add_f32_e32 v43, v43, v50
	s_wait_loadcnt_dscnt 0x3
	v_dual_sub_f32 v42, v46, v42 :: v_dual_lshlrev_b32 v47, 16, v81
	s_wait_dscnt 0x2
	v_dual_fmac_f32 v23, v44, v55 :: v_dual_mul_f32 v44, v45, v49
	s_delay_alu instid0(VALU_DEP_2) | instskip(SKIP_1) | instid1(VALU_DEP_2)
	v_dual_add_f32 v43, v43, v57 :: v_dual_mul_f32 v42, v42, v47
	s_wait_dscnt 0x1
	v_fmac_f32_e32 v23, v44, v53
	s_delay_alu instid0(VALU_DEP_2) | instskip(SKIP_1) | instid1(VALU_DEP_2)
	v_add_f32_e32 v43, v43, v49
	s_wait_dscnt 0x0
	v_fmac_f32_e32 v23, v42, v41
	s_delay_alu instid0(VALU_DEP_2)
	v_add_f32_e32 v43, v43, v47
	s_wait_alu 0xfffe
	s_cbranch_vccz .LBB106_8
.LBB106_6:                              ; =>This Inner Loop Header: Depth=1
	v_dual_mov_b32 v41, 0 :: v_dual_mov_b32 v42, 0
	s_mov_b32 s28, exec_lo
	v_cmpx_gt_i64_e64 s[8:9], v[2:3]
	s_cbranch_execz .LBB106_5
; %bb.7:                                ;   in Loop: Header=BB106_6 Depth=1
	v_add_co_u32 v41, vcc_lo, s4, v4
	s_wait_alu 0xfffd
	v_add_co_ci_u32_e64 v42, null, s5, v5, vcc_lo
	v_add_co_u32 v44, vcc_lo, s6, v4
	s_wait_alu 0xfffd
	v_add_co_ci_u32_e64 v45, null, s7, v5, vcc_lo
	global_load_b32 v42, v[41:42], off
	global_load_b32 v41, v[44:45], off
	s_branch .LBB106_5
.LBB106_8:
	v_mov_b32_e32 v1, v6
	s_mov_b64 s[2:3], s[18:19]
.LBB106_9:
	s_load_u16 s2, s[2:3], 0xe
	v_mov_b32_e32 v2, 0
	s_mov_b32 s0, ttmp9
	s_mov_b32 s1, 0
	s_wait_alu 0xfffe
	s_lshl_b64 s[0:1], s[0:1], 5
	s_wait_kmcnt 0x0
	s_cmp_eq_u64 s[12:13], 0
	s_wait_alu 0xfffe
	v_add_co_u32 v0, s0, s0, v7
	s_wait_alu 0xf1ff
	v_mad_co_u64_u32 v[2:3], null, s2, ttmp7, v[1:2]
	v_add_co_ci_u32_e64 v1, null, s1, 0, s0
	s_delay_alu instid0(VALU_DEP_1) | instskip(NEXT) | instid1(VALU_DEP_3)
	v_lshlrev_b64_e32 v[0:1], 1, v[0:1]
	v_mul_lo_u32 v3, v3, s10
	s_delay_alu instid0(VALU_DEP_4)
	v_mul_lo_u32 v4, v2, s11
	s_cbranch_scc1 .LBB106_11
; %bb.10:
	v_mad_co_u64_u32 v[5:6], null, v2, s10, 0
	v_bfe_u32 v7, v23, 16, 1
	s_delay_alu instid0(VALU_DEP_1) | instskip(NEXT) | instid1(VALU_DEP_3)
	v_add3_u32 v7, v23, v7, 0x7fff
	v_add3_u32 v6, v6, v4, v3
	s_delay_alu instid0(VALU_DEP_2) | instskip(NEXT) | instid1(VALU_DEP_2)
	v_lshrrev_b32_e32 v7, 16, v7
	v_lshlrev_b64_e32 v[5:6], 1, v[5:6]
	s_delay_alu instid0(VALU_DEP_1) | instskip(SKIP_1) | instid1(VALU_DEP_2)
	v_add_co_u32 v5, vcc_lo, s12, v5
	s_wait_alu 0xfffd
	v_add_co_ci_u32_e64 v6, null, s13, v6, vcc_lo
	v_cmp_o_f32_e32 vcc_lo, v23, v23
	s_wait_alu 0xfffd
	v_cndmask_b32_e32 v7, 0x7fc0, v7, vcc_lo
	v_add_co_u32 v5, vcc_lo, v5, v0
	s_wait_alu 0xfffd
	v_add_co_ci_u32_e64 v6, null, v6, v1, vcc_lo
	global_store_b16 v[5:6], v7, off
.LBB106_11:
	s_cmp_eq_u64 s[14:15], 0
	s_cbranch_scc1 .LBB106_13
; %bb.12:
	v_mad_co_u64_u32 v[5:6], null, v2, s10, 0
	v_bfe_u32 v2, v43, 16, 1
	s_delay_alu instid0(VALU_DEP_2) | instskip(NEXT) | instid1(VALU_DEP_2)
	v_add3_u32 v6, v6, v4, v3
	v_add3_u32 v4, v43, v2, 0x7fff
	s_delay_alu instid0(VALU_DEP_2) | instskip(NEXT) | instid1(VALU_DEP_2)
	v_lshlrev_b64_e32 v[2:3], 1, v[5:6]
	v_lshrrev_b32_e32 v4, 16, v4
	s_delay_alu instid0(VALU_DEP_2) | instskip(SKIP_1) | instid1(VALU_DEP_3)
	v_add_co_u32 v2, vcc_lo, s14, v2
	s_wait_alu 0xfffd
	v_add_co_ci_u32_e64 v3, null, s15, v3, vcc_lo
	v_cmp_o_f32_e32 vcc_lo, v43, v43
	s_wait_alu 0xfffd
	v_cndmask_b32_e32 v4, 0x7fc0, v4, vcc_lo
	v_add_co_u32 v0, vcc_lo, v2, v0
	s_wait_alu 0xfffd
	v_add_co_ci_u32_e64 v1, null, v3, v1, vcc_lo
	global_store_b16 v[0:1], v4, off
.LBB106_13:
	s_nop 0
	s_sendmsg sendmsg(MSG_DEALLOC_VGPRS)
	s_endpgm
	.section	.rodata,"a",@progbits
	.p2align	6, 0x0
	.amdhsa_kernel _ZN2at6native12_GLOBAL__N_135GammaBetaBackwardCUDAKernelTemplateIN3c108BFloat16EfLj32ELj1ELj32ELb1ELb1ELb0EEEvllPKT_S7_PKT0_SA_PS5_SB_
		.amdhsa_group_segment_fixed_size 0
		.amdhsa_private_segment_fixed_size 0
		.amdhsa_kernarg_size 320
		.amdhsa_user_sgpr_count 2
		.amdhsa_user_sgpr_dispatch_ptr 0
		.amdhsa_user_sgpr_queue_ptr 0
		.amdhsa_user_sgpr_kernarg_segment_ptr 1
		.amdhsa_user_sgpr_dispatch_id 0
		.amdhsa_user_sgpr_private_segment_size 0
		.amdhsa_wavefront_size32 1
		.amdhsa_uses_dynamic_stack 0
		.amdhsa_enable_private_segment 0
		.amdhsa_system_sgpr_workgroup_id_x 1
		.amdhsa_system_sgpr_workgroup_id_y 1
		.amdhsa_system_sgpr_workgroup_id_z 0
		.amdhsa_system_sgpr_workgroup_info 0
		.amdhsa_system_vgpr_workitem_id 1
		.amdhsa_next_free_vgpr 115
		.amdhsa_next_free_sgpr 29
		.amdhsa_reserve_vcc 1
		.amdhsa_float_round_mode_32 0
		.amdhsa_float_round_mode_16_64 0
		.amdhsa_float_denorm_mode_32 3
		.amdhsa_float_denorm_mode_16_64 3
		.amdhsa_fp16_overflow 0
		.amdhsa_workgroup_processor_mode 1
		.amdhsa_memory_ordered 1
		.amdhsa_forward_progress 1
		.amdhsa_inst_pref_size 38
		.amdhsa_round_robin_scheduling 0
		.amdhsa_exception_fp_ieee_invalid_op 0
		.amdhsa_exception_fp_denorm_src 0
		.amdhsa_exception_fp_ieee_div_zero 0
		.amdhsa_exception_fp_ieee_overflow 0
		.amdhsa_exception_fp_ieee_underflow 0
		.amdhsa_exception_fp_ieee_inexact 0
		.amdhsa_exception_int_div_zero 0
	.end_amdhsa_kernel
	.section	.text._ZN2at6native12_GLOBAL__N_135GammaBetaBackwardCUDAKernelTemplateIN3c108BFloat16EfLj32ELj1ELj32ELb1ELb1ELb0EEEvllPKT_S7_PKT0_SA_PS5_SB_,"axG",@progbits,_ZN2at6native12_GLOBAL__N_135GammaBetaBackwardCUDAKernelTemplateIN3c108BFloat16EfLj32ELj1ELj32ELb1ELb1ELb0EEEvllPKT_S7_PKT0_SA_PS5_SB_,comdat
.Lfunc_end106:
	.size	_ZN2at6native12_GLOBAL__N_135GammaBetaBackwardCUDAKernelTemplateIN3c108BFloat16EfLj32ELj1ELj32ELb1ELb1ELb0EEEvllPKT_S7_PKT0_SA_PS5_SB_, .Lfunc_end106-_ZN2at6native12_GLOBAL__N_135GammaBetaBackwardCUDAKernelTemplateIN3c108BFloat16EfLj32ELj1ELj32ELb1ELb1ELb0EEEvllPKT_S7_PKT0_SA_PS5_SB_
                                        ; -- End function
	.set _ZN2at6native12_GLOBAL__N_135GammaBetaBackwardCUDAKernelTemplateIN3c108BFloat16EfLj32ELj1ELj32ELb1ELb1ELb0EEEvllPKT_S7_PKT0_SA_PS5_SB_.num_vgpr, 115
	.set _ZN2at6native12_GLOBAL__N_135GammaBetaBackwardCUDAKernelTemplateIN3c108BFloat16EfLj32ELj1ELj32ELb1ELb1ELb0EEEvllPKT_S7_PKT0_SA_PS5_SB_.num_agpr, 0
	.set _ZN2at6native12_GLOBAL__N_135GammaBetaBackwardCUDAKernelTemplateIN3c108BFloat16EfLj32ELj1ELj32ELb1ELb1ELb0EEEvllPKT_S7_PKT0_SA_PS5_SB_.numbered_sgpr, 29
	.set _ZN2at6native12_GLOBAL__N_135GammaBetaBackwardCUDAKernelTemplateIN3c108BFloat16EfLj32ELj1ELj32ELb1ELb1ELb0EEEvllPKT_S7_PKT0_SA_PS5_SB_.num_named_barrier, 0
	.set _ZN2at6native12_GLOBAL__N_135GammaBetaBackwardCUDAKernelTemplateIN3c108BFloat16EfLj32ELj1ELj32ELb1ELb1ELb0EEEvllPKT_S7_PKT0_SA_PS5_SB_.private_seg_size, 0
	.set _ZN2at6native12_GLOBAL__N_135GammaBetaBackwardCUDAKernelTemplateIN3c108BFloat16EfLj32ELj1ELj32ELb1ELb1ELb0EEEvllPKT_S7_PKT0_SA_PS5_SB_.uses_vcc, 1
	.set _ZN2at6native12_GLOBAL__N_135GammaBetaBackwardCUDAKernelTemplateIN3c108BFloat16EfLj32ELj1ELj32ELb1ELb1ELb0EEEvllPKT_S7_PKT0_SA_PS5_SB_.uses_flat_scratch, 0
	.set _ZN2at6native12_GLOBAL__N_135GammaBetaBackwardCUDAKernelTemplateIN3c108BFloat16EfLj32ELj1ELj32ELb1ELb1ELb0EEEvllPKT_S7_PKT0_SA_PS5_SB_.has_dyn_sized_stack, 0
	.set _ZN2at6native12_GLOBAL__N_135GammaBetaBackwardCUDAKernelTemplateIN3c108BFloat16EfLj32ELj1ELj32ELb1ELb1ELb0EEEvllPKT_S7_PKT0_SA_PS5_SB_.has_recursion, 0
	.set _ZN2at6native12_GLOBAL__N_135GammaBetaBackwardCUDAKernelTemplateIN3c108BFloat16EfLj32ELj1ELj32ELb1ELb1ELb0EEEvllPKT_S7_PKT0_SA_PS5_SB_.has_indirect_call, 0
	.section	.AMDGPU.csdata,"",@progbits
; Kernel info:
; codeLenInByte = 4748
; TotalNumSgprs: 31
; NumVgprs: 115
; ScratchSize: 0
; MemoryBound: 0
; FloatMode: 240
; IeeeMode: 1
; LDSByteSize: 0 bytes/workgroup (compile time only)
; SGPRBlocks: 0
; VGPRBlocks: 14
; NumSGPRsForWavesPerEU: 31
; NumVGPRsForWavesPerEU: 115
; Occupancy: 12
; WaveLimiterHint : 0
; COMPUTE_PGM_RSRC2:SCRATCH_EN: 0
; COMPUTE_PGM_RSRC2:USER_SGPR: 2
; COMPUTE_PGM_RSRC2:TRAP_HANDLER: 0
; COMPUTE_PGM_RSRC2:TGID_X_EN: 1
; COMPUTE_PGM_RSRC2:TGID_Y_EN: 1
; COMPUTE_PGM_RSRC2:TGID_Z_EN: 0
; COMPUTE_PGM_RSRC2:TIDIG_COMP_CNT: 1
	.section	.text._ZN2at6native12_GLOBAL__N_135GammaBetaBackwardCUDAKernelTemplateIN3c108BFloat16EfLj32ELj1ELj32ELb1ELb0ELb0EEEvllPKT_S7_PKT0_SA_PS5_SB_,"axG",@progbits,_ZN2at6native12_GLOBAL__N_135GammaBetaBackwardCUDAKernelTemplateIN3c108BFloat16EfLj32ELj1ELj32ELb1ELb0ELb0EEEvllPKT_S7_PKT0_SA_PS5_SB_,comdat
	.globl	_ZN2at6native12_GLOBAL__N_135GammaBetaBackwardCUDAKernelTemplateIN3c108BFloat16EfLj32ELj1ELj32ELb1ELb0ELb0EEEvllPKT_S7_PKT0_SA_PS5_SB_ ; -- Begin function _ZN2at6native12_GLOBAL__N_135GammaBetaBackwardCUDAKernelTemplateIN3c108BFloat16EfLj32ELj1ELj32ELb1ELb0ELb0EEEvllPKT_S7_PKT0_SA_PS5_SB_
	.p2align	8
	.type	_ZN2at6native12_GLOBAL__N_135GammaBetaBackwardCUDAKernelTemplateIN3c108BFloat16EfLj32ELj1ELj32ELb1ELb0ELb0EEEvllPKT_S7_PKT0_SA_PS5_SB_,@function
_ZN2at6native12_GLOBAL__N_135GammaBetaBackwardCUDAKernelTemplateIN3c108BFloat16EfLj32ELj1ELj32ELb1ELb0ELb0EEEvllPKT_S7_PKT0_SA_PS5_SB_: ; @_ZN2at6native12_GLOBAL__N_135GammaBetaBackwardCUDAKernelTemplateIN3c108BFloat16EfLj32ELj1ELj32ELb1ELb0ELb0EEEvllPKT_S7_PKT0_SA_PS5_SB_
; %bb.0:
	s_clause 0x1
	s_load_b256 s[4:11], s[0:1], 0x0
	s_load_b128 s[12:15], s[0:1], 0x20
	s_lshl_b32 s30, ttmp9, 5
	s_mov_b32 s17, 0
	s_or_b32 s16, s30, 31
	v_mov_b32_e32 v228, v0
	s_wait_kmcnt 0x0
	v_cmp_le_i64_e64 s2, s[6:7], s[16:17]
	s_lshl_b32 s16, ttmp7, 5
	s_wait_alu 0xfffe
	v_cmp_gt_i64_e64 s31, s[4:5], s[16:17]
	s_and_b32 vcc_lo, exec_lo, s2
	v_cndmask_b32_e64 v0, 0, 1, s31
	s_delay_alu instid0(VALU_DEP_1)
	v_cmp_ne_u32_e64 s2, 1, v0
	s_cbranch_vccz .LBB107_141
; %bb.1:
	v_mov_b32_e32 v203, 0
	v_mov_b32_e32 v201, 0
	s_and_b32 vcc_lo, exec_lo, s2
	s_cbranch_vccnz .LBB107_142
; %bb.2:
	v_bfe_u32 v38, v228, 10, 10
	v_dual_mov_b32 v1, 0 :: v_dual_and_b32 v40, 0x3ff, v228
	s_load_b32 s3, s[0:1], 0x44
	s_mov_b32 s19, 0
	s_delay_alu instid0(VALU_DEP_2) | instskip(NEXT) | instid1(VALU_DEP_2)
	v_lshlrev_b32_e32 v39, 5, v38
	v_dual_mov_b32 v7, v1 :: v_dual_add_nc_u32 v6, s30, v40
	s_mov_b32 s23, s19
	v_mov_b32_e32 v41, v1
	s_delay_alu instid0(VALU_DEP_3) | instskip(NEXT) | instid1(VALU_DEP_1)
	v_add_co_u32 v4, s2, v39, s16
	v_add_co_ci_u32_e64 v5, null, 0, 0, s2
	v_cmp_gt_i64_e64 s2, s[6:7], v[6:7]
	s_delay_alu instid0(VALU_DEP_3) | instskip(SKIP_1) | instid1(VALU_DEP_4)
	v_mul_lo_u32 v0, s7, v4
	v_mad_co_u64_u32 v[2:3], null, s6, v4, 0
	v_mul_lo_u32 v8, s6, v5
	v_lshlrev_b64_e32 v[34:35], 1, v[6:7]
	v_mov_b32_e32 v201, 0
	v_mov_b32_e32 v169, 0
	s_add_nc_u64 s[20:21], s[0:1], 64
	s_wait_kmcnt 0x0
	s_lshl_b32 s22, s3, 5
	s_mov_b64 s[26:27], 31
	s_mul_u64 s[24:25], s[6:7], s[22:23]
	v_add3_u32 v3, v3, v8, v0
	v_add_co_u32 v0, vcc_lo, v4, 31
	s_delay_alu instid0(VALU_DEP_1) | instskip(NEXT) | instid1(VALU_DEP_3)
	v_add_co_ci_u32_e64 v8, null, 0, v5, vcc_lo
	v_lshlrev_b64_e32 v[6:7], 1, v[2:3]
	s_delay_alu instid0(VALU_DEP_3) | instskip(SKIP_1) | instid1(VALU_DEP_3)
	v_mul_lo_u32 v12, s7, v0
	s_lshl_b64 s[24:25], s[24:25], 1
	v_mul_lo_u32 v13, s6, v8
	v_mad_co_u64_u32 v[8:9], null, s6, v0, 0
	v_add_co_u32 v0, vcc_lo, v4, 30
	s_wait_alu 0xfffd
	v_add_co_ci_u32_e64 v10, null, 0, v5, vcc_lo
	v_add_co_u32 v42, vcc_lo, s8, v6
	s_delay_alu instid0(VALU_DEP_3) | instskip(NEXT) | instid1(VALU_DEP_3)
	v_mul_lo_u32 v14, s7, v0
	v_mul_lo_u32 v15, s6, v10
	v_mad_co_u64_u32 v[10:11], null, s6, v0, 0
	s_wait_alu 0xfffd
	v_add_co_ci_u32_e64 v43, null, s9, v7, vcc_lo
	v_add_co_u32 v44, vcc_lo, s10, v6
	s_wait_alu 0xfffd
	v_add_co_ci_u32_e64 v45, null, s11, v7, vcc_lo
	v_add_co_u32 v0, vcc_lo, v4, 29
	v_add3_u32 v9, v9, v13, v12
	v_add3_u32 v11, v11, v15, v14
	s_wait_alu 0xfffd
	v_add_co_ci_u32_e64 v12, null, 0, v5, vcc_lo
	v_mul_lo_u32 v13, s7, v0
	v_lshlrev_b64_e32 v[6:7], 1, v[8:9]
	v_lshlrev_b64_e32 v[8:9], 1, v[10:11]
	s_delay_alu instid0(VALU_DEP_4)
	v_mul_lo_u32 v12, s6, v12
	v_mad_co_u64_u32 v[10:11], null, s6, v0, 0
	s_mov_b64 s[28:29], s[16:17]
	v_add_co_u32 v46, vcc_lo, s8, v6
	s_wait_alu 0xfffd
	v_add_co_ci_u32_e64 v47, null, s9, v7, vcc_lo
	v_add_co_u32 v48, vcc_lo, s10, v6
	v_add3_u32 v11, v11, v12, v13
	s_wait_alu 0xfffd
	v_add_co_ci_u32_e64 v49, null, s11, v7, vcc_lo
	v_add_co_u32 v50, vcc_lo, s8, v8
	s_wait_alu 0xfffd
	v_add_co_ci_u32_e64 v51, null, s9, v9, vcc_lo
	v_add_co_u32 v0, vcc_lo, v4, 28
	v_add_co_u32 v52, s3, s10, v8
	v_lshlrev_b64_e32 v[6:7], 1, v[10:11]
	s_wait_alu 0xfffd
	v_add_co_ci_u32_e64 v8, null, 0, v5, vcc_lo
	v_add_co_u32 v10, vcc_lo, v4, 27
	s_wait_alu 0xfffd
	v_add_co_ci_u32_e64 v11, null, 0, v5, vcc_lo
	s_wait_alu 0xf1ff
	v_add_co_ci_u32_e64 v53, null, s11, v9, s3
	v_mul_lo_u32 v12, s7, v0
	v_mul_lo_u32 v13, s6, v8
	v_mad_co_u64_u32 v[8:9], null, s6, v0, 0
	v_mul_lo_u32 v0, s7, v10
	v_mul_lo_u32 v14, s6, v11
	v_mad_co_u64_u32 v[10:11], null, s6, v10, 0
	v_add_co_u32 v54, vcc_lo, s8, v6
	s_wait_alu 0xfffd
	v_add_co_ci_u32_e64 v55, null, s9, v7, vcc_lo
	v_add_co_u32 v56, vcc_lo, s10, v6
	s_wait_alu 0xfffd
	v_add_co_ci_u32_e64 v57, null, s11, v7, vcc_lo
	v_add3_u32 v11, v11, v14, v0
	v_add_co_u32 v0, vcc_lo, v4, 26
	v_add3_u32 v9, v9, v13, v12
	s_wait_alu 0xfffd
	v_add_co_ci_u32_e64 v12, null, 0, v5, vcc_lo
	s_delay_alu instid0(VALU_DEP_3) | instskip(NEXT) | instid1(VALU_DEP_3)
	v_mul_lo_u32 v13, s7, v0
	v_lshlrev_b64_e32 v[6:7], 1, v[8:9]
	v_lshlrev_b64_e32 v[8:9], 1, v[10:11]
	s_delay_alu instid0(VALU_DEP_4) | instskip(SKIP_1) | instid1(VALU_DEP_4)
	v_mul_lo_u32 v12, s6, v12
	v_mad_co_u64_u32 v[10:11], null, s6, v0, 0
	v_add_co_u32 v58, vcc_lo, s8, v6
	s_wait_alu 0xfffd
	v_add_co_ci_u32_e64 v59, null, s9, v7, vcc_lo
	v_add_co_u32 v60, vcc_lo, s10, v6
	s_delay_alu instid0(VALU_DEP_4)
	v_add3_u32 v11, v11, v12, v13
	s_wait_alu 0xfffd
	v_add_co_ci_u32_e64 v61, null, s11, v7, vcc_lo
	v_add_co_u32 v62, vcc_lo, s8, v8
	s_wait_alu 0xfffd
	v_add_co_ci_u32_e64 v63, null, s9, v9, vcc_lo
	v_add_co_u32 v0, vcc_lo, v4, 25
	v_add_co_u32 v64, s3, s10, v8
	v_lshlrev_b64_e32 v[6:7], 1, v[10:11]
	s_wait_alu 0xfffd
	v_add_co_ci_u32_e64 v8, null, 0, v5, vcc_lo
	v_add_co_u32 v10, vcc_lo, v4, 24
	s_wait_alu 0xfffd
	v_add_co_ci_u32_e64 v11, null, 0, v5, vcc_lo
	s_wait_alu 0xf1ff
	v_add_co_ci_u32_e64 v65, null, s11, v9, s3
	v_mul_lo_u32 v12, s7, v0
	v_mul_lo_u32 v13, s6, v8
	v_mad_co_u64_u32 v[8:9], null, s6, v0, 0
	v_mul_lo_u32 v14, s7, v10
	v_mul_lo_u32 v15, s6, v11
	v_mad_co_u64_u32 v[10:11], null, s6, v10, 0
	v_add_co_u32 v0, vcc_lo, s8, v6
	s_wait_alu 0xfffd
	v_add_co_ci_u32_e64 v66, null, s9, v7, vcc_lo
	v_add_co_u32 v67, vcc_lo, s10, v6
	v_add3_u32 v9, v9, v13, v12
	s_wait_alu 0xfffd
	v_add_co_ci_u32_e64 v68, null, s11, v7, vcc_lo
	v_add_co_u32 v12, vcc_lo, v4, 23
	v_add3_u32 v11, v11, v15, v14
	s_wait_alu 0xfffd
	v_add_co_ci_u32_e64 v13, null, 0, v5, vcc_lo
	v_lshlrev_b64_e32 v[6:7], 1, v[8:9]
	v_mul_lo_u32 v14, s7, v12
	v_lshlrev_b64_e32 v[8:9], 1, v[10:11]
	s_delay_alu instid0(VALU_DEP_4)
	v_mul_lo_u32 v13, s6, v13
	v_mad_co_u64_u32 v[10:11], null, s6, v12, 0
	v_add_co_u32 v69, vcc_lo, s8, v6
	s_wait_alu 0xfffd
	v_add_co_ci_u32_e64 v70, null, s9, v7, vcc_lo
	v_add_co_u32 v71, vcc_lo, s10, v6
	s_delay_alu instid0(VALU_DEP_4)
	v_add3_u32 v11, v11, v13, v14
	s_wait_alu 0xfffd
	v_add_co_ci_u32_e64 v72, null, s11, v7, vcc_lo
	v_add_co_u32 v73, vcc_lo, s8, v8
	s_wait_alu 0xfffd
	v_add_co_ci_u32_e64 v74, null, s9, v9, vcc_lo
	v_add_co_u32 v12, vcc_lo, v4, 22
	v_add_co_u32 v75, s3, s10, v8
	v_lshlrev_b64_e32 v[6:7], 1, v[10:11]
	s_wait_alu 0xfffd
	v_add_co_ci_u32_e64 v8, null, 0, v5, vcc_lo
	v_add_co_u32 v10, vcc_lo, v4, 21
	s_wait_alu 0xfffd
	v_add_co_ci_u32_e64 v11, null, 0, v5, vcc_lo
	s_wait_alu 0xf1ff
	v_add_co_ci_u32_e64 v76, null, s11, v9, s3
	v_mul_lo_u32 v13, s7, v12
	v_mul_lo_u32 v14, s6, v8
	v_mad_co_u64_u32 v[8:9], null, s6, v12, 0
	v_mul_lo_u32 v12, s7, v10
	v_mul_lo_u32 v15, s6, v11
	v_mad_co_u64_u32 v[10:11], null, s6, v10, 0
	v_add_co_u32 v77, vcc_lo, s8, v6
	s_wait_alu 0xfffd
	v_add_co_ci_u32_e64 v78, null, s9, v7, vcc_lo
	v_add_co_u32 v79, vcc_lo, s10, v6
	s_wait_alu 0xfffd
	v_add_co_ci_u32_e64 v80, null, s11, v7, vcc_lo
	v_add3_u32 v11, v11, v15, v12
	v_add_co_u32 v12, vcc_lo, v4, 20
	v_add3_u32 v9, v9, v14, v13
	s_wait_alu 0xfffd
	v_add_co_ci_u32_e64 v13, null, 0, v5, vcc_lo
	s_delay_alu instid0(VALU_DEP_3) | instskip(NEXT) | instid1(VALU_DEP_3)
	v_mul_lo_u32 v14, s7, v12
	v_lshlrev_b64_e32 v[6:7], 1, v[8:9]
	v_lshlrev_b64_e32 v[8:9], 1, v[10:11]
	s_delay_alu instid0(VALU_DEP_4) | instskip(SKIP_1) | instid1(VALU_DEP_4)
	v_mul_lo_u32 v13, s6, v13
	v_mad_co_u64_u32 v[10:11], null, s6, v12, 0
	v_add_co_u32 v81, vcc_lo, s8, v6
	s_wait_alu 0xfffd
	v_add_co_ci_u32_e64 v82, null, s9, v7, vcc_lo
	v_add_co_u32 v83, vcc_lo, s10, v6
	s_delay_alu instid0(VALU_DEP_4)
	v_add3_u32 v11, v11, v13, v14
	s_wait_alu 0xfffd
	v_add_co_ci_u32_e64 v84, null, s11, v7, vcc_lo
	v_add_co_u32 v85, vcc_lo, s8, v8
	s_wait_alu 0xfffd
	v_add_co_ci_u32_e64 v86, null, s9, v9, vcc_lo
	v_add_co_u32 v12, vcc_lo, v4, 19
	v_add_co_u32 v87, s3, s10, v8
	v_lshlrev_b64_e32 v[6:7], 1, v[10:11]
	s_wait_alu 0xfffd
	v_add_co_ci_u32_e64 v8, null, 0, v5, vcc_lo
	v_add_co_u32 v10, vcc_lo, v4, 18
	s_wait_alu 0xfffd
	v_add_co_ci_u32_e64 v11, null, 0, v5, vcc_lo
	s_wait_alu 0xf1ff
	v_add_co_ci_u32_e64 v88, null, s11, v9, s3
	v_mul_lo_u32 v13, s7, v12
	v_mul_lo_u32 v14, s6, v8
	v_mad_co_u64_u32 v[8:9], null, s6, v12, 0
	v_mul_lo_u32 v12, s7, v10
	v_mul_lo_u32 v15, s6, v11
	v_mad_co_u64_u32 v[10:11], null, s6, v10, 0
	v_add_co_u32 v89, vcc_lo, s8, v6
	s_wait_alu 0xfffd
	v_add_co_ci_u32_e64 v90, null, s9, v7, vcc_lo
	v_add_co_u32 v91, vcc_lo, s10, v6
	s_wait_alu 0xfffd
	v_add_co_ci_u32_e64 v92, null, s11, v7, vcc_lo
	v_add3_u32 v11, v11, v15, v12
	v_add_co_u32 v12, vcc_lo, v4, 17
	v_add3_u32 v9, v9, v14, v13
	s_wait_alu 0xfffd
	v_add_co_ci_u32_e64 v13, null, 0, v5, vcc_lo
	s_delay_alu instid0(VALU_DEP_3) | instskip(NEXT) | instid1(VALU_DEP_3)
	v_mul_lo_u32 v14, s7, v12
	v_lshlrev_b64_e32 v[6:7], 1, v[8:9]
	v_lshlrev_b64_e32 v[8:9], 1, v[10:11]
	s_delay_alu instid0(VALU_DEP_4) | instskip(SKIP_1) | instid1(VALU_DEP_4)
	;; [unrolled: 45-line block ×4, first 2 shown]
	v_mul_lo_u32 v13, s6, v13
	v_mad_co_u64_u32 v[10:11], null, s6, v12, 0
	v_add_co_u32 v117, vcc_lo, s8, v6
	s_wait_alu 0xfffd
	v_add_co_ci_u32_e64 v118, null, s9, v7, vcc_lo
	v_add_co_u32 v119, vcc_lo, s10, v6
	s_delay_alu instid0(VALU_DEP_4)
	v_add3_u32 v11, v11, v13, v14
	s_wait_alu 0xfffd
	v_add_co_ci_u32_e64 v120, null, s11, v7, vcc_lo
	v_add_co_u32 v121, vcc_lo, s8, v8
	s_wait_alu 0xfffd
	v_add_co_ci_u32_e64 v122, null, s9, v9, vcc_lo
	v_add_co_u32 v12, vcc_lo, v4, 10
	v_add_co_u32 v123, s3, s10, v8
	v_lshlrev_b64_e32 v[6:7], 1, v[10:11]
	s_wait_alu 0xfffd
	v_add_co_ci_u32_e64 v8, null, 0, v5, vcc_lo
	v_add_co_u32 v10, vcc_lo, v4, 9
	s_wait_alu 0xfffd
	v_add_co_ci_u32_e64 v11, null, 0, v5, vcc_lo
	s_wait_alu 0xf1ff
	v_add_co_ci_u32_e64 v124, null, s11, v9, s3
	v_mul_lo_u32 v13, s7, v12
	v_mul_lo_u32 v14, s6, v8
	v_mad_co_u64_u32 v[8:9], null, s6, v12, 0
	v_mul_lo_u32 v12, s7, v10
	v_mul_lo_u32 v15, s6, v11
	v_mad_co_u64_u32 v[10:11], null, s6, v10, 0
	v_add_co_u32 v125, vcc_lo, s8, v6
	s_wait_alu 0xfffd
	v_add_co_ci_u32_e64 v126, null, s9, v7, vcc_lo
	v_add_co_u32 v127, vcc_lo, s10, v6
	v_add3_u32 v9, v9, v14, v13
	s_wait_alu 0xfffd
	v_add_co_ci_u32_e64 v128, null, s11, v7, vcc_lo
	v_add3_u32 v11, v11, v15, v12
	v_add_co_u32 v12, vcc_lo, v4, 8
	s_wait_alu 0xfffd
	v_add_co_ci_u32_e64 v13, null, 0, v5, vcc_lo
	v_lshlrev_b64_e32 v[6:7], 1, v[8:9]
	v_lshlrev_b64_e32 v[8:9], 1, v[10:11]
	v_mul_lo_u32 v14, s7, v12
	s_delay_alu instid0(VALU_DEP_4)
	v_mul_lo_u32 v13, s6, v13
	v_mad_co_u64_u32 v[10:11], null, s6, v12, 0
	v_add_co_u32 v129, vcc_lo, s8, v6
	s_wait_alu 0xfffd
	v_add_co_ci_u32_e64 v130, null, s9, v7, vcc_lo
	v_add_co_u32 v131, vcc_lo, s10, v6
	s_wait_alu 0xfffd
	v_add_co_ci_u32_e64 v132, null, s11, v7, vcc_lo
	v_add_co_u32 v133, vcc_lo, s8, v8
	v_add3_u32 v11, v11, v13, v14
	s_wait_alu 0xfffd
	v_add_co_ci_u32_e64 v134, null, s9, v9, vcc_lo
	v_add_co_u32 v12, vcc_lo, v4, 7
	v_add_co_u32 v135, s3, s10, v8
	s_wait_alu 0xfffd
	v_add_co_ci_u32_e64 v8, null, 0, v5, vcc_lo
	v_lshlrev_b64_e32 v[6:7], 1, v[10:11]
	v_add_co_u32 v10, vcc_lo, v4, 6
	s_wait_alu 0xfffd
	v_add_co_ci_u32_e64 v11, null, 0, v5, vcc_lo
	s_wait_alu 0xf1ff
	v_add_co_ci_u32_e64 v136, null, s11, v9, s3
	v_mul_lo_u32 v13, s7, v12
	v_mul_lo_u32 v14, s6, v8
	v_mad_co_u64_u32 v[8:9], null, s6, v12, 0
	v_mul_lo_u32 v12, s7, v10
	v_mul_lo_u32 v15, s6, v11
	v_mad_co_u64_u32 v[10:11], null, s6, v10, 0
	v_add_co_u32 v137, vcc_lo, s8, v6
	v_add3_u32 v9, v9, v14, v13
	s_wait_alu 0xfffd
	v_add_co_ci_u32_e64 v138, null, s9, v7, vcc_lo
	v_add_co_u32 v139, vcc_lo, s10, v6
	s_wait_alu 0xfffd
	v_add_co_ci_u32_e64 v140, null, s11, v7, vcc_lo
	v_add3_u32 v11, v11, v15, v12
	v_add_co_u32 v12, vcc_lo, v4, 5
	v_lshlrev_b64_e32 v[6:7], 1, v[8:9]
	s_wait_alu 0xfffd
	v_add_co_ci_u32_e64 v13, null, 0, v5, vcc_lo
	v_lshlrev_b64_e32 v[8:9], 1, v[10:11]
	v_mul_lo_u32 v14, s7, v12
	v_mad_co_u64_u32 v[10:11], null, s6, v12, 0
	v_add_co_u32 v141, vcc_lo, s8, v6
	v_mul_lo_u32 v13, s6, v13
	s_wait_alu 0xfffd
	v_add_co_ci_u32_e64 v142, null, s9, v7, vcc_lo
	v_add_co_u32 v143, vcc_lo, s10, v6
	s_wait_alu 0xfffd
	v_add_co_ci_u32_e64 v144, null, s11, v7, vcc_lo
	v_add_co_u32 v145, vcc_lo, s8, v8
	;; [unrolled: 3-line block ×3, first 2 shown]
	v_add3_u32 v11, v11, v13, v14
	v_add_co_u32 v147, s3, s10, v8
	s_wait_alu 0xfffd
	v_add_co_ci_u32_e64 v8, null, 0, v5, vcc_lo
	s_wait_alu 0xf1ff
	v_add_co_ci_u32_e64 v148, null, s11, v9, s3
	v_lshlrev_b64_e32 v[6:7], 1, v[10:11]
	v_mul_lo_u32 v13, s7, v12
	v_add_co_u32 v10, vcc_lo, v4, 3
	v_mul_lo_u32 v14, s6, v8
	v_mad_co_u64_u32 v[8:9], null, s6, v12, 0
	s_wait_alu 0xfffd
	v_add_co_ci_u32_e64 v11, null, 0, v5, vcc_lo
	v_mul_lo_u32 v12, s7, v10
	v_add_co_u32 v149, vcc_lo, s8, v6
	s_delay_alu instid0(VALU_DEP_3)
	v_mul_lo_u32 v15, s6, v11
	v_mad_co_u64_u32 v[10:11], null, s6, v10, 0
	v_add3_u32 v9, v9, v14, v13
	s_wait_alu 0xfffd
	v_add_co_ci_u32_e64 v150, null, s9, v7, vcc_lo
	v_add_co_u32 v151, vcc_lo, s10, v6
	s_wait_alu 0xfffd
	v_add_co_ci_u32_e64 v152, null, s11, v7, vcc_lo
	v_lshlrev_b64_e32 v[6:7], 1, v[8:9]
	v_add_co_u32 v8, vcc_lo, v4, 2
	v_add3_u32 v11, v11, v15, v12
	s_wait_alu 0xfffd
	v_add_co_ci_u32_e64 v9, null, 0, v5, vcc_lo
	s_delay_alu instid0(VALU_DEP_4) | instskip(NEXT) | instid1(VALU_DEP_3)
	v_add_co_u32 v153, vcc_lo, s8, v6
	v_lshlrev_b64_e32 v[4:5], 1, v[10:11]
	v_mul_lo_u32 v10, s7, v8
	s_delay_alu instid0(VALU_DEP_4)
	v_mul_lo_u32 v11, s6, v9
	v_mad_co_u64_u32 v[8:9], null, s6, v8, 0
	s_wait_alu 0xfffd
	v_add_co_ci_u32_e64 v154, null, s9, v7, vcc_lo
	v_add_co_u32 v155, vcc_lo, s10, v6
	s_wait_alu 0xfffd
	v_add_co_ci_u32_e64 v156, null, s11, v7, vcc_lo
	v_add_co_u32 v157, vcc_lo, s8, v4
	s_wait_alu 0xfffd
	v_add_co_ci_u32_e64 v158, null, s9, v5, vcc_lo
	v_add3_u32 v9, v9, v11, v10
	v_add_co_u32 v159, vcc_lo, s10, v4
	s_wait_alu 0xfffd
	v_add_co_ci_u32_e64 v160, null, s11, v5, vcc_lo
	v_add_co_u32 v2, vcc_lo, v2, s6
	s_wait_alu 0xfffd
	v_add_co_ci_u32_e64 v3, null, s7, v3, vcc_lo
	v_lshlrev_b64_e32 v[4:5], 1, v[8:9]
	s_delay_alu instid0(VALU_DEP_2) | instskip(NEXT) | instid1(VALU_DEP_2)
	v_lshlrev_b64_e32 v[2:3], 1, v[2:3]
	v_add_co_u32 v161, vcc_lo, s8, v4
	s_wait_alu 0xfffd
	s_delay_alu instid0(VALU_DEP_3)
	v_add_co_ci_u32_e64 v162, null, s9, v5, vcc_lo
	v_add_co_u32 v163, vcc_lo, s10, v4
	s_wait_alu 0xfffd
	v_add_co_ci_u32_e64 v164, null, s11, v5, vcc_lo
	v_add_co_u32 v165, vcc_lo, s8, v2
	s_wait_alu 0xfffd
	;; [unrolled: 3-line block ×3, first 2 shown]
	v_add_co_ci_u32_e64 v168, null, s11, v3, vcc_lo
.LBB107_3:                              ; =>This Inner Loop Header: Depth=1
	s_add_nc_u64 s[34:35], s[16:17], s[26:27]
	v_add_co_u32 v36, vcc_lo, s16, v39
	s_wait_alu 0xfffe
	v_cmp_ge_i64_e64 s3, s[34:35], s[4:5]
	s_wait_alu 0xfffd
	v_add_co_ci_u32_e64 v37, null, 0, v41, vcc_lo
                                        ; implicit-def: $vgpr2_vgpr3_vgpr4_vgpr5_vgpr6_vgpr7_vgpr8_vgpr9_vgpr10_vgpr11_vgpr12_vgpr13_vgpr14_vgpr15_vgpr16_vgpr17_vgpr18_vgpr19_vgpr20_vgpr21_vgpr22_vgpr23_vgpr24_vgpr25_vgpr26_vgpr27_vgpr28_vgpr29_vgpr30_vgpr31_vgpr32_vgpr33
                                        ; implicit-def: $vgpr171
                                        ; implicit-def: $vgpr188
                                        ; implicit-def: $vgpr2
                                        ; implicit-def: $vgpr203
                                        ; implicit-def: $vgpr3
	s_and_b32 vcc_lo, exec_lo, s3
	s_mov_b32 s3, -1
	s_wait_alu 0xfffe
	s_cbranch_vccz .LBB107_71
; %bb.4:                                ;   in Loop: Header=BB107_3 Depth=1
	s_load_b32 s3, s[20:21], 0xc
	v_mov_b32_e32 v172, 0
	v_dual_mov_b32 v170, 0 :: v_dual_mov_b32 v171, 0
	s_wait_kmcnt 0x0
	s_and_b32 s3, s3, 0xffff
	s_wait_alu 0xfffe
	v_mad_u32_u24 v2, v38, s3, v40
	s_mov_b32 s3, exec_lo
	s_delay_alu instid0(VALU_DEP_1) | instskip(NEXT) | instid1(VALU_DEP_1)
	v_and_b32_e32 v2, 31, v2
	v_add_co_u32 v2, vcc_lo, v36, v2
	s_wait_alu 0xfffd
	v_add_co_ci_u32_e64 v3, null, 0, v37, vcc_lo
	s_delay_alu instid0(VALU_DEP_1)
	v_cmpx_gt_i64_e64 s[4:5], v[2:3]
	s_cbranch_execz .LBB107_6
; %bb.5:                                ;   in Loop: Header=BB107_3 Depth=1
	v_lshlrev_b64_e32 v[2:3], 2, v[2:3]
	s_delay_alu instid0(VALU_DEP_1) | instskip(SKIP_1) | instid1(VALU_DEP_2)
	v_add_co_u32 v4, vcc_lo, s12, v2
	s_wait_alu 0xfffd
	v_add_co_ci_u32_e64 v5, null, s13, v3, vcc_lo
	v_add_co_u32 v2, vcc_lo, s14, v2
	s_wait_alu 0xfffd
	v_add_co_ci_u32_e64 v3, null, s15, v3, vcc_lo
	global_load_b32 v170, v[4:5], off
	global_load_b32 v171, v[2:3], off
.LBB107_6:                              ;   in Loop: Header=BB107_3 Depth=1
	s_wait_alu 0xfffe
	s_or_b32 exec_lo, exec_lo, s3
	v_mov_b32_e32 v32, v1
	v_cmp_gt_i64_e32 vcc_lo, s[4:5], v[36:37]
	v_dual_mov_b32 v2, v1 :: v_dual_mov_b32 v3, v1
	v_dual_mov_b32 v4, v1 :: v_dual_mov_b32 v5, v1
	;; [unrolled: 1-line block ×15, first 2 shown]
	v_mov_b32_e32 v33, v32
	s_delay_alu instid0(VALU_DEP_2) | instskip(NEXT) | instid1(VALU_DEP_3)
	v_mov_b32_e32 v32, v31
	v_mov_b32_e32 v31, v30
	;; [unrolled: 1-line block ×31, first 2 shown]
	s_and_b32 s18, s2, vcc_lo
	s_delay_alu instid0(SALU_CYCLE_1)
	s_and_saveexec_b32 s3, s18
	s_cbranch_execz .LBB107_8
; %bb.7:                                ;   in Loop: Header=BB107_3 Depth=1
	v_add_co_u32 v2, vcc_lo, v42, v34
	s_wait_alu 0xfffd
	v_add_co_ci_u32_e64 v3, null, v43, v35, vcc_lo
	v_add_co_u32 v4, vcc_lo, v44, v34
	s_wait_alu 0xfffd
	v_add_co_ci_u32_e64 v5, null, v45, v35, vcc_lo
	global_load_u16 v2, v[2:3], off
	global_load_u16 v172, v[4:5], off
	v_dual_mov_b32 v3, v1 :: v_dual_mov_b32 v4, v1
	v_dual_mov_b32 v5, v1 :: v_dual_mov_b32 v6, v1
	;; [unrolled: 1-line block ×15, first 2 shown]
	s_wait_loadcnt 0x1
	v_dual_mov_b32 v33, v1 :: v_dual_lshlrev_b32 v2, 16, v2
	s_wait_loadcnt 0x0
	v_lshlrev_b32_e32 v172, 16, v172
.LBB107_8:                              ;   in Loop: Header=BB107_3 Depth=1
	s_wait_alu 0xfffe
	s_or_b32 exec_lo, exec_lo, s3
	v_add_co_u32 v173, vcc_lo, v36, 1
	s_wait_alu 0xfffd
	v_add_co_ci_u32_e64 v174, null, 0, v37, vcc_lo
	s_delay_alu instid0(VALU_DEP_1) | instskip(SKIP_2) | instid1(SALU_CYCLE_1)
	v_cmp_gt_i64_e32 vcc_lo, s[4:5], v[173:174]
	v_dual_mov_b32 v173, 0 :: v_dual_mov_b32 v174, 0
	s_and_b32 s18, s2, vcc_lo
	s_and_saveexec_b32 s3, s18
	s_cbranch_execz .LBB107_10
; %bb.9:                                ;   in Loop: Header=BB107_3 Depth=1
	v_add_co_u32 v174, vcc_lo, v165, v34
	s_wait_alu 0xfffd
	v_add_co_ci_u32_e64 v175, null, v166, v35, vcc_lo
	v_add_co_u32 v176, vcc_lo, v167, v34
	s_wait_alu 0xfffd
	v_add_co_ci_u32_e64 v177, null, v168, v35, vcc_lo
	global_load_u16 v3, v[174:175], off
	global_load_u16 v174, v[176:177], off
	s_wait_loadcnt 0x1
	v_lshlrev_b32_e32 v3, 16, v3
	s_wait_loadcnt 0x0
	v_lshlrev_b32_e32 v174, 16, v174
.LBB107_10:                             ;   in Loop: Header=BB107_3 Depth=1
	s_wait_alu 0xfffe
	s_or_b32 exec_lo, exec_lo, s3
	v_add_co_u32 v175, vcc_lo, v36, 2
	s_wait_alu 0xfffd
	v_add_co_ci_u32_e64 v176, null, 0, v37, vcc_lo
	s_delay_alu instid0(VALU_DEP_1) | instskip(SKIP_1) | instid1(SALU_CYCLE_1)
	v_cmp_gt_i64_e32 vcc_lo, s[4:5], v[175:176]
	s_and_b32 s18, s2, vcc_lo
	s_and_saveexec_b32 s3, s18
	s_cbranch_execz .LBB107_12
; %bb.11:                               ;   in Loop: Header=BB107_3 Depth=1
	v_add_co_u32 v175, vcc_lo, v161, v34
	s_wait_alu 0xfffd
	v_add_co_ci_u32_e64 v176, null, v162, v35, vcc_lo
	v_add_co_u32 v177, vcc_lo, v163, v34
	s_wait_alu 0xfffd
	v_add_co_ci_u32_e64 v178, null, v164, v35, vcc_lo
	global_load_u16 v4, v[175:176], off
	global_load_u16 v173, v[177:178], off
	s_wait_loadcnt 0x1
	v_lshlrev_b32_e32 v4, 16, v4
	s_wait_loadcnt 0x0
	v_lshlrev_b32_e32 v173, 16, v173
.LBB107_12:                             ;   in Loop: Header=BB107_3 Depth=1
	s_wait_alu 0xfffe
	s_or_b32 exec_lo, exec_lo, s3
	v_add_co_u32 v175, vcc_lo, v36, 3
	s_wait_alu 0xfffd
	v_add_co_ci_u32_e64 v176, null, 0, v37, vcc_lo
	s_delay_alu instid0(VALU_DEP_1) | instskip(SKIP_2) | instid1(SALU_CYCLE_1)
	v_cmp_gt_i64_e32 vcc_lo, s[4:5], v[175:176]
	v_dual_mov_b32 v175, 0 :: v_dual_mov_b32 v176, 0
	s_and_b32 s18, s2, vcc_lo
	s_and_saveexec_b32 s3, s18
	s_cbranch_execz .LBB107_14
; %bb.13:                               ;   in Loop: Header=BB107_3 Depth=1
	v_add_co_u32 v176, vcc_lo, v157, v34
	s_wait_alu 0xfffd
	v_add_co_ci_u32_e64 v177, null, v158, v35, vcc_lo
	v_add_co_u32 v178, vcc_lo, v159, v34
	s_wait_alu 0xfffd
	v_add_co_ci_u32_e64 v179, null, v160, v35, vcc_lo
	global_load_u16 v5, v[176:177], off
	global_load_u16 v176, v[178:179], off
	s_wait_loadcnt 0x1
	v_lshlrev_b32_e32 v5, 16, v5
	s_wait_loadcnt 0x0
	v_lshlrev_b32_e32 v176, 16, v176
.LBB107_14:                             ;   in Loop: Header=BB107_3 Depth=1
	s_wait_alu 0xfffe
	s_or_b32 exec_lo, exec_lo, s3
	v_add_co_u32 v177, vcc_lo, v36, 4
	s_wait_alu 0xfffd
	v_add_co_ci_u32_e64 v178, null, 0, v37, vcc_lo
	s_delay_alu instid0(VALU_DEP_1) | instskip(SKIP_1) | instid1(SALU_CYCLE_1)
	v_cmp_gt_i64_e32 vcc_lo, s[4:5], v[177:178]
	s_and_b32 s18, s2, vcc_lo
	s_and_saveexec_b32 s3, s18
	s_cbranch_execz .LBB107_16
; %bb.15:                               ;   in Loop: Header=BB107_3 Depth=1
	v_add_co_u32 v177, vcc_lo, v153, v34
	s_wait_alu 0xfffd
	v_add_co_ci_u32_e64 v178, null, v154, v35, vcc_lo
	v_add_co_u32 v179, vcc_lo, v155, v34
	s_wait_alu 0xfffd
	v_add_co_ci_u32_e64 v180, null, v156, v35, vcc_lo
	global_load_u16 v6, v[177:178], off
	global_load_u16 v175, v[179:180], off
	s_wait_loadcnt 0x1
	v_lshlrev_b32_e32 v6, 16, v6
	s_wait_loadcnt 0x0
	v_lshlrev_b32_e32 v175, 16, v175
.LBB107_16:                             ;   in Loop: Header=BB107_3 Depth=1
	s_wait_alu 0xfffe
	s_or_b32 exec_lo, exec_lo, s3
	v_add_co_u32 v177, vcc_lo, v36, 5
	s_wait_alu 0xfffd
	v_add_co_ci_u32_e64 v178, null, 0, v37, vcc_lo
	s_delay_alu instid0(VALU_DEP_1) | instskip(SKIP_2) | instid1(SALU_CYCLE_1)
	v_cmp_gt_i64_e32 vcc_lo, s[4:5], v[177:178]
	v_dual_mov_b32 v177, 0 :: v_dual_mov_b32 v178, 0
	s_and_b32 s18, s2, vcc_lo
	s_and_saveexec_b32 s3, s18
	s_cbranch_execz .LBB107_18
; %bb.17:                               ;   in Loop: Header=BB107_3 Depth=1
	v_add_co_u32 v178, vcc_lo, v149, v34
	s_wait_alu 0xfffd
	v_add_co_ci_u32_e64 v179, null, v150, v35, vcc_lo
	v_add_co_u32 v180, vcc_lo, v151, v34
	s_wait_alu 0xfffd
	v_add_co_ci_u32_e64 v181, null, v152, v35, vcc_lo
	global_load_u16 v7, v[178:179], off
	global_load_u16 v178, v[180:181], off
	s_wait_loadcnt 0x1
	v_lshlrev_b32_e32 v7, 16, v7
	s_wait_loadcnt 0x0
	v_lshlrev_b32_e32 v178, 16, v178
.LBB107_18:                             ;   in Loop: Header=BB107_3 Depth=1
	;; [unrolled: 49-line block ×6, first 2 shown]
	s_wait_alu 0xfffe
	s_or_b32 exec_lo, exec_lo, s3
	v_add_co_u32 v187, vcc_lo, v36, 14
	s_wait_alu 0xfffd
	v_add_co_ci_u32_e64 v188, null, 0, v37, vcc_lo
	s_delay_alu instid0(VALU_DEP_1) | instskip(SKIP_1) | instid1(SALU_CYCLE_1)
	v_cmp_gt_i64_e32 vcc_lo, s[4:5], v[187:188]
	s_and_b32 s18, s2, vcc_lo
	s_and_saveexec_b32 s3, s18
	s_cbranch_execz .LBB107_36
; %bb.35:                               ;   in Loop: Header=BB107_3 Depth=1
	v_add_co_u32 v187, vcc_lo, v113, v34
	s_wait_alu 0xfffd
	v_add_co_ci_u32_e64 v188, null, v114, v35, vcc_lo
	v_add_co_u32 v189, vcc_lo, v115, v34
	s_wait_alu 0xfffd
	v_add_co_ci_u32_e64 v190, null, v116, v35, vcc_lo
	global_load_u16 v16, v[187:188], off
	global_load_u16 v185, v[189:190], off
	s_wait_loadcnt 0x1
	v_lshlrev_b32_e32 v16, 16, v16
	s_wait_loadcnt 0x0
	v_lshlrev_b32_e32 v185, 16, v185
.LBB107_36:                             ;   in Loop: Header=BB107_3 Depth=1
	s_wait_alu 0xfffe
	s_or_b32 exec_lo, exec_lo, s3
	v_add_co_u32 v187, vcc_lo, v36, 15
	s_wait_alu 0xfffd
	v_add_co_ci_u32_e64 v188, null, 0, v37, vcc_lo
	v_mov_b32_e32 v189, 0
	s_delay_alu instid0(VALU_DEP_2) | instskip(SKIP_2) | instid1(SALU_CYCLE_1)
	v_cmp_gt_i64_e32 vcc_lo, s[4:5], v[187:188]
	v_mov_b32_e32 v187, 0
	s_and_b32 s18, s2, vcc_lo
	s_and_saveexec_b32 s3, s18
	s_cbranch_execz .LBB107_38
; %bb.37:                               ;   in Loop: Header=BB107_3 Depth=1
	v_add_co_u32 v188, vcc_lo, v109, v34
	s_wait_alu 0xfffd
	v_add_co_ci_u32_e64 v189, null, v110, v35, vcc_lo
	v_add_co_u32 v190, vcc_lo, v111, v34
	s_wait_alu 0xfffd
	v_add_co_ci_u32_e64 v191, null, v112, v35, vcc_lo
	global_load_u16 v17, v[188:189], off
	global_load_u16 v188, v[190:191], off
	s_wait_loadcnt 0x1
	v_lshlrev_b32_e32 v17, 16, v17
	s_wait_loadcnt 0x0
	v_lshlrev_b32_e32 v189, 16, v188
.LBB107_38:                             ;   in Loop: Header=BB107_3 Depth=1
	s_wait_alu 0xfffe
	s_or_b32 exec_lo, exec_lo, s3
	v_add_co_u32 v190, vcc_lo, v36, 16
	s_wait_alu 0xfffd
	v_add_co_ci_u32_e64 v191, null, 0, v37, vcc_lo
	s_delay_alu instid0(VALU_DEP_1) | instskip(SKIP_1) | instid1(SALU_CYCLE_1)
	v_cmp_gt_i64_e32 vcc_lo, s[4:5], v[190:191]
	s_and_b32 s18, s2, vcc_lo
	s_and_saveexec_b32 s3, s18
	s_cbranch_execz .LBB107_40
; %bb.39:                               ;   in Loop: Header=BB107_3 Depth=1
	v_add_co_u32 v187, vcc_lo, v105, v34
	s_wait_alu 0xfffd
	v_add_co_ci_u32_e64 v188, null, v106, v35, vcc_lo
	v_add_co_u32 v190, vcc_lo, v107, v34
	s_wait_alu 0xfffd
	v_add_co_ci_u32_e64 v191, null, v108, v35, vcc_lo
	global_load_u16 v18, v[187:188], off
	global_load_u16 v187, v[190:191], off
	s_wait_loadcnt 0x1
	v_lshlrev_b32_e32 v18, 16, v18
	s_wait_loadcnt 0x0
	v_lshlrev_b32_e32 v187, 16, v187
.LBB107_40:                             ;   in Loop: Header=BB107_3 Depth=1
	s_wait_alu 0xfffe
	s_or_b32 exec_lo, exec_lo, s3
	v_add_co_u32 v190, vcc_lo, v36, 17
	s_wait_alu 0xfffd
	v_add_co_ci_u32_e64 v191, null, 0, v37, vcc_lo
	s_delay_alu instid0(VALU_DEP_1) | instskip(SKIP_2) | instid1(SALU_CYCLE_1)
	v_cmp_gt_i64_e32 vcc_lo, s[4:5], v[190:191]
	v_dual_mov_b32 v190, 0 :: v_dual_mov_b32 v191, 0
	s_and_b32 s18, s2, vcc_lo
	s_and_saveexec_b32 s3, s18
	s_cbranch_execz .LBB107_42
; %bb.41:                               ;   in Loop: Header=BB107_3 Depth=1
	v_add_co_u32 v191, vcc_lo, v101, v34
	s_wait_alu 0xfffd
	v_add_co_ci_u32_e64 v192, null, v102, v35, vcc_lo
	v_add_co_u32 v193, vcc_lo, v103, v34
	s_wait_alu 0xfffd
	v_add_co_ci_u32_e64 v194, null, v104, v35, vcc_lo
	global_load_u16 v19, v[191:192], off
	global_load_u16 v188, v[193:194], off
	s_wait_loadcnt 0x1
	v_lshlrev_b32_e32 v19, 16, v19
	s_wait_loadcnt 0x0
	v_lshlrev_b32_e32 v191, 16, v188
.LBB107_42:                             ;   in Loop: Header=BB107_3 Depth=1
	s_wait_alu 0xfffe
	s_or_b32 exec_lo, exec_lo, s3
	v_add_co_u32 v192, vcc_lo, v36, 18
	s_wait_alu 0xfffd
	v_add_co_ci_u32_e64 v193, null, 0, v37, vcc_lo
	s_delay_alu instid0(VALU_DEP_1) | instskip(SKIP_1) | instid1(SALU_CYCLE_1)
	v_cmp_gt_i64_e32 vcc_lo, s[4:5], v[192:193]
	s_and_b32 s18, s2, vcc_lo
	s_and_saveexec_b32 s3, s18
	s_cbranch_execz .LBB107_44
; %bb.43:                               ;   in Loop: Header=BB107_3 Depth=1
	v_add_co_u32 v192, vcc_lo, v97, v34
	s_wait_alu 0xfffd
	v_add_co_ci_u32_e64 v193, null, v98, v35, vcc_lo
	v_add_co_u32 v194, vcc_lo, v99, v34
	s_wait_alu 0xfffd
	v_add_co_ci_u32_e64 v195, null, v100, v35, vcc_lo
	global_load_u16 v20, v[192:193], off
	global_load_u16 v188, v[194:195], off
	s_wait_loadcnt 0x1
	v_lshlrev_b32_e32 v20, 16, v20
	s_wait_loadcnt 0x0
	v_lshlrev_b32_e32 v190, 16, v188
.LBB107_44:                             ;   in Loop: Header=BB107_3 Depth=1
	s_wait_alu 0xfffe
	s_or_b32 exec_lo, exec_lo, s3
	v_add_co_u32 v192, vcc_lo, v36, 19
	s_wait_alu 0xfffd
	v_add_co_ci_u32_e64 v193, null, 0, v37, vcc_lo
	s_delay_alu instid0(VALU_DEP_1) | instskip(SKIP_2) | instid1(SALU_CYCLE_1)
	v_cmp_gt_i64_e32 vcc_lo, s[4:5], v[192:193]
	v_dual_mov_b32 v192, 0 :: v_dual_mov_b32 v193, 0
	;; [unrolled: 49-line block ×5, first 2 shown]
	s_and_b32 s18, s2, vcc_lo
	s_and_saveexec_b32 s3, s18
	s_cbranch_execz .LBB107_58
; %bb.57:                               ;   in Loop: Header=BB107_3 Depth=1
	v_add_co_u32 v199, vcc_lo, v69, v34
	s_wait_alu 0xfffd
	v_add_co_ci_u32_e64 v200, null, v70, v35, vcc_lo
	v_add_co_u32 v202, vcc_lo, v71, v34
	s_wait_alu 0xfffd
	v_add_co_ci_u32_e64 v203, null, v72, v35, vcc_lo
	global_load_u16 v27, v[199:200], off
	global_load_u16 v188, v[202:203], off
	s_wait_loadcnt 0x1
	v_lshlrev_b32_e32 v27, 16, v27
	s_wait_loadcnt 0x0
	v_lshlrev_b32_e32 v199, 16, v188
.LBB107_58:                             ;   in Loop: Header=BB107_3 Depth=1
	s_wait_alu 0xfffe
	s_or_b32 exec_lo, exec_lo, s3
	v_add_co_u32 v202, vcc_lo, v36, 26
	s_wait_alu 0xfffd
	v_add_co_ci_u32_e64 v203, null, 0, v37, vcc_lo
	s_delay_alu instid0(VALU_DEP_1) | instskip(SKIP_1) | instid1(SALU_CYCLE_1)
	v_cmp_gt_i64_e32 vcc_lo, s[4:5], v[202:203]
	s_and_b32 s18, s2, vcc_lo
	s_and_saveexec_b32 s3, s18
	s_cbranch_execz .LBB107_60
; %bb.59:                               ;   in Loop: Header=BB107_3 Depth=1
	v_add_co_u32 v202, vcc_lo, v0, v34
	s_wait_alu 0xfffd
	v_add_co_ci_u32_e64 v203, null, v66, v35, vcc_lo
	v_add_co_u32 v204, vcc_lo, v67, v34
	s_wait_alu 0xfffd
	v_add_co_ci_u32_e64 v205, null, v68, v35, vcc_lo
	global_load_u16 v28, v[202:203], off
	global_load_u16 v188, v[204:205], off
	s_wait_loadcnt 0x1
	v_lshlrev_b32_e32 v28, 16, v28
	s_wait_loadcnt 0x0
	v_lshlrev_b32_e32 v198, 16, v188
.LBB107_60:                             ;   in Loop: Header=BB107_3 Depth=1
	s_wait_alu 0xfffe
	s_or_b32 exec_lo, exec_lo, s3
	v_add_co_u32 v202, vcc_lo, v36, 27
	s_wait_alu 0xfffd
	v_add_co_ci_u32_e64 v203, null, 0, v37, vcc_lo
	v_mov_b32_e32 v200, 0
	s_delay_alu instid0(VALU_DEP_2) | instskip(SKIP_2) | instid1(SALU_CYCLE_1)
	v_cmp_gt_i64_e32 vcc_lo, s[4:5], v[202:203]
	v_mov_b32_e32 v202, 0
	s_and_b32 s18, s2, vcc_lo
	s_and_saveexec_b32 s3, s18
	s_cbranch_execz .LBB107_62
; %bb.61:                               ;   in Loop: Header=BB107_3 Depth=1
	v_add_co_u32 v202, vcc_lo, v62, v34
	s_wait_alu 0xfffd
	v_add_co_ci_u32_e64 v203, null, v63, v35, vcc_lo
	v_add_co_u32 v204, vcc_lo, v64, v34
	s_wait_alu 0xfffd
	v_add_co_ci_u32_e64 v205, null, v65, v35, vcc_lo
	global_load_u16 v29, v[202:203], off
	global_load_u16 v188, v[204:205], off
	s_wait_loadcnt 0x1
	v_lshlrev_b32_e32 v29, 16, v29
	s_wait_loadcnt 0x0
	v_lshlrev_b32_e32 v202, 16, v188
.LBB107_62:                             ;   in Loop: Header=BB107_3 Depth=1
	s_wait_alu 0xfffe
	s_or_b32 exec_lo, exec_lo, s3
	v_add_co_u32 v203, vcc_lo, v36, 28
	s_wait_alu 0xfffd
	v_add_co_ci_u32_e64 v204, null, 0, v37, vcc_lo
	s_delay_alu instid0(VALU_DEP_1) | instskip(SKIP_1) | instid1(SALU_CYCLE_1)
	v_cmp_gt_i64_e32 vcc_lo, s[4:5], v[203:204]
	s_and_b32 s18, s2, vcc_lo
	s_and_saveexec_b32 s3, s18
	s_cbranch_execz .LBB107_64
; %bb.63:                               ;   in Loop: Header=BB107_3 Depth=1
	v_add_co_u32 v203, vcc_lo, v58, v34
	s_wait_alu 0xfffd
	v_add_co_ci_u32_e64 v204, null, v59, v35, vcc_lo
	v_add_co_u32 v205, vcc_lo, v60, v34
	s_wait_alu 0xfffd
	v_add_co_ci_u32_e64 v206, null, v61, v35, vcc_lo
	global_load_u16 v30, v[203:204], off
	global_load_u16 v188, v[205:206], off
	s_wait_loadcnt 0x1
	v_lshlrev_b32_e32 v30, 16, v30
	s_wait_loadcnt 0x0
	v_lshlrev_b32_e32 v200, 16, v188
.LBB107_64:                             ;   in Loop: Header=BB107_3 Depth=1
	s_wait_alu 0xfffe
	s_or_b32 exec_lo, exec_lo, s3
	v_add_co_u32 v203, vcc_lo, v36, 29
	s_wait_alu 0xfffd
	v_add_co_ci_u32_e64 v204, null, 0, v37, vcc_lo
	v_mov_b32_e32 v205, 0
	s_delay_alu instid0(VALU_DEP_2) | instskip(SKIP_2) | instid1(SALU_CYCLE_1)
	v_cmp_gt_i64_e32 vcc_lo, s[4:5], v[203:204]
	v_mov_b32_e32 v204, 0
	s_and_b32 s18, s2, vcc_lo
	s_and_saveexec_b32 s3, s18
	s_cbranch_execz .LBB107_66
; %bb.65:                               ;   in Loop: Header=BB107_3 Depth=1
	v_add_co_u32 v205, vcc_lo, v54, v34
	s_wait_alu 0xfffd
	v_add_co_ci_u32_e64 v206, null, v55, v35, vcc_lo
	v_add_co_u32 v207, vcc_lo, v56, v34
	s_wait_alu 0xfffd
	v_add_co_ci_u32_e64 v208, null, v57, v35, vcc_lo
	global_load_u16 v31, v[205:206], off
	global_load_u16 v188, v[207:208], off
	s_wait_loadcnt 0x1
	v_lshlrev_b32_e32 v31, 16, v31
	s_wait_loadcnt 0x0
	v_lshlrev_b32_e32 v205, 16, v188
.LBB107_66:                             ;   in Loop: Header=BB107_3 Depth=1
	s_wait_alu 0xfffe
	s_or_b32 exec_lo, exec_lo, s3
	v_add_co_u32 v206, vcc_lo, v36, 30
	s_wait_alu 0xfffd
	v_add_co_ci_u32_e64 v207, null, 0, v37, vcc_lo
	s_delay_alu instid0(VALU_DEP_1) | instskip(SKIP_1) | instid1(SALU_CYCLE_1)
	v_cmp_gt_i64_e32 vcc_lo, s[4:5], v[206:207]
	s_and_b32 s18, s2, vcc_lo
	s_and_saveexec_b32 s3, s18
	s_cbranch_execz .LBB107_68
; %bb.67:                               ;   in Loop: Header=BB107_3 Depth=1
	v_add_co_u32 v203, vcc_lo, v50, v34
	s_wait_alu 0xfffd
	v_add_co_ci_u32_e64 v204, null, v51, v35, vcc_lo
	v_add_co_u32 v206, vcc_lo, v52, v34
	s_wait_alu 0xfffd
	v_add_co_ci_u32_e64 v207, null, v53, v35, vcc_lo
	global_load_u16 v32, v[203:204], off
	global_load_u16 v188, v[206:207], off
	s_wait_loadcnt 0x1
	v_lshlrev_b32_e32 v32, 16, v32
	s_wait_loadcnt 0x0
	v_lshlrev_b32_e32 v204, 16, v188
.LBB107_68:                             ;   in Loop: Header=BB107_3 Depth=1
	s_wait_alu 0xfffe
	s_or_b32 exec_lo, exec_lo, s3
	v_add_co_u32 v206, vcc_lo, v36, 31
	s_wait_alu 0xfffd
	v_add_co_ci_u32_e64 v207, null, 0, v37, vcc_lo
	v_mov_b32_e32 v188, 0
	s_delay_alu instid0(VALU_DEP_2) | instskip(SKIP_1) | instid1(SALU_CYCLE_1)
	v_cmp_gt_i64_e32 vcc_lo, s[4:5], v[206:207]
	s_and_b32 s18, s2, vcc_lo
	s_and_saveexec_b32 s3, s18
	s_cbranch_execz .LBB107_70
; %bb.69:                               ;   in Loop: Header=BB107_3 Depth=1
	v_add_co_u32 v206, vcc_lo, v46, v34
	s_wait_alu 0xfffd
	v_add_co_ci_u32_e64 v207, null, v47, v35, vcc_lo
	v_add_co_u32 v208, vcc_lo, v48, v34
	s_wait_alu 0xfffd
	v_add_co_ci_u32_e64 v209, null, v49, v35, vcc_lo
	global_load_u16 v33, v[206:207], off
	global_load_u16 v188, v[208:209], off
	s_wait_loadcnt 0x1
	v_lshlrev_b32_e32 v33, 16, v33
	s_wait_loadcnt 0x0
	v_lshlrev_b32_e32 v188, 16, v188
.LBB107_70:                             ;   in Loop: Header=BB107_3 Depth=1
	s_wait_alu 0xfffe
	s_or_b32 exec_lo, exec_lo, s3
	s_wait_loadcnt 0x1
	ds_bpermute_b32 v203, v1, v170
	ds_bpermute_b32 v209, v1, v170 offset:4
	s_wait_loadcnt 0x0
	ds_bpermute_b32 v206, v1, v171
	ds_bpermute_b32 v211, v1, v170 offset:8
	ds_bpermute_b32 v208, v1, v171 offset:4
	;; [unrolled: 1-line block ×4, first 2 shown]
	v_add_f32_e32 v207, v201, v2
	ds_bpermute_b32 v210, v1, v171 offset:8
	ds_bpermute_b32 v221, v1, v170 offset:28
	;; [unrolled: 1-line block ×12, first 2 shown]
	s_wait_dscnt 0x12
	v_sub_f32_e32 v172, v172, v203
	s_wait_dscnt 0x11
	v_sub_f32_e32 v174, v174, v209
	ds_bpermute_b32 v209, v1, v170 offset:44
	s_wait_dscnt 0x10
	v_sub_f32_e32 v173, v173, v211
	ds_bpermute_b32 v222, v1, v171 offset:32
	v_mul_f32_e32 v2, v2, v172
	v_mul_f32_e32 v174, v3, v174
	v_add_f32_e32 v3, v3, v207
	v_mul_f32_e32 v173, v4, v173
	ds_bpermute_b32 v224, v1, v171 offset:36
	v_fma_f32 v203, v2, v206, v169
	s_wait_dscnt 0x10
	v_sub_f32_e32 v176, v176, v213
	v_add_f32_e32 v3, v4, v3
	ds_bpermute_b32 v226, v1, v171 offset:40
	ds_bpermute_b32 v172, v1, v171 offset:44
	s_wait_dscnt 0x11
	v_dual_fmac_f32 v203, v174, v208 :: v_dual_sub_f32 v4, v175, v215
	v_mul_f32_e32 v175, v5, v176
	ds_bpermute_b32 v174, v1, v170 offset:48
	ds_bpermute_b32 v2, v1, v171 offset:48
	s_wait_dscnt 0x11
	v_dual_fmac_f32 v203, v173, v210 :: v_dual_sub_f32 v176, v180, v221
	v_dual_mul_f32 v4, v6, v4 :: v_dual_add_f32 v3, v5, v3
	s_wait_dscnt 0xf
	v_sub_f32_e32 v5, v178, v217
	s_delay_alu instid0(VALU_DEP_3)
	v_fmac_f32_e32 v203, v175, v212
	ds_bpermute_b32 v175, v1, v170 offset:52
	v_dual_mul_f32 v176, v9, v176 :: v_dual_add_f32 v3, v6, v3
	s_wait_dscnt 0xf
	v_dual_sub_f32 v6, v177, v219 :: v_dual_mul_f32 v5, v7, v5
	ds_bpermute_b32 v173, v1, v171 offset:52
	s_mov_b32 s3, 0
	v_dual_add_f32 v3, v7, v3 :: v_dual_mul_f32 v6, v8, v6
	s_wait_dscnt 0xe
	s_delay_alu instid0(VALU_DEP_1)
	v_dual_add_f32 v3, v8, v3 :: v_dual_sub_f32 v8, v182, v225
	v_fmac_f32_e32 v203, v4, v214
	ds_bpermute_b32 v4, v1, v171 offset:56
	v_dual_add_f32 v3, v9, v3 :: v_dual_mul_f32 v8, v11, v8
	s_wait_dscnt 0xe
	v_fmac_f32_e32 v203, v5, v216
	ds_bpermute_b32 v5, v1, v170 offset:56
	ds_bpermute_b32 v9, v1, v170 offset:60
	v_add_f32_e32 v3, v10, v3
	s_delay_alu instid0(VALU_DEP_1)
	v_add_f32_e32 v3, v11, v3
	s_wait_dscnt 0x4
	v_dual_sub_f32 v11, v183, v174 :: v_dual_sub_f32 v174, v186, v175
	v_fmac_f32_e32 v203, v6, v218
	ds_bpermute_b32 v6, v1, v171 offset:60
	v_add_f32_e32 v3, v12, v3
	v_mul_f32_e32 v11, v14, v11
	v_dual_fmac_f32 v203, v176, v220 :: v_dual_sub_f32 v176, v181, v227
	v_sub_f32_e32 v7, v179, v223
	s_delay_alu instid0(VALU_DEP_4) | instskip(SKIP_1) | instid1(VALU_DEP_3)
	v_add_f32_e32 v3, v13, v3
	s_wait_dscnt 0x2
	v_dual_sub_f32 v5, v185, v5 :: v_dual_mul_f32 v176, v12, v176
	ds_bpermute_b32 v12, v1, v170 offset:68
	v_dual_mul_f32 v7, v10, v7 :: v_dual_sub_f32 v10, v184, v209
	s_wait_dscnt 0x2
	v_sub_f32_e32 v9, v189, v9
	v_mul_f32_e32 v5, v16, v5
	s_delay_alu instid0(VALU_DEP_3)
	v_fmac_f32_e32 v203, v7, v222
	v_mul_f32_e32 v10, v13, v10
	ds_bpermute_b32 v7, v1, v171 offset:64
	v_mul_f32_e32 v13, v15, v174
	v_mul_f32_e32 v9, v17, v9
	v_fmac_f32_e32 v203, v8, v224
	ds_bpermute_b32 v8, v1, v170 offset:64
	v_fmac_f32_e32 v203, v176, v226
	s_delay_alu instid0(VALU_DEP_1)
	v_fmac_f32_e32 v203, v10, v172
	ds_bpermute_b32 v10, v1, v170 offset:72
	v_fmac_f32_e32 v203, v11, v2
	ds_bpermute_b32 v2, v1, v171 offset:68
	ds_bpermute_b32 v11, v1, v171 offset:72
	v_fmac_f32_e32 v203, v13, v173
	ds_bpermute_b32 v13, v1, v170 offset:76
	v_fmac_f32_e32 v203, v5, v4
	s_wait_dscnt 0x4
	v_sub_f32_e32 v4, v187, v8
	ds_bpermute_b32 v5, v1, v170 offset:80
	v_dual_sub_f32 v8, v191, v12 :: v_dual_fmac_f32 v203, v9, v6
	v_mul_f32_e32 v4, v18, v4
	ds_bpermute_b32 v6, v1, v171 offset:76
	s_wait_dscnt 0x5
	v_dual_mul_f32 v8, v19, v8 :: v_dual_sub_f32 v9, v190, v10
	ds_bpermute_b32 v10, v1, v170 offset:84
	v_fmac_f32_e32 v203, v4, v7
	ds_bpermute_b32 v4, v1, v171 offset:80
	v_mul_f32_e32 v7, v20, v9
	ds_bpermute_b32 v9, v1, v171 offset:84
	s_wait_dscnt 0x7
	v_fmac_f32_e32 v203, v8, v2
	ds_bpermute_b32 v8, v1, v170 offset:88
	s_wait_dscnt 0x6
	v_dual_sub_f32 v2, v193, v13 :: v_dual_fmac_f32 v203, v7, v11
	ds_bpermute_b32 v7, v1, v170 offset:92
	s_wait_dscnt 0x6
	v_dual_mul_f32 v2, v21, v2 :: v_dual_sub_f32 v5, v192, v5
	ds_bpermute_b32 v11, v1, v171 offset:116
	s_wait_dscnt 0x6
	v_fmac_f32_e32 v203, v2, v6
	ds_bpermute_b32 v2, v1, v171 offset:88
	s_wait_dscnt 0x6
	v_dual_mul_f32 v5, v22, v5 :: v_dual_sub_f32 v6, v195, v10
	ds_bpermute_b32 v10, v1, v170 offset:96
	s_wait_dscnt 0x6
	v_fmac_f32_e32 v203, v5, v4
	ds_bpermute_b32 v4, v1, v171 offset:92
	s_wait_dscnt 0x5
	v_dual_mul_f32 v5, v23, v6 :: v_dual_sub_f32 v6, v194, v8
	ds_bpermute_b32 v8, v1, v170 offset:100
	v_fmac_f32_e32 v203, v5, v9
	ds_bpermute_b32 v5, v1, v171 offset:96
	s_wait_dscnt 0x6
	v_dual_mul_f32 v6, v24, v6 :: v_dual_sub_f32 v7, v197, v7
	ds_bpermute_b32 v9, v1, v170 offset:104
	s_wait_dscnt 0x5
	v_fmac_f32_e32 v203, v6, v2
	ds_bpermute_b32 v2, v1, v171 offset:100
	s_wait_dscnt 0x5
	v_dual_mul_f32 v6, v25, v7 :: v_dual_sub_f32 v7, v196, v10
	ds_bpermute_b32 v10, v1, v170 offset:108
	s_wait_dscnt 0x5
	v_fmac_f32_e32 v203, v6, v4
	v_mul_f32_e32 v4, v26, v7
	ds_bpermute_b32 v6, v1, v171 offset:104
	s_wait_dscnt 0x5
	v_sub_f32_e32 v7, v199, v8
	ds_bpermute_b32 v8, v1, v170 offset:112
	s_wait_dscnt 0x5
	v_fmac_f32_e32 v203, v4, v5
	v_mul_f32_e32 v5, v27, v7
	ds_bpermute_b32 v4, v1, v171 offset:108
	s_wait_dscnt 0x5
	v_sub_f32_e32 v7, v198, v9
	ds_bpermute_b32 v9, v1, v170 offset:116
	s_wait_dscnt 0x5
	v_dual_fmac_f32 v203, v5, v2 :: v_dual_mul_f32 v2, v28, v7
	ds_bpermute_b32 v5, v1, v171 offset:112
	s_wait_dscnt 0x5
	v_sub_f32_e32 v10, v202, v10
	ds_bpermute_b32 v7, v1, v170 offset:120
	s_wait_dscnt 0x5
	v_fmac_f32_e32 v203, v2, v6
	v_mul_f32_e32 v2, v29, v10
	s_wait_dscnt 0x4
	v_dual_sub_f32 v6, v200, v8 :: v_dual_add_f32 v3, v14, v3
	ds_bpermute_b32 v8, v1, v171 offset:120
	ds_bpermute_b32 v171, v1, v171 offset:124
	s_wait_dscnt 0x5
	v_fmac_f32_e32 v203, v2, v4
	v_dual_add_f32 v3, v15, v3 :: v_dual_mul_f32 v4, v30, v6
	s_wait_dscnt 0x4
	v_sub_f32_e32 v6, v205, v9
	ds_bpermute_b32 v2, v1, v170 offset:124
	v_add_f32_e32 v3, v16, v3
	s_wait_dscnt 0x4
	v_dual_fmac_f32 v203, v4, v5 :: v_dual_mul_f32 v4, v31, v6
	s_wait_dscnt 0x3
	v_sub_f32_e32 v5, v204, v7
	v_add_f32_e32 v3, v17, v3
	s_delay_alu instid0(VALU_DEP_3) | instskip(NEXT) | instid1(VALU_DEP_2)
	v_fmac_f32_e32 v203, v4, v11
	v_dual_mul_f32 v4, v32, v5 :: v_dual_add_f32 v3, v18, v3
	s_wait_dscnt 0x2
	s_delay_alu instid0(VALU_DEP_1) | instskip(NEXT) | instid1(VALU_DEP_2)
	v_fmac_f32_e32 v203, v4, v8
	v_add_f32_e32 v3, v19, v3
	s_delay_alu instid0(VALU_DEP_1) | instskip(NEXT) | instid1(VALU_DEP_1)
	v_add_f32_e32 v3, v20, v3
	v_add_f32_e32 v3, v21, v3
	s_delay_alu instid0(VALU_DEP_1) | instskip(NEXT) | instid1(VALU_DEP_1)
	v_add_f32_e32 v3, v22, v3
	;; [unrolled: 3-line block ×6, first 2 shown]
	v_add_f32_e32 v3, v31, v3
	s_delay_alu instid0(VALU_DEP_1)
	v_add_f32_e32 v3, v32, v3
.LBB107_71:                             ;   in Loop: Header=BB107_3 Depth=1
	s_wait_alu 0xfffe
	s_and_b32 vcc_lo, exec_lo, s3
	s_wait_alu 0xfffe
	s_cbranch_vccz .LBB107_137
; %bb.72:                               ;   in Loop: Header=BB107_3 Depth=1
	s_load_b32 s3, s[20:21], 0x0
	v_mov_b32_e32 v170, 0
	s_wait_kmcnt 0x0
	s_cmp_lt_u32 ttmp9, s3
	s_cselect_b32 s18, 12, 18
	s_delay_alu instid0(SALU_CYCLE_1)
	s_add_nc_u64 s[34:35], s[20:21], s[18:19]
	s_load_u16 s3, s[34:35], 0x0
	s_wait_dscnt 0x0
	s_wait_kmcnt 0x0
	v_mad_u32_u24 v2, v38, s3, v40
	s_mov_b32 s3, exec_lo
	s_delay_alu instid0(VALU_DEP_1) | instskip(NEXT) | instid1(VALU_DEP_1)
	v_and_b32_e32 v2, 31, v2
	v_add_co_u32 v2, vcc_lo, v36, v2
	s_wait_alu 0xfffd
	v_add_co_ci_u32_e64 v3, null, 0, v37, vcc_lo
	v_dual_mov_b32 v37, 0 :: v_dual_mov_b32 v36, 0
	s_delay_alu instid0(VALU_DEP_2)
	v_cmpx_gt_i64_e64 s[4:5], v[2:3]
	s_cbranch_execz .LBB107_74
; %bb.73:                               ;   in Loop: Header=BB107_3 Depth=1
	v_lshlrev_b64_e32 v[2:3], 2, v[2:3]
	s_delay_alu instid0(VALU_DEP_1) | instskip(SKIP_1) | instid1(VALU_DEP_2)
	v_add_co_u32 v4, vcc_lo, s12, v2
	s_wait_alu 0xfffd
	v_add_co_ci_u32_e64 v5, null, s13, v3, vcc_lo
	v_add_co_u32 v2, vcc_lo, s14, v2
	s_wait_alu 0xfffd
	v_add_co_ci_u32_e64 v3, null, s15, v3, vcc_lo
	global_load_b32 v36, v[4:5], off
	global_load_b32 v37, v[2:3], off
.LBB107_74:                             ;   in Loop: Header=BB107_3 Depth=1
	s_wait_alu 0xfffe
	s_or_b32 exec_lo, exec_lo, s3
	v_mov_b32_e32 v32, v1
	v_dual_mov_b32 v2, v1 :: v_dual_mov_b32 v3, v1
	v_dual_mov_b32 v4, v1 :: v_dual_mov_b32 v5, v1
	;; [unrolled: 1-line block ×15, first 2 shown]
	v_mov_b32_e32 v33, v32
	s_delay_alu instid0(VALU_DEP_2) | instskip(NEXT) | instid1(VALU_DEP_3)
	v_mov_b32_e32 v32, v31
	v_mov_b32_e32 v31, v30
	v_mov_b32_e32 v30, v29
	v_mov_b32_e32 v29, v28
	v_mov_b32_e32 v28, v27
	v_mov_b32_e32 v27, v26
	v_mov_b32_e32 v26, v25
	v_mov_b32_e32 v25, v24
	v_mov_b32_e32 v24, v23
	v_mov_b32_e32 v23, v22
	v_mov_b32_e32 v22, v21
	v_mov_b32_e32 v21, v20
	v_mov_b32_e32 v20, v19
	v_mov_b32_e32 v19, v18
	v_mov_b32_e32 v18, v17
	v_mov_b32_e32 v17, v16
	v_mov_b32_e32 v16, v15
	v_mov_b32_e32 v15, v14
	v_mov_b32_e32 v14, v13
	v_mov_b32_e32 v13, v12
	v_mov_b32_e32 v12, v11
	v_mov_b32_e32 v11, v10
	v_mov_b32_e32 v10, v9
	v_mov_b32_e32 v9, v8
	v_mov_b32_e32 v8, v7
	v_mov_b32_e32 v7, v6
	v_mov_b32_e32 v6, v5
	v_mov_b32_e32 v5, v4
	v_mov_b32_e32 v4, v3
	v_mov_b32_e32 v3, v2
	v_mov_b32_e32 v2, v1
	s_and_saveexec_b32 s3, s2
	s_cbranch_execz .LBB107_76
; %bb.75:                               ;   in Loop: Header=BB107_3 Depth=1
	v_add_co_u32 v2, vcc_lo, v42, v34
	s_wait_alu 0xfffd
	v_add_co_ci_u32_e64 v3, null, v43, v35, vcc_lo
	v_add_co_u32 v4, vcc_lo, v44, v34
	s_wait_alu 0xfffd
	v_add_co_ci_u32_e64 v5, null, v45, v35, vcc_lo
	global_load_u16 v2, v[2:3], off
	global_load_u16 v170, v[4:5], off
	v_dual_mov_b32 v3, v1 :: v_dual_mov_b32 v4, v1
	v_dual_mov_b32 v5, v1 :: v_dual_mov_b32 v6, v1
	;; [unrolled: 1-line block ×15, first 2 shown]
	s_wait_loadcnt 0x1
	v_dual_mov_b32 v33, v1 :: v_dual_lshlrev_b32 v2, 16, v2
	s_wait_loadcnt 0x0
	v_lshlrev_b32_e32 v170, 16, v170
.LBB107_76:                             ;   in Loop: Header=BB107_3 Depth=1
	s_wait_alu 0xfffe
	s_or_b32 exec_lo, exec_lo, s3
	v_dual_mov_b32 v171, 0 :: v_dual_mov_b32 v172, 0
	s_and_saveexec_b32 s3, s2
	s_cbranch_execz .LBB107_78
; %bb.77:                               ;   in Loop: Header=BB107_3 Depth=1
	v_add_co_u32 v172, vcc_lo, v165, v34
	s_wait_alu 0xfffd
	v_add_co_ci_u32_e64 v173, null, v166, v35, vcc_lo
	v_add_co_u32 v174, vcc_lo, v167, v34
	s_wait_alu 0xfffd
	v_add_co_ci_u32_e64 v175, null, v168, v35, vcc_lo
	global_load_u16 v3, v[172:173], off
	global_load_u16 v172, v[174:175], off
	s_wait_loadcnt 0x1
	v_lshlrev_b32_e32 v3, 16, v3
	s_wait_loadcnt 0x0
	v_lshlrev_b32_e32 v172, 16, v172
.LBB107_78:                             ;   in Loop: Header=BB107_3 Depth=1
	s_wait_alu 0xfffe
	s_or_b32 exec_lo, exec_lo, s3
	s_and_saveexec_b32 s3, s2
	s_cbranch_execz .LBB107_80
; %bb.79:                               ;   in Loop: Header=BB107_3 Depth=1
	v_add_co_u32 v173, vcc_lo, v161, v34
	s_wait_alu 0xfffd
	v_add_co_ci_u32_e64 v174, null, v162, v35, vcc_lo
	v_add_co_u32 v175, vcc_lo, v163, v34
	s_wait_alu 0xfffd
	v_add_co_ci_u32_e64 v176, null, v164, v35, vcc_lo
	global_load_u16 v4, v[173:174], off
	global_load_u16 v171, v[175:176], off
	s_wait_loadcnt 0x1
	v_lshlrev_b32_e32 v4, 16, v4
	s_wait_loadcnt 0x0
	v_lshlrev_b32_e32 v171, 16, v171
.LBB107_80:                             ;   in Loop: Header=BB107_3 Depth=1
	s_wait_alu 0xfffe
	s_or_b32 exec_lo, exec_lo, s3
	v_dual_mov_b32 v173, 0 :: v_dual_mov_b32 v174, 0
	s_and_saveexec_b32 s3, s2
	s_cbranch_execz .LBB107_82
; %bb.81:                               ;   in Loop: Header=BB107_3 Depth=1
	v_add_co_u32 v174, vcc_lo, v157, v34
	s_wait_alu 0xfffd
	v_add_co_ci_u32_e64 v175, null, v158, v35, vcc_lo
	v_add_co_u32 v176, vcc_lo, v159, v34
	s_wait_alu 0xfffd
	v_add_co_ci_u32_e64 v177, null, v160, v35, vcc_lo
	global_load_u16 v5, v[174:175], off
	global_load_u16 v174, v[176:177], off
	s_wait_loadcnt 0x1
	v_lshlrev_b32_e32 v5, 16, v5
	s_wait_loadcnt 0x0
	v_lshlrev_b32_e32 v174, 16, v174
.LBB107_82:                             ;   in Loop: Header=BB107_3 Depth=1
	s_wait_alu 0xfffe
	s_or_b32 exec_lo, exec_lo, s3
	s_and_saveexec_b32 s3, s2
	s_cbranch_execz .LBB107_84
; %bb.83:                               ;   in Loop: Header=BB107_3 Depth=1
	v_add_co_u32 v175, vcc_lo, v153, v34
	s_wait_alu 0xfffd
	v_add_co_ci_u32_e64 v176, null, v154, v35, vcc_lo
	v_add_co_u32 v177, vcc_lo, v155, v34
	s_wait_alu 0xfffd
	v_add_co_ci_u32_e64 v178, null, v156, v35, vcc_lo
	global_load_u16 v6, v[175:176], off
	global_load_u16 v173, v[177:178], off
	s_wait_loadcnt 0x1
	v_lshlrev_b32_e32 v6, 16, v6
	s_wait_loadcnt 0x0
	v_lshlrev_b32_e32 v173, 16, v173
.LBB107_84:                             ;   in Loop: Header=BB107_3 Depth=1
	;; [unrolled: 37-line block ×5, first 2 shown]
	s_wait_alu 0xfffe
	s_or_b32 exec_lo, exec_lo, s3
	v_dual_mov_b32 v181, 0 :: v_dual_mov_b32 v182, 0
	s_and_saveexec_b32 s3, s2
	s_cbranch_execz .LBB107_98
; %bb.97:                               ;   in Loop: Header=BB107_3 Depth=1
	v_add_co_u32 v182, vcc_lo, v125, v34
	s_wait_alu 0xfffd
	v_add_co_ci_u32_e64 v183, null, v126, v35, vcc_lo
	v_add_co_u32 v184, vcc_lo, v127, v34
	s_wait_alu 0xfffd
	v_add_co_ci_u32_e64 v185, null, v128, v35, vcc_lo
	global_load_u16 v13, v[182:183], off
	global_load_u16 v182, v[184:185], off
	s_wait_loadcnt 0x1
	v_lshlrev_b32_e32 v13, 16, v13
	s_wait_loadcnt 0x0
	v_lshlrev_b32_e32 v182, 16, v182
.LBB107_98:                             ;   in Loop: Header=BB107_3 Depth=1
	s_wait_alu 0xfffe
	s_or_b32 exec_lo, exec_lo, s3
	s_and_saveexec_b32 s3, s2
	s_cbranch_execz .LBB107_100
; %bb.99:                               ;   in Loop: Header=BB107_3 Depth=1
	v_add_co_u32 v183, vcc_lo, v121, v34
	s_wait_alu 0xfffd
	v_add_co_ci_u32_e64 v184, null, v122, v35, vcc_lo
	v_add_co_u32 v185, vcc_lo, v123, v34
	s_wait_alu 0xfffd
	v_add_co_ci_u32_e64 v186, null, v124, v35, vcc_lo
	global_load_u16 v14, v[183:184], off
	global_load_u16 v181, v[185:186], off
	s_wait_loadcnt 0x1
	v_lshlrev_b32_e32 v14, 16, v14
	s_wait_loadcnt 0x0
	v_lshlrev_b32_e32 v181, 16, v181
.LBB107_100:                            ;   in Loop: Header=BB107_3 Depth=1
	s_wait_alu 0xfffe
	s_or_b32 exec_lo, exec_lo, s3
	v_dual_mov_b32 v183, 0 :: v_dual_mov_b32 v184, 0
	s_and_saveexec_b32 s3, s2
	s_cbranch_execz .LBB107_102
; %bb.101:                              ;   in Loop: Header=BB107_3 Depth=1
	v_add_co_u32 v184, vcc_lo, v117, v34
	s_wait_alu 0xfffd
	v_add_co_ci_u32_e64 v185, null, v118, v35, vcc_lo
	v_add_co_u32 v186, vcc_lo, v119, v34
	s_wait_alu 0xfffd
	v_add_co_ci_u32_e64 v187, null, v120, v35, vcc_lo
	global_load_u16 v15, v[184:185], off
	global_load_u16 v184, v[186:187], off
	s_wait_loadcnt 0x1
	v_lshlrev_b32_e32 v15, 16, v15
	s_wait_loadcnt 0x0
	v_lshlrev_b32_e32 v184, 16, v184
.LBB107_102:                            ;   in Loop: Header=BB107_3 Depth=1
	s_wait_alu 0xfffe
	s_or_b32 exec_lo, exec_lo, s3
	s_and_saveexec_b32 s3, s2
	s_cbranch_execz .LBB107_104
; %bb.103:                              ;   in Loop: Header=BB107_3 Depth=1
	v_add_co_u32 v185, vcc_lo, v113, v34
	s_wait_alu 0xfffd
	v_add_co_ci_u32_e64 v186, null, v114, v35, vcc_lo
	v_add_co_u32 v187, vcc_lo, v115, v34
	s_wait_alu 0xfffd
	v_add_co_ci_u32_e64 v188, null, v116, v35, vcc_lo
	global_load_u16 v16, v[185:186], off
	global_load_u16 v183, v[187:188], off
	s_wait_loadcnt 0x1
	v_lshlrev_b32_e32 v16, 16, v16
	s_wait_loadcnt 0x0
	v_lshlrev_b32_e32 v183, 16, v183
.LBB107_104:                            ;   in Loop: Header=BB107_3 Depth=1
	s_wait_alu 0xfffe
	s_or_b32 exec_lo, exec_lo, s3
	v_dual_mov_b32 v185, 0 :: v_dual_mov_b32 v186, 0
	s_and_saveexec_b32 s3, s2
	s_cbranch_execz .LBB107_106
; %bb.105:                              ;   in Loop: Header=BB107_3 Depth=1
	v_add_co_u32 v186, vcc_lo, v109, v34
	s_wait_alu 0xfffd
	v_add_co_ci_u32_e64 v187, null, v110, v35, vcc_lo
	v_add_co_u32 v188, vcc_lo, v111, v34
	s_wait_alu 0xfffd
	v_add_co_ci_u32_e64 v189, null, v112, v35, vcc_lo
	global_load_u16 v17, v[186:187], off
	global_load_u16 v186, v[188:189], off
	s_wait_loadcnt 0x1
	v_lshlrev_b32_e32 v17, 16, v17
	s_wait_loadcnt 0x0
	v_lshlrev_b32_e32 v186, 16, v186
.LBB107_106:                            ;   in Loop: Header=BB107_3 Depth=1
	s_wait_alu 0xfffe
	s_or_b32 exec_lo, exec_lo, s3
	s_and_saveexec_b32 s3, s2
	s_cbranch_execz .LBB107_108
; %bb.107:                              ;   in Loop: Header=BB107_3 Depth=1
	v_add_co_u32 v187, vcc_lo, v105, v34
	s_wait_alu 0xfffd
	v_add_co_ci_u32_e64 v188, null, v106, v35, vcc_lo
	v_add_co_u32 v189, vcc_lo, v107, v34
	s_wait_alu 0xfffd
	v_add_co_ci_u32_e64 v190, null, v108, v35, vcc_lo
	global_load_u16 v18, v[187:188], off
	global_load_u16 v185, v[189:190], off
	s_wait_loadcnt 0x1
	v_lshlrev_b32_e32 v18, 16, v18
	s_wait_loadcnt 0x0
	v_lshlrev_b32_e32 v185, 16, v185
.LBB107_108:                            ;   in Loop: Header=BB107_3 Depth=1
	s_wait_alu 0xfffe
	s_or_b32 exec_lo, exec_lo, s3
	v_mov_b32_e32 v187, 0
	v_mov_b32_e32 v189, 0
	s_and_saveexec_b32 s3, s2
	s_cbranch_execz .LBB107_110
; %bb.109:                              ;   in Loop: Header=BB107_3 Depth=1
	v_add_co_u32 v188, vcc_lo, v101, v34
	s_wait_alu 0xfffd
	v_add_co_ci_u32_e64 v189, null, v102, v35, vcc_lo
	v_add_co_u32 v190, vcc_lo, v103, v34
	s_wait_alu 0xfffd
	v_add_co_ci_u32_e64 v191, null, v104, v35, vcc_lo
	global_load_u16 v19, v[188:189], off
	global_load_u16 v188, v[190:191], off
	s_wait_loadcnt 0x1
	v_lshlrev_b32_e32 v19, 16, v19
	s_wait_loadcnt 0x0
	v_lshlrev_b32_e32 v189, 16, v188
.LBB107_110:                            ;   in Loop: Header=BB107_3 Depth=1
	s_wait_alu 0xfffe
	s_or_b32 exec_lo, exec_lo, s3
	s_and_saveexec_b32 s3, s2
	s_cbranch_execz .LBB107_112
; %bb.111:                              ;   in Loop: Header=BB107_3 Depth=1
	v_add_co_u32 v187, vcc_lo, v97, v34
	s_wait_alu 0xfffd
	v_add_co_ci_u32_e64 v188, null, v98, v35, vcc_lo
	v_add_co_u32 v190, vcc_lo, v99, v34
	s_wait_alu 0xfffd
	v_add_co_ci_u32_e64 v191, null, v100, v35, vcc_lo
	global_load_u16 v20, v[187:188], off
	global_load_u16 v187, v[190:191], off
	s_wait_loadcnt 0x1
	v_lshlrev_b32_e32 v20, 16, v20
	s_wait_loadcnt 0x0
	v_lshlrev_b32_e32 v187, 16, v187
.LBB107_112:                            ;   in Loop: Header=BB107_3 Depth=1
	s_wait_alu 0xfffe
	s_or_b32 exec_lo, exec_lo, s3
	v_dual_mov_b32 v190, 0 :: v_dual_mov_b32 v191, 0
	s_and_saveexec_b32 s3, s2
	s_cbranch_execz .LBB107_114
; %bb.113:                              ;   in Loop: Header=BB107_3 Depth=1
	v_add_co_u32 v191, vcc_lo, v93, v34
	s_wait_alu 0xfffd
	v_add_co_ci_u32_e64 v192, null, v94, v35, vcc_lo
	v_add_co_u32 v193, vcc_lo, v95, v34
	s_wait_alu 0xfffd
	v_add_co_ci_u32_e64 v194, null, v96, v35, vcc_lo
	global_load_u16 v21, v[191:192], off
	global_load_u16 v188, v[193:194], off
	s_wait_loadcnt 0x1
	v_lshlrev_b32_e32 v21, 16, v21
	s_wait_loadcnt 0x0
	v_lshlrev_b32_e32 v191, 16, v188
.LBB107_114:                            ;   in Loop: Header=BB107_3 Depth=1
	s_wait_alu 0xfffe
	s_or_b32 exec_lo, exec_lo, s3
	s_and_saveexec_b32 s3, s2
	s_cbranch_execz .LBB107_116
; %bb.115:                              ;   in Loop: Header=BB107_3 Depth=1
	v_add_co_u32 v192, vcc_lo, v89, v34
	s_wait_alu 0xfffd
	v_add_co_ci_u32_e64 v193, null, v90, v35, vcc_lo
	v_add_co_u32 v194, vcc_lo, v91, v34
	s_wait_alu 0xfffd
	v_add_co_ci_u32_e64 v195, null, v92, v35, vcc_lo
	global_load_u16 v22, v[192:193], off
	global_load_u16 v188, v[194:195], off
	s_wait_loadcnt 0x1
	v_lshlrev_b32_e32 v22, 16, v22
	s_wait_loadcnt 0x0
	v_lshlrev_b32_e32 v190, 16, v188
.LBB107_116:                            ;   in Loop: Header=BB107_3 Depth=1
	s_wait_alu 0xfffe
	s_or_b32 exec_lo, exec_lo, s3
	v_dual_mov_b32 v192, 0 :: v_dual_mov_b32 v193, 0
	;; [unrolled: 37-line block ×5, first 2 shown]
	s_and_saveexec_b32 s3, s2
	s_cbranch_execz .LBB107_130
; %bb.129:                              ;   in Loop: Header=BB107_3 Depth=1
	v_add_co_u32 v199, vcc_lo, v62, v34
	s_wait_alu 0xfffd
	v_add_co_ci_u32_e64 v200, null, v63, v35, vcc_lo
	v_add_co_u32 v202, vcc_lo, v64, v34
	s_wait_alu 0xfffd
	v_add_co_ci_u32_e64 v203, null, v65, v35, vcc_lo
	global_load_u16 v29, v[199:200], off
	global_load_u16 v188, v[202:203], off
	s_wait_loadcnt 0x1
	v_lshlrev_b32_e32 v29, 16, v29
	s_wait_loadcnt 0x0
	v_lshlrev_b32_e32 v199, 16, v188
.LBB107_130:                            ;   in Loop: Header=BB107_3 Depth=1
	s_wait_alu 0xfffe
	s_or_b32 exec_lo, exec_lo, s3
	s_and_saveexec_b32 s3, s2
	s_cbranch_execz .LBB107_132
; %bb.131:                              ;   in Loop: Header=BB107_3 Depth=1
	v_add_co_u32 v202, vcc_lo, v58, v34
	s_wait_alu 0xfffd
	v_add_co_ci_u32_e64 v203, null, v59, v35, vcc_lo
	v_add_co_u32 v204, vcc_lo, v60, v34
	s_wait_alu 0xfffd
	v_add_co_ci_u32_e64 v205, null, v61, v35, vcc_lo
	global_load_u16 v30, v[202:203], off
	global_load_u16 v188, v[204:205], off
	s_wait_loadcnt 0x1
	v_lshlrev_b32_e32 v30, 16, v30
	s_wait_loadcnt 0x0
	v_lshlrev_b32_e32 v198, 16, v188
.LBB107_132:                            ;   in Loop: Header=BB107_3 Depth=1
	s_wait_alu 0xfffe
	s_or_b32 exec_lo, exec_lo, s3
	v_mov_b32_e32 v200, 0
	v_mov_b32_e32 v202, 0
	s_and_saveexec_b32 s3, s2
	s_cbranch_execnz .LBB107_139
; %bb.133:                              ;   in Loop: Header=BB107_3 Depth=1
	s_wait_alu 0xfffe
	s_or_b32 exec_lo, exec_lo, s3
	s_and_saveexec_b32 s3, s2
	s_cbranch_execnz .LBB107_140
.LBB107_134:                            ;   in Loop: Header=BB107_3 Depth=1
	s_wait_alu 0xfffe
	s_or_b32 exec_lo, exec_lo, s3
	v_mov_b32_e32 v188, 0
	s_and_saveexec_b32 s3, s2
	s_cbranch_execz .LBB107_136
.LBB107_135:                            ;   in Loop: Header=BB107_3 Depth=1
	v_add_co_u32 v203, vcc_lo, v46, v34
	s_wait_alu 0xfffd
	v_add_co_ci_u32_e64 v204, null, v47, v35, vcc_lo
	v_add_co_u32 v205, vcc_lo, v48, v34
	s_wait_alu 0xfffd
	v_add_co_ci_u32_e64 v206, null, v49, v35, vcc_lo
	global_load_u16 v33, v[203:204], off
	global_load_u16 v188, v[205:206], off
	s_wait_loadcnt 0x1
	v_lshlrev_b32_e32 v33, 16, v33
	s_wait_loadcnt 0x0
	v_lshlrev_b32_e32 v188, 16, v188
.LBB107_136:                            ;   in Loop: Header=BB107_3 Depth=1
	s_wait_alu 0xfffe
	s_or_b32 exec_lo, exec_lo, s3
	s_wait_loadcnt 0x1
	ds_bpermute_b32 v203, v1, v36
	ds_bpermute_b32 v206, v1, v36 offset:4
	ds_bpermute_b32 v208, v1, v36 offset:8
	;; [unrolled: 1-line block ×3, first 2 shown]
	s_wait_loadcnt 0x0
	ds_bpermute_b32 v204, v1, v37
	v_add_f32_e32 v201, v201, v2
	ds_bpermute_b32 v216, v1, v36 offset:24
	ds_bpermute_b32 v205, v1, v37 offset:4
	;; [unrolled: 1-line block ×14, first 2 shown]
	s_wait_dscnt 0x12
	v_sub_f32_e32 v170, v170, v203
	s_wait_dscnt 0x10
	v_dual_sub_f32 v172, v172, v206 :: v_dual_sub_f32 v171, v171, v208
	ds_bpermute_b32 v203, v1, v36 offset:36
	ds_bpermute_b32 v206, v1, v36 offset:44
	v_mul_f32_e32 v2, v2, v170
	v_dual_mul_f32 v172, v3, v172 :: v_dual_mul_f32 v171, v4, v171
	v_add_f32_e32 v3, v3, v201
	ds_bpermute_b32 v221, v1, v37 offset:36
	ds_bpermute_b32 v222, v1, v37 offset:40
	;; [unrolled: 1-line block ×3, first 2 shown]
	s_wait_dscnt 0x14
	v_dual_add_f32 v3, v4, v3 :: v_dual_sub_f32 v4, v173, v212
	s_delay_alu instid0(VALU_DEP_1) | instskip(SKIP_1) | instid1(VALU_DEP_1)
	v_dual_add_f32 v3, v5, v3 :: v_dual_mul_f32 v4, v6, v4
	s_wait_dscnt 0x12
	v_dual_add_f32 v3, v6, v3 :: v_dual_sub_f32 v6, v175, v216
	v_fmac_f32_e32 v169, v2, v204
	ds_bpermute_b32 v2, v1, v37 offset:48
	v_dual_add_f32 v3, v7, v3 :: v_dual_mul_f32 v6, v8, v6
	s_wait_dscnt 0x11
	v_dual_sub_f32 v174, v174, v210 :: v_dual_fmac_f32 v169, v172, v205
	ds_bpermute_b32 v172, v1, v36 offset:48
	v_add_f32_e32 v3, v8, v3
	s_wait_dscnt 0x6
	v_dual_sub_f32 v8, v180, v203 :: v_dual_mul_f32 v173, v5, v174
	v_dual_fmac_f32 v169, v171, v207 :: v_dual_sub_f32 v174, v178, v218
	v_sub_f32_e32 v5, v176, v214
	s_delay_alu instid0(VALU_DEP_3) | instskip(NEXT) | instid1(VALU_DEP_3)
	v_dual_add_f32 v3, v9, v3 :: v_dual_mul_f32 v8, v11, v8
	v_fmac_f32_e32 v169, v173, v209
	ds_bpermute_b32 v173, v1, v36 offset:52
	v_dual_mul_f32 v5, v7, v5 :: v_dual_mul_f32 v174, v9, v174
	v_sub_f32_e32 v7, v177, v220
	v_fmac_f32_e32 v169, v4, v211
	v_add_f32_e32 v3, v10, v3
	ds_bpermute_b32 v171, v1, v37 offset:52
	ds_bpermute_b32 v9, v1, v36 offset:60
	;; [unrolled: 1-line block ×3, first 2 shown]
	v_add_f32_e32 v3, v11, v3
	s_wait_dscnt 0x4
	v_sub_f32_e32 v11, v181, v172
	s_delay_alu instid0(VALU_DEP_2) | instskip(SKIP_1) | instid1(VALU_DEP_2)
	v_add_f32_e32 v3, v12, v3
	s_wait_dscnt 0x3
	v_dual_mul_f32 v11, v14, v11 :: v_dual_sub_f32 v172, v184, v173
	v_mul_f32_e32 v7, v10, v7
	v_dual_sub_f32 v10, v182, v206 :: v_dual_fmac_f32 v169, v5, v213
	ds_bpermute_b32 v5, v1, v36 offset:56
	v_add_f32_e32 v3, v13, v3
	v_dual_mul_f32 v10, v13, v10 :: v_dual_fmac_f32 v169, v6, v215
	ds_bpermute_b32 v6, v1, v37 offset:60
	v_mul_f32_e32 v13, v15, v172
	s_wait_dscnt 0x3
	v_sub_f32_e32 v9, v186, v9
	v_add_f32_e32 v3, v14, v3
	v_dual_fmac_f32 v169, v174, v217 :: v_dual_sub_f32 v174, v179, v223
	s_delay_alu instid0(VALU_DEP_3) | instskip(NEXT) | instid1(VALU_DEP_3)
	v_mul_f32_e32 v9, v17, v9
	v_add_f32_e32 v3, v15, v3
	s_delay_alu instid0(VALU_DEP_3)
	v_dual_fmac_f32 v169, v7, v219 :: v_dual_mul_f32 v174, v12, v174
	ds_bpermute_b32 v12, v1, v36 offset:68
	ds_bpermute_b32 v7, v1, v37 offset:64
	v_add_f32_e32 v3, v16, v3
	v_fmac_f32_e32 v169, v8, v221
	ds_bpermute_b32 v8, v1, v36 offset:64
	s_wait_dscnt 0x4
	v_sub_f32_e32 v5, v183, v5
	v_add_f32_e32 v3, v17, v3
	v_fmac_f32_e32 v169, v174, v222
	s_delay_alu instid0(VALU_DEP_3) | instskip(NEXT) | instid1(VALU_DEP_3)
	v_mul_f32_e32 v5, v16, v5
	v_add_f32_e32 v3, v18, v3
	s_delay_alu instid0(VALU_DEP_3)
	v_fmac_f32_e32 v169, v10, v170
	ds_bpermute_b32 v10, v1, v36 offset:72
	v_add_f32_e32 v3, v19, v3
	v_fmac_f32_e32 v169, v11, v2
	ds_bpermute_b32 v2, v1, v37 offset:68
	ds_bpermute_b32 v11, v1, v37 offset:72
	v_add_f32_e32 v3, v20, v3
	v_fmac_f32_e32 v169, v13, v171
	ds_bpermute_b32 v13, v1, v36 offset:76
	ds_bpermute_b32 v171, v1, v37 offset:124
	v_add_f32_e32 v3, v21, v3
	v_fmac_f32_e32 v169, v5, v4
	s_wait_dscnt 0x5
	v_sub_f32_e32 v4, v185, v8
	ds_bpermute_b32 v8, v1, v36 offset:80
	v_sub_f32_e32 v5, v189, v12
	v_add_f32_e32 v3, v22, v3
	v_dual_fmac_f32 v169, v9, v6 :: v_dual_mul_f32 v4, v18, v4
	ds_bpermute_b32 v6, v1, v37 offset:76
	s_wait_dscnt 0x6
	v_sub_f32_e32 v9, v187, v10
	ds_bpermute_b32 v10, v1, v36 offset:84
	v_mul_f32_e32 v5, v19, v5
	v_fmac_f32_e32 v169, v4, v7
	ds_bpermute_b32 v4, v1, v37 offset:80
	v_mul_f32_e32 v7, v20, v9
	ds_bpermute_b32 v9, v1, v37 offset:84
	v_add_f32_e32 v3, v23, v3
	s_wait_dscnt 0x8
	v_fmac_f32_e32 v169, v5, v2
	ds_bpermute_b32 v2, v1, v36 offset:88
	s_wait_dscnt 0x7
	v_sub_f32_e32 v5, v191, v13
	v_add_f32_e32 v3, v24, v3
	v_fmac_f32_e32 v169, v7, v11
	ds_bpermute_b32 v7, v1, v36 offset:92
	s_wait_dscnt 0x6
	v_dual_mul_f32 v5, v21, v5 :: v_dual_sub_f32 v8, v190, v8
	v_add_f32_e32 v3, v25, v3
	s_wait_dscnt 0x5
	s_delay_alu instid0(VALU_DEP_2)
	v_fmac_f32_e32 v169, v5, v6
	ds_bpermute_b32 v5, v1, v37 offset:88
	v_mul_f32_e32 v6, v22, v8
	s_wait_dscnt 0x5
	v_sub_f32_e32 v8, v193, v10
	ds_bpermute_b32 v10, v1, v36 offset:96
	v_add_f32_e32 v3, v26, v3
	s_wait_dscnt 0x5
	v_fmac_f32_e32 v169, v6, v4
	ds_bpermute_b32 v4, v1, v37 offset:92
	v_mul_f32_e32 v6, v23, v8
	s_wait_dscnt 0x4
	v_sub_f32_e32 v2, v192, v2
	ds_bpermute_b32 v8, v1, v36 offset:100
	v_add_f32_e32 v3, v27, v3
	v_fmac_f32_e32 v169, v6, v9
	ds_bpermute_b32 v6, v1, v37 offset:96
	s_wait_dscnt 0x5
	v_dual_mul_f32 v2, v24, v2 :: v_dual_sub_f32 v7, v195, v7
	ds_bpermute_b32 v9, v1, v36 offset:104
	v_add_f32_e32 v3, v28, v3
	s_wait_dscnt 0x5
	v_fmac_f32_e32 v169, v2, v5
	ds_bpermute_b32 v2, v1, v37 offset:100
	v_mul_f32_e32 v5, v25, v7
	s_wait_dscnt 0x5
	v_sub_f32_e32 v7, v194, v10
	ds_bpermute_b32 v10, v1, v36 offset:108
	v_add_f32_e32 v3, v29, v3
	s_wait_dscnt 0x5
	v_dual_fmac_f32 v169, v5, v4 :: v_dual_mul_f32 v4, v26, v7
	ds_bpermute_b32 v5, v1, v37 offset:104
	s_wait_dscnt 0x5
	v_sub_f32_e32 v7, v197, v8
	ds_bpermute_b32 v8, v1, v36 offset:112
	v_add_f32_e32 v3, v30, v3
	s_wait_dscnt 0x5
	v_fmac_f32_e32 v169, v4, v6
	ds_bpermute_b32 v6, v1, v37 offset:108
	s_wait_dscnt 0x5
	v_dual_mul_f32 v4, v27, v7 :: v_dual_sub_f32 v7, v196, v9
	ds_bpermute_b32 v9, v1, v36 offset:116
	v_add_f32_e32 v3, v31, v3
	s_wait_dscnt 0x5
	v_fmac_f32_e32 v169, v4, v2
	v_mul_f32_e32 v2, v28, v7
	ds_bpermute_b32 v4, v1, v37 offset:112
	s_wait_dscnt 0x5
	v_sub_f32_e32 v7, v199, v10
	ds_bpermute_b32 v10, v1, v36 offset:120
	v_add_f32_e32 v3, v32, v3
	s_wait_dscnt 0x5
	v_dual_fmac_f32 v169, v2, v5 :: v_dual_mul_f32 v2, v29, v7
	ds_bpermute_b32 v5, v1, v37 offset:116
	s_wait_dscnt 0x5
	v_sub_f32_e32 v7, v198, v8
	s_wait_dscnt 0x4
	v_fmac_f32_e32 v169, v2, v6
	ds_bpermute_b32 v6, v1, v37 offset:120
	v_mul_f32_e32 v2, v30, v7
	s_wait_dscnt 0x4
	v_sub_f32_e32 v7, v202, v9
	s_wait_dscnt 0x3
	s_delay_alu instid0(VALU_DEP_1)
	v_dual_fmac_f32 v169, v2, v4 :: v_dual_mul_f32 v4, v31, v7
	s_wait_dscnt 0x2
	v_sub_f32_e32 v7, v200, v10
	ds_bpermute_b32 v2, v1, v36 offset:124
	s_wait_dscnt 0x2
	v_fmac_f32_e32 v169, v4, v5
	v_mul_f32_e32 v4, v32, v7
	s_wait_dscnt 0x1
	s_delay_alu instid0(VALU_DEP_1) | instskip(NEXT) | instid1(VALU_DEP_1)
	v_fmac_f32_e32 v169, v4, v6
	v_mov_b32_e32 v203, v169
.LBB107_137:                            ;   in Loop: Header=BB107_3 Depth=1
	v_add_co_u32 v42, vcc_lo, v42, s24
	s_wait_alu 0xfffd
	v_add_co_ci_u32_e64 v43, null, s25, v43, vcc_lo
	v_add_co_u32 v44, vcc_lo, v44, s24
	s_wait_alu 0xfffd
	v_add_co_ci_u32_e64 v45, null, s25, v45, vcc_lo
	;; [unrolled: 3-line block ×59, first 2 shown]
	v_add_co_u32 v159, vcc_lo, v159, s24
	s_wait_dscnt 0x0
	v_dual_sub_f32 v2, v188, v2 :: v_dual_add_f32 v201, v3, v33
	s_wait_alu 0xfffd
	v_add_co_ci_u32_e64 v160, null, s25, v160, vcc_lo
	v_add_co_u32 v161, vcc_lo, v161, s24
	s_wait_alu 0xfffd
	v_add_co_ci_u32_e64 v162, null, s25, v162, vcc_lo
	v_add_co_u32 v163, vcc_lo, v163, s24
	;; [unrolled: 3-line block ×3, first 2 shown]
	s_add_nc_u64 s[28:29], s[28:29], s[22:23]
	v_mul_f32_e32 v2, v33, v2
	s_wait_alu 0xfffd
	v_add_co_ci_u32_e64 v166, null, s25, v166, vcc_lo
	v_add_co_u32 v167, vcc_lo, v167, s24
	s_wait_alu 0xfffe
	v_cmp_lt_i64_e64 s3, s[28:29], s[4:5]
	s_wait_alu 0xfffd
	v_add_co_ci_u32_e64 v168, null, s25, v168, vcc_lo
	v_add_co_u32 v39, vcc_lo, v39, s22
	v_fmac_f32_e32 v203, v2, v171
	s_wait_alu 0xfffd
	v_add_co_ci_u32_e64 v41, null, 0, v41, vcc_lo
	s_and_b32 vcc_lo, exec_lo, s3
	s_add_nc_u64 s[26:27], s[26:27], s[22:23]
	s_wait_alu 0xfffe
	s_cbranch_vccz .LBB107_142
; %bb.138:                              ;   in Loop: Header=BB107_3 Depth=1
	v_mov_b32_e32 v169, v203
	s_branch .LBB107_3
.LBB107_139:                            ;   in Loop: Header=BB107_3 Depth=1
	v_add_co_u32 v202, vcc_lo, v54, v34
	s_wait_alu 0xfffd
	v_add_co_ci_u32_e64 v203, null, v55, v35, vcc_lo
	v_add_co_u32 v204, vcc_lo, v56, v34
	s_wait_alu 0xfffd
	v_add_co_ci_u32_e64 v205, null, v57, v35, vcc_lo
	global_load_u16 v31, v[202:203], off
	global_load_u16 v188, v[204:205], off
	s_wait_loadcnt 0x1
	v_lshlrev_b32_e32 v31, 16, v31
	s_wait_loadcnt 0x0
	v_lshlrev_b32_e32 v202, 16, v188
	s_wait_alu 0xfffe
	s_or_b32 exec_lo, exec_lo, s3
	s_and_saveexec_b32 s3, s2
	s_cbranch_execz .LBB107_134
.LBB107_140:                            ;   in Loop: Header=BB107_3 Depth=1
	v_add_co_u32 v203, vcc_lo, v50, v34
	s_wait_alu 0xfffd
	v_add_co_ci_u32_e64 v204, null, v51, v35, vcc_lo
	v_add_co_u32 v205, vcc_lo, v52, v34
	s_wait_alu 0xfffd
	v_add_co_ci_u32_e64 v206, null, v53, v35, vcc_lo
	global_load_u16 v32, v[203:204], off
	global_load_u16 v188, v[205:206], off
	s_wait_loadcnt 0x1
	v_lshlrev_b32_e32 v32, 16, v32
	s_wait_loadcnt 0x0
	v_lshlrev_b32_e32 v200, 16, v188
	s_wait_alu 0xfffe
	s_or_b32 exec_lo, exec_lo, s3
	v_mov_b32_e32 v188, 0
	s_and_saveexec_b32 s3, s2
	s_cbranch_execnz .LBB107_135
	s_branch .LBB107_136
.LBB107_141:
                                        ; implicit-def: $vgpr203
                                        ; implicit-def: $vgpr201
	s_branch .LBB107_143
.LBB107_142:
	s_cbranch_execnz .LBB107_220
.LBB107_143:
	v_mov_b32_e32 v203, 0
	v_mov_b32_e32 v201, 0
	s_and_not1_b32 vcc_lo, exec_lo, s31
	s_wait_alu 0xfffe
	s_cbranch_vccnz .LBB107_220
; %bb.144:
	v_bfe_u32 v0, v228, 10, 10
	s_lshl_b64 s[2:3], s[16:17], 1
	s_mov_b64 s[20:21], 31
	s_mov_b64 s[22:23], s[16:17]
	s_delay_alu instid0(VALU_DEP_1)
	v_dual_mov_b32 v238, 0 :: v_dual_lshlrev_b32 v1, 6, v0
	v_lshlrev_b32_e32 v2, 5, v0
	s_clause 0x1
	scratch_store_b32 off, v0, off offset:296
	scratch_store_b32 off, v228, off offset:304
	v_mov_b32_e32 v205, 0
	s_wait_alu 0xfffe
	v_add_co_u32 v3, s2, v1, s2
	v_add_co_u32 v0, s18, v2, s16
	s_delay_alu instid0(VALU_DEP_1)
	v_add_co_ci_u32_e64 v9, null, 0, 0, s18
	scratch_store_b32 off, v2, off          ; 4-byte Folded Spill
	v_mul_lo_u32 v5, s7, v0
	v_mad_co_u64_u32 v[1:2], null, s6, v0, 0
	v_mul_lo_u32 v6, s6, v9
	s_wait_alu 0xf1ff
	v_add_co_ci_u32_e64 v4, null, 0, s3, s2
	v_add_co_u32 v7, vcc_lo, v3, 2
	s_load_b32 s2, s[0:1], 0x44
	v_add_co_ci_u32_e64 v8, null, 0, v4, vcc_lo
	v_add_co_u32 v11, vcc_lo, v3, 4
	s_wait_alu 0xfffd
	v_add_co_ci_u32_e64 v12, null, 0, v4, vcc_lo
	v_add3_u32 v2, v2, v6, v5
	v_add_co_u32 v5, vcc_lo, v3, 6
	s_wait_alu 0xfffd
	v_add_co_ci_u32_e64 v6, null, 0, v4, vcc_lo
	v_add_co_u32 v14, vcc_lo, v3, 8
	s_wait_alu 0xfffd
	v_add_co_ci_u32_e64 v16, null, 0, v4, vcc_lo
	v_mad_co_u64_u32 v[34:35], null, s6, v7, s[8:9]
	v_mul_lo_u32 v10, s7, v7
	v_mul_lo_u32 v8, s6, v8
	v_mad_co_u64_u32 v[42:43], null, s6, v7, s[10:11]
	v_mad_co_u64_u32 v[40:41], null, s6, v14, s[8:9]
	v_mul_lo_u32 v16, s6, v16
	v_mul_lo_u32 v7, s7, v14
	v_mad_co_u64_u32 v[50:51], null, s6, v14, s[10:11]
	v_add_co_u32 v17, vcc_lo, v3, 10
	v_mad_co_u64_u32 v[38:39], null, s6, v5, s[8:9]
	v_mul_lo_u32 v15, s7, v5
	s_wait_alu 0xfffd
	v_add_co_ci_u32_e64 v18, null, 0, v4, vcc_lo
	v_mad_co_u64_u32 v[48:49], null, s6, v5, s[10:11]
	v_add_co_u32 v5, vcc_lo, v3, 12
	v_mul_lo_u32 v6, s6, v6
	v_add3_u32 v35, v10, v35, v8
	v_add3_u32 v43, v10, v43, v8
	s_wait_alu 0xfffd
	v_add_co_ci_u32_e64 v8, null, 0, v4, vcc_lo
	v_mad_co_u64_u32 v[52:53], null, s6, v5, s[8:9]
	v_add3_u32 v41, v7, v41, v16
	v_add3_u32 v51, v7, v51, v16
	v_mul_lo_u32 v7, s7, v5
	v_mad_co_u64_u32 v[56:57], null, s6, v5, s[10:11]
	v_add_co_u32 v5, vcc_lo, v3, 14
	v_add3_u32 v39, v15, v39, v6
	v_add3_u32 v49, v15, v49, v6
	v_mul_lo_u32 v6, s6, v8
	s_wait_alu 0xfffd
	v_add_co_ci_u32_e64 v8, null, 0, v4, vcc_lo
	v_mad_co_u64_u32 v[58:59], null, s6, v5, s[8:9]
	v_mul_lo_u32 v10, s7, v5
	v_mad_co_u64_u32 v[60:61], null, s6, v5, s[10:11]
	v_add_co_u32 v5, vcc_lo, v3, 16
	v_mad_co_u64_u32 v[36:37], null, s6, v11, s[8:9]
	v_mul_lo_u32 v13, s7, v11
	v_mad_co_u64_u32 v[46:47], null, s6, v11, s[10:11]
	s_wait_alu 0xfffd
	v_add_co_ci_u32_e64 v11, null, 0, v4, vcc_lo
	v_add3_u32 v53, v7, v53, v6
	v_add3_u32 v57, v7, v57, v6
	v_mul_lo_u32 v7, s7, v5
	s_delay_alu instid0(VALU_DEP_4)
	v_mul_lo_u32 v6, s6, v11
	v_mad_co_u64_u32 v[62:63], null, s6, v5, s[8:9]
	v_mad_co_u64_u32 v[64:65], null, s6, v5, s[10:11]
	v_add_co_u32 v5, vcc_lo, v3, 18
	v_mul_lo_u32 v8, s6, v8
	v_mul_lo_u32 v12, s6, v12
	v_add3_u32 v63, v7, v63, v6
	s_delay_alu instid0(VALU_DEP_4)
	v_mad_co_u64_u32 v[66:67], null, s6, v5, s[8:9]
	v_add3_u32 v65, v7, v65, v6
	s_wait_alu 0xfffd
	v_add_co_ci_u32_e64 v6, null, 0, v4, vcc_lo
	v_mul_lo_u32 v7, s7, v5
	v_mad_co_u64_u32 v[68:69], null, s6, v5, s[10:11]
	s_delay_alu instid0(VALU_DEP_3) | instskip(SKIP_4) | instid1(VALU_DEP_4)
	v_mul_lo_u32 v6, s6, v6
	v_add_co_u32 v5, vcc_lo, v3, 20
	v_add3_u32 v59, v10, v59, v8
	v_add3_u32 v61, v10, v61, v8
	;; [unrolled: 1-line block ×3, first 2 shown]
	v_mad_co_u64_u32 v[70:71], null, s6, v5, s[8:9]
	v_add3_u32 v67, v7, v67, v6
	v_add3_u32 v69, v7, v69, v6
	s_wait_alu 0xfffd
	v_add_co_ci_u32_e64 v6, null, 0, v4, vcc_lo
	v_mul_lo_u32 v7, s7, v5
	v_mad_co_u64_u32 v[72:73], null, s6, v5, s[10:11]
	s_delay_alu instid0(VALU_DEP_3) | instskip(SKIP_3) | instid1(VALU_DEP_3)
	v_mul_lo_u32 v6, s6, v6
	v_add_co_u32 v5, vcc_lo, v3, 22
	v_add3_u32 v47, v13, v47, v12
	v_mad_co_u64_u32 v[44:45], null, s6, v17, s[8:9]
	v_mad_co_u64_u32 v[74:75], null, s6, v5, s[8:9]
	v_add3_u32 v71, v7, v71, v6
	v_add3_u32 v73, v7, v73, v6
	s_wait_alu 0xfffd
	v_add_co_ci_u32_e64 v6, null, 0, v4, vcc_lo
	v_mul_lo_u32 v7, s7, v5
	v_mad_co_u64_u32 v[76:77], null, s6, v5, s[10:11]
	s_delay_alu instid0(VALU_DEP_3) | instskip(SKIP_3) | instid1(VALU_DEP_3)
	v_mul_lo_u32 v6, s6, v6
	v_add_co_u32 v5, vcc_lo, v3, 24
	v_mul_lo_u32 v19, s7, v17
	v_mad_co_u64_u32 v[54:55], null, s6, v17, s[10:11]
	v_mad_co_u64_u32 v[78:79], null, s6, v5, s[8:9]
	v_add3_u32 v75, v7, v75, v6
	v_add3_u32 v77, v7, v77, v6
	s_wait_alu 0xfffd
	v_add_co_ci_u32_e64 v6, null, 0, v4, vcc_lo
	v_mul_lo_u32 v7, s7, v5
	v_mad_co_u64_u32 v[80:81], null, s6, v5, s[10:11]
	s_delay_alu instid0(VALU_DEP_3) | instskip(SKIP_3) | instid1(VALU_DEP_2)
	v_mul_lo_u32 v6, s6, v6
	v_add_co_u32 v5, vcc_lo, v3, 26
	v_mul_lo_u32 v18, s6, v18
	s_mov_b32 s3, 0
	v_mad_co_u64_u32 v[82:83], null, s6, v5, s[8:9]
	s_delay_alu instid0(VALU_DEP_4)
	v_add3_u32 v79, v7, v79, v6
	v_add3_u32 v81, v7, v81, v6
	s_wait_alu 0xfffd
	v_add_co_ci_u32_e64 v6, null, 0, v4, vcc_lo
	v_mul_lo_u32 v7, s7, v5
	v_mad_co_u64_u32 v[84:85], null, s6, v5, s[10:11]
	s_delay_alu instid0(VALU_DEP_3) | instskip(SKIP_3) | instid1(VALU_DEP_3)
	v_mul_lo_u32 v6, s6, v6
	v_add_co_u32 v5, vcc_lo, v3, 28
	v_add3_u32 v45, v19, v45, v18
	v_add3_u32 v55, v19, v55, v18
	v_mad_co_u64_u32 v[86:87], null, s6, v5, s[8:9]
	v_add3_u32 v83, v7, v83, v6
	v_add3_u32 v85, v7, v85, v6
	s_wait_alu 0xfffd
	v_add_co_ci_u32_e64 v6, null, 0, v4, vcc_lo
	v_mul_lo_u32 v7, s7, v5
	v_mad_co_u64_u32 v[88:89], null, s6, v5, s[10:11]
	s_delay_alu instid0(VALU_DEP_3) | instskip(SKIP_1) | instid1(VALU_DEP_1)
	v_mul_lo_u32 v6, s6, v6
	v_add_co_u32 v5, vcc_lo, v3, 30
	v_mad_co_u64_u32 v[90:91], null, s6, v5, s[8:9]
	s_delay_alu instid0(VALU_DEP_3)
	v_add3_u32 v87, v7, v87, v6
	v_add3_u32 v89, v7, v89, v6
	s_wait_alu 0xfffd
	v_add_co_ci_u32_e64 v6, null, 0, v4, vcc_lo
	v_mul_lo_u32 v7, s7, v5
	v_mad_co_u64_u32 v[92:93], null, s6, v5, s[10:11]
	s_delay_alu instid0(VALU_DEP_3) | instskip(SKIP_1) | instid1(VALU_DEP_1)
	v_mul_lo_u32 v6, s6, v6
	v_add_co_u32 v5, vcc_lo, v3, 32
	v_mad_co_u64_u32 v[94:95], null, s6, v5, s[8:9]
	s_delay_alu instid0(VALU_DEP_3)
	;; [unrolled: 11-line block ×16, first 2 shown]
	v_add3_u32 v147, v7, v147, v6
	v_add3_u32 v149, v7, v149, v6
	s_wait_alu 0xfffd
	v_add_co_ci_u32_e64 v6, null, 0, v4, vcc_lo
	v_add_co_u32 v3, vcc_lo, v3, 62
	s_wait_alu 0xfffd
	v_add_co_ci_u32_e64 v4, null, 0, v4, vcc_lo
	v_mul_lo_u32 v7, s7, v5
	v_mad_co_u64_u32 v[152:153], null, s6, v5, s[10:11]
	s_delay_alu instid0(VALU_DEP_3)
	v_mul_lo_u32 v4, s6, v4
	v_mul_lo_u32 v5, s7, v3
	v_mad_co_u64_u32 v[154:155], null, s6, v3, s[8:9]
	v_mad_co_u64_u32 v[156:157], null, s6, v3, s[10:11]
	v_mul_lo_u32 v6, s6, v6
	v_add_co_u32 v3, vcc_lo, v0, 31
	s_delay_alu instid0(VALU_DEP_4) | instskip(NEXT) | instid1(VALU_DEP_4)
	v_add3_u32 v155, v5, v155, v4
	v_add3_u32 v157, v5, v157, v4
	s_wait_alu 0xfffd
	v_add_co_ci_u32_e64 v4, null, 0, v9, vcc_lo
	v_add3_u32 v151, v7, v151, v6
	v_add3_u32 v153, v7, v153, v6
	v_mul_lo_u32 v6, s7, v3
	s_delay_alu instid0(VALU_DEP_4) | instskip(SKIP_1) | instid1(VALU_DEP_1)
	v_mul_lo_u32 v5, s6, v4
	v_mad_co_u64_u32 v[3:4], null, s6, v3, 0
	v_add3_u32 v4, v4, v5, v6
	v_add_co_u32 v5, vcc_lo, v0, 30
	s_wait_alu 0xfffd
	v_add_co_ci_u32_e64 v6, null, 0, v9, vcc_lo
	s_delay_alu instid0(VALU_DEP_2) | instskip(NEXT) | instid1(VALU_DEP_2)
	v_mul_lo_u32 v8, s7, v5
	v_mul_lo_u32 v7, s6, v6
	v_mad_co_u64_u32 v[5:6], null, s6, v5, 0
	s_delay_alu instid0(VALU_DEP_1) | instskip(SKIP_3) | instid1(VALU_DEP_2)
	v_add3_u32 v6, v6, v7, v8
	v_add_co_u32 v7, vcc_lo, v0, 29
	s_wait_alu 0xfffd
	v_add_co_ci_u32_e64 v8, null, 0, v9, vcc_lo
	v_mul_lo_u32 v11, s7, v7
	s_delay_alu instid0(VALU_DEP_2) | instskip(SKIP_1) | instid1(VALU_DEP_1)
	v_mul_lo_u32 v10, s6, v8
	v_mad_co_u64_u32 v[7:8], null, s6, v7, 0
	v_add3_u32 v8, v8, v10, v11
	v_add_co_u32 v10, vcc_lo, v0, 28
	s_wait_alu 0xfffd
	v_add_co_ci_u32_e64 v11, null, 0, v9, vcc_lo
	s_delay_alu instid0(VALU_DEP_2) | instskip(NEXT) | instid1(VALU_DEP_2)
	v_mul_lo_u32 v13, s7, v10
	v_mul_lo_u32 v12, s6, v11
	v_mad_co_u64_u32 v[10:11], null, s6, v10, 0
	s_delay_alu instid0(VALU_DEP_1) | instskip(SKIP_3) | instid1(VALU_DEP_2)
	v_add3_u32 v11, v11, v12, v13
	v_add_co_u32 v12, vcc_lo, v0, 27
	s_wait_alu 0xfffd
	v_add_co_ci_u32_e64 v13, null, 0, v9, vcc_lo
	v_mul_lo_u32 v15, s7, v12
	s_delay_alu instid0(VALU_DEP_2) | instskip(SKIP_1) | instid1(VALU_DEP_1)
	;; [unrolled: 17-line block ×8, first 2 shown]
	v_mul_lo_u32 v162, s6, v161
	v_mad_co_u64_u32 v[160:161], null, s6, v160, 0
	v_add3_u32 v161, v161, v162, v163
	v_add_co_u32 v162, vcc_lo, v0, 14
	s_wait_alu 0xfffd
	v_add_co_ci_u32_e64 v163, null, 0, v9, vcc_lo
	s_delay_alu instid0(VALU_DEP_2) | instskip(NEXT) | instid1(VALU_DEP_2)
	v_mul_lo_u32 v165, s7, v162
	v_mul_lo_u32 v164, s6, v163
	v_mad_co_u64_u32 v[162:163], null, s6, v162, 0
	s_delay_alu instid0(VALU_DEP_1) | instskip(SKIP_3) | instid1(VALU_DEP_2)
	v_add3_u32 v163, v163, v164, v165
	v_add_co_u32 v164, vcc_lo, v0, 13
	s_wait_alu 0xfffd
	v_add_co_ci_u32_e64 v165, null, 0, v9, vcc_lo
	v_mul_lo_u32 v166, s7, v164
	v_mad_co_u64_u32 v[168:169], null, s6, v164, 0
	s_delay_alu instid0(VALU_DEP_3) | instskip(SKIP_1) | instid1(VALU_DEP_1)
	v_mul_lo_u32 v165, s6, v165
	v_add_co_u32 v164, vcc_lo, v0, 12
	v_mad_co_u64_u32 v[170:171], null, s6, v164, 0
	s_delay_alu instid0(VALU_DEP_3) | instskip(SKIP_4) | instid1(VALU_DEP_3)
	v_add3_u32 v169, v169, v165, v166
	s_wait_alu 0xfffd
	v_add_co_ci_u32_e64 v165, null, 0, v9, vcc_lo
	v_mul_lo_u32 v166, s7, v164
	v_add_co_u32 v164, vcc_lo, v0, 11
	v_mul_lo_u32 v165, s6, v165
	s_delay_alu instid0(VALU_DEP_2) | instskip(NEXT) | instid1(VALU_DEP_2)
	v_mad_co_u64_u32 v[172:173], null, s6, v164, 0
	v_add3_u32 v171, v171, v165, v166
	s_wait_alu 0xfffd
	v_add_co_ci_u32_e64 v165, null, 0, v9, vcc_lo
	v_mul_lo_u32 v166, s7, v164
	v_add_co_u32 v164, vcc_lo, v0, 10
	s_delay_alu instid0(VALU_DEP_3) | instskip(NEXT) | instid1(VALU_DEP_2)
	v_mul_lo_u32 v165, s6, v165
	v_mad_co_u64_u32 v[174:175], null, s6, v164, 0
	s_delay_alu instid0(VALU_DEP_2) | instskip(SKIP_4) | instid1(VALU_DEP_3)
	v_add3_u32 v173, v173, v165, v166
	s_wait_alu 0xfffd
	v_add_co_ci_u32_e64 v165, null, 0, v9, vcc_lo
	v_mul_lo_u32 v166, s7, v164
	v_add_co_u32 v164, vcc_lo, v0, 9
	v_mul_lo_u32 v165, s6, v165
	s_delay_alu instid0(VALU_DEP_2) | instskip(NEXT) | instid1(VALU_DEP_2)
	v_mad_co_u64_u32 v[176:177], null, s6, v164, 0
	v_add3_u32 v175, v175, v165, v166
	s_wait_alu 0xfffd
	v_add_co_ci_u32_e64 v165, null, 0, v9, vcc_lo
	v_mul_lo_u32 v166, s7, v164
	v_add_co_u32 v164, vcc_lo, v0, 8
	s_delay_alu instid0(VALU_DEP_3) | instskip(NEXT) | instid1(VALU_DEP_2)
	v_mul_lo_u32 v165, s6, v165
	v_mad_co_u64_u32 v[178:179], null, s6, v164, 0
	s_delay_alu instid0(VALU_DEP_2) | instskip(SKIP_4) | instid1(VALU_DEP_3)
	v_add3_u32 v177, v177, v165, v166
	s_wait_alu 0xfffd
	v_add_co_ci_u32_e64 v165, null, 0, v9, vcc_lo
	v_mul_lo_u32 v166, s7, v164
	v_add_co_u32 v164, vcc_lo, v0, 7
	v_mul_lo_u32 v165, s6, v165
	s_delay_alu instid0(VALU_DEP_2) | instskip(NEXT) | instid1(VALU_DEP_2)
	v_mad_co_u64_u32 v[180:181], null, s6, v164, 0
	v_add3_u32 v179, v179, v165, v166
	s_wait_alu 0xfffd
	v_add_co_ci_u32_e64 v165, null, 0, v9, vcc_lo
	v_mul_lo_u32 v166, s7, v164
	v_add_co_u32 v164, vcc_lo, v0, 6
	s_delay_alu instid0(VALU_DEP_3) | instskip(NEXT) | instid1(VALU_DEP_2)
	v_mul_lo_u32 v165, s6, v165
	v_mad_co_u64_u32 v[182:183], null, s6, v164, 0
	s_delay_alu instid0(VALU_DEP_2) | instskip(SKIP_4) | instid1(VALU_DEP_3)
	v_add3_u32 v181, v181, v165, v166
	s_wait_alu 0xfffd
	v_add_co_ci_u32_e64 v165, null, 0, v9, vcc_lo
	v_mul_lo_u32 v166, s7, v164
	v_add_co_u32 v164, vcc_lo, v0, 5
	v_mul_lo_u32 v165, s6, v165
	s_delay_alu instid0(VALU_DEP_2) | instskip(NEXT) | instid1(VALU_DEP_2)
	v_mad_co_u64_u32 v[184:185], null, s6, v164, 0
	v_add3_u32 v183, v183, v165, v166
	s_wait_alu 0xfffd
	v_add_co_ci_u32_e64 v165, null, 0, v9, vcc_lo
	v_mul_lo_u32 v166, s7, v164
	v_add_co_u32 v164, vcc_lo, v0, 4
	s_delay_alu instid0(VALU_DEP_3) | instskip(NEXT) | instid1(VALU_DEP_2)
	v_mul_lo_u32 v165, s6, v165
	v_mad_co_u64_u32 v[186:187], null, s6, v164, 0
	s_delay_alu instid0(VALU_DEP_2) | instskip(SKIP_4) | instid1(VALU_DEP_3)
	v_add3_u32 v185, v185, v165, v166
	s_wait_alu 0xfffd
	v_add_co_ci_u32_e64 v165, null, 0, v9, vcc_lo
	v_mul_lo_u32 v166, s7, v164
	v_add_co_u32 v164, vcc_lo, v0, 3
	v_mul_lo_u32 v165, s6, v165
	s_delay_alu instid0(VALU_DEP_2) | instskip(NEXT) | instid1(VALU_DEP_2)
	v_mad_co_u64_u32 v[189:190], null, s6, v164, 0
	v_add3_u32 v187, v187, v165, v166
	s_wait_alu 0xfffd
	v_add_co_ci_u32_e64 v165, null, 0, v9, vcc_lo
	v_add_co_u32 v0, vcc_lo, v0, 2
	s_wait_alu 0xfffd
	v_add_co_ci_u32_e64 v9, null, 0, v9, vcc_lo
	v_mul_lo_u32 v166, s7, v164
	s_delay_alu instid0(VALU_DEP_3) | instskip(SKIP_1) | instid1(VALU_DEP_4)
	v_mul_lo_u32 v164, s7, v0
	v_mad_co_u64_u32 v[193:194], null, s6, v0, 0
	v_mul_lo_u32 v9, s6, v9
	v_mul_lo_u32 v165, s6, v165
	v_add_co_u32 v197, vcc_lo, v1, s6
	v_lshlrev_b64_e32 v[0:1], 1, v[1:2]
	s_wait_alu 0xfffd
	v_add_co_ci_u32_e64 v198, null, s7, v2, vcc_lo
	v_add3_u32 v194, v194, v9, v164
	v_add3_u32 v190, v190, v165, v166
	s_delay_alu instid0(VALU_DEP_4)
	v_add_co_u32 v164, vcc_lo, s8, v0
	s_wait_alu 0xfffd
	v_add_co_ci_u32_e64 v165, null, s9, v1, vcc_lo
	v_add_co_u32 v166, vcc_lo, s10, v0
	s_wait_alu 0xfffd
	v_add_co_ci_u32_e64 v167, null, s11, v1, vcc_lo
	v_lshlrev_b64_e32 v[0:1], 1, v[3:4]
	s_delay_alu instid0(VALU_DEP_1)
	v_add_co_u32 v2, vcc_lo, s8, v0
	scratch_store_b32 off, v2, off offset:4 ; 4-byte Folded Spill
	s_wait_alu 0xfffd
	v_add_co_ci_u32_e64 v2, null, s9, v1, vcc_lo
	v_add_co_u32 v0, vcc_lo, s10, v0
	s_clause 0x1
	scratch_store_b32 off, v2, off offset:8
	scratch_store_b32 off, v0, off offset:12
	s_wait_alu 0xfffd
	v_add_co_ci_u32_e64 v0, null, s11, v1, vcc_lo
	scratch_store_b32 off, v0, off offset:16 ; 4-byte Folded Spill
	v_lshlrev_b64_e32 v[0:1], 1, v[5:6]
	s_delay_alu instid0(VALU_DEP_1)
	v_add_co_u32 v2, vcc_lo, s8, v0
	scratch_store_b32 off, v2, off offset:20 ; 4-byte Folded Spill
	s_wait_alu 0xfffd
	v_add_co_ci_u32_e64 v2, null, s9, v1, vcc_lo
	v_add_co_u32 v0, vcc_lo, s10, v0
	s_clause 0x1
	scratch_store_b32 off, v2, off offset:24
	scratch_store_b32 off, v0, off offset:28
	s_wait_alu 0xfffd
	v_add_co_ci_u32_e64 v0, null, s11, v1, vcc_lo
	scratch_store_b32 off, v0, off offset:32 ; 4-byte Folded Spill
	;; [unrolled: 13-line block ×18, first 2 shown]
	v_lshlrev_b64_e32 v[0:1], 1, v[168:169]
	s_delay_alu instid0(VALU_DEP_1) | instskip(SKIP_1) | instid1(VALU_DEP_2)
	v_add_co_u32 v240, vcc_lo, s8, v0
	s_wait_alu 0xfffd
	v_add_co_ci_u32_e64 v241, null, s9, v1, vcc_lo
	v_add_co_u32 v242, vcc_lo, s10, v0
	s_wait_alu 0xfffd
	v_add_co_ci_u32_e64 v243, null, s11, v1, vcc_lo
	v_lshlrev_b64_e32 v[0:1], 1, v[170:171]
	s_delay_alu instid0(VALU_DEP_1) | instskip(SKIP_1) | instid1(VALU_DEP_2)
	v_add_co_u32 v244, vcc_lo, s8, v0
	s_wait_alu 0xfffd
	v_add_co_ci_u32_e64 v245, null, s9, v1, vcc_lo
	v_add_co_u32 v246, vcc_lo, s10, v0
	s_wait_alu 0xfffd
	v_add_co_ci_u32_e64 v247, null, s11, v1, vcc_lo
	;; [unrolled: 8-line block ×12, first 2 shown]
	v_lshlrev_b64_e32 v[1:2], 1, v[197:198]
	s_delay_alu instid0(VALU_DEP_1) | instskip(SKIP_1) | instid1(VALU_DEP_2)
	v_add_co_u32 v197, vcc_lo, s8, v1
	s_wait_alu 0xfffd
	v_add_co_ci_u32_e64 v198, null, s9, v2, vcc_lo
	v_add_co_u32 v199, vcc_lo, s10, v1
	v_and_b32_e32 v1, 0x3ff, v228
	s_wait_alu 0xfffd
	v_add_co_ci_u32_e64 v200, null, s11, v2, vcc_lo
	s_wait_kmcnt 0x0
	s_lshl_b32 s8, s2, 5
	s_wait_alu 0xfffe
	s_mov_b32 s9, s3
	scratch_store_b32 off, v1, off offset:300 ; 4-byte Folded Spill
	v_dual_mov_b32 v1, 0 :: v_dual_add_nc_u32 v2, s30, v1
	s_wait_alu 0xfffe
	s_mul_u64 s[18:19], s[6:7], s[8:9]
	s_add_nc_u64 s[10:11], s[0:1], 64
	s_wait_alu 0xfffe
	s_lshl_b64 s[18:19], s[18:19], 1
	v_dual_mov_b32 v3, v1 :: v_dual_mov_b32 v202, v1
	s_delay_alu instid0(VALU_DEP_1)
	v_lshlrev_b64_e32 v[158:159], 1, v[2:3]
.LBB107_145:                            ; =>This Inner Loop Header: Depth=1
	scratch_load_b32 v2, off, off           ; 4-byte Folded Reload
	s_add_nc_u64 s[24:25], s[16:17], s[20:21]
                                        ; implicit-def: $vgpr201
                                        ; implicit-def: $vgpr203
	s_wait_alu 0xfffe
	v_cmp_ge_i64_e64 s2, s[24:25], s[4:5]
	s_wait_loadcnt 0x0
	v_add_co_u32 v160, vcc_lo, s16, v2
	s_wait_alu 0xfffd
	v_add_co_ci_u32_e64 v161, null, 0, v202, vcc_lo
	s_and_b32 vcc_lo, exec_lo, s2
	s_mov_b32 s2, -1
	s_wait_alu 0xfffe
	s_cbranch_vccz .LBB107_213
; %bb.146:                              ;   in Loop: Header=BB107_145 Depth=1
	s_load_b32 s2, s[10:11], 0xc
	s_clause 0x1
	scratch_load_b32 v2, off, off offset:296
	scratch_load_b32 v3, off, off offset:300
	v_dual_mov_b32 v204, 0 :: v_dual_mov_b32 v201, 0
	v_mov_b32_e32 v223, 0
	s_wait_kmcnt 0x0
	s_and_b32 s2, s2, 0xffff
	s_wait_loadcnt 0x0
	s_wait_alu 0xfffe
	v_mad_u32_u24 v2, v2, s2, v3
	s_mov_b32 s2, exec_lo
	s_delay_alu instid0(VALU_DEP_1) | instskip(NEXT) | instid1(VALU_DEP_1)
	v_and_b32_e32 v2, 31, v2
	v_add_co_u32 v2, vcc_lo, v160, v2
	s_wait_alu 0xfffd
	v_add_co_ci_u32_e64 v3, null, 0, v161, vcc_lo
	s_delay_alu instid0(VALU_DEP_1)
	v_cmpx_gt_i64_e64 s[4:5], v[2:3]
	s_cbranch_execz .LBB107_148
; %bb.147:                              ;   in Loop: Header=BB107_145 Depth=1
	v_lshlrev_b64_e32 v[2:3], 2, v[2:3]
	s_delay_alu instid0(VALU_DEP_1) | instskip(SKIP_1) | instid1(VALU_DEP_2)
	v_add_co_u32 v4, vcc_lo, s12, v2
	s_wait_alu 0xfffd
	v_add_co_ci_u32_e64 v5, null, s13, v3, vcc_lo
	v_add_co_u32 v2, vcc_lo, s14, v2
	s_wait_alu 0xfffd
	v_add_co_ci_u32_e64 v3, null, s15, v3, vcc_lo
	global_load_b32 v201, v[4:5], off
	global_load_b32 v204, v[2:3], off
.LBB107_148:                            ;   in Loop: Header=BB107_145 Depth=1
	s_wait_alu 0xfffe
	s_or_b32 exec_lo, exec_lo, s2
	v_mov_b32_e32 v32, v1
	v_dual_mov_b32 v2, v1 :: v_dual_mov_b32 v3, v1
	v_dual_mov_b32 v4, v1 :: v_dual_mov_b32 v5, v1
	;; [unrolled: 1-line block ×15, first 2 shown]
	v_mov_b32_e32 v33, v32
	s_delay_alu instid0(VALU_DEP_2) | instskip(NEXT) | instid1(VALU_DEP_3)
	v_mov_b32_e32 v32, v31
	v_mov_b32_e32 v31, v30
	;; [unrolled: 1-line block ×31, first 2 shown]
	s_mov_b32 s2, exec_lo
	v_cmpx_gt_i64_e64 s[4:5], v[160:161]
	s_cbranch_execz .LBB107_150
; %bb.149:                              ;   in Loop: Header=BB107_145 Depth=1
	v_add_co_u32 v2, vcc_lo, v164, v158
	s_wait_alu 0xfffd
	v_add_co_ci_u32_e64 v3, null, v165, v159, vcc_lo
	v_dual_mov_b32 v6, v1 :: v_dual_mov_b32 v7, v1
	v_dual_mov_b32 v8, v1 :: v_dual_mov_b32 v9, v1
	global_load_u16 v4, v[2:3], off
	v_add_co_u32 v2, vcc_lo, v166, v158
	s_wait_alu 0xfffd
	v_add_co_ci_u32_e64 v3, null, v167, v159, vcc_lo
	v_dual_mov_b32 v10, v1 :: v_dual_mov_b32 v11, v1
	v_dual_mov_b32 v12, v1 :: v_dual_mov_b32 v13, v1
	global_load_u16 v203, v[2:3], off
	v_dual_mov_b32 v14, v1 :: v_dual_mov_b32 v15, v1
	v_dual_mov_b32 v16, v1 :: v_dual_mov_b32 v17, v1
	;; [unrolled: 1-line block ×10, first 2 shown]
	v_mov_b32_e32 v3, v1
	s_wait_loadcnt 0x1
	v_dual_mov_b32 v5, v1 :: v_dual_lshlrev_b32 v2, 16, v4
	s_wait_loadcnt 0x0
	v_dual_mov_b32 v4, v1 :: v_dual_lshlrev_b32 v223, 16, v203
.LBB107_150:                            ;   in Loop: Header=BB107_145 Depth=1
	s_wait_alu 0xfffe
	s_or_b32 exec_lo, exec_lo, s2
	v_add_co_u32 v206, vcc_lo, v160, 1
	s_wait_alu 0xfffd
	v_add_co_ci_u32_e64 v207, null, 0, v161, vcc_lo
	v_dual_mov_b32 v224, 0 :: v_dual_mov_b32 v225, 0
	s_mov_b32 s2, exec_lo
	s_delay_alu instid0(VALU_DEP_2)
	v_cmpx_gt_i64_e64 s[4:5], v[206:207]
	s_cbranch_execz .LBB107_152
; %bb.151:                              ;   in Loop: Header=BB107_145 Depth=1
	v_add_co_u32 v206, vcc_lo, v199, v158
	s_wait_alu 0xfffd
	v_add_co_ci_u32_e64 v207, null, v200, v159, vcc_lo
	v_add_co_u32 v208, vcc_lo, v197, v158
	s_wait_alu 0xfffd
	v_add_co_ci_u32_e64 v209, null, v198, v159, vcc_lo
	global_load_u16 v3, v[206:207], off
	global_load_u16 v203, v[208:209], off
	s_wait_loadcnt 0x1
	v_lshlrev_b32_e32 v225, 16, v3
	s_wait_loadcnt 0x0
	v_lshlrev_b32_e32 v3, 16, v203
.LBB107_152:                            ;   in Loop: Header=BB107_145 Depth=1
	s_wait_alu 0xfffe
	s_or_b32 exec_lo, exec_lo, s2
	v_add_co_u32 v206, vcc_lo, v160, 2
	s_wait_alu 0xfffd
	v_add_co_ci_u32_e64 v207, null, 0, v161, vcc_lo
	s_mov_b32 s2, exec_lo
	v_cmpx_gt_i64_e64 s[4:5], v[206:207]
	s_cbranch_execz .LBB107_154
; %bb.153:                              ;   in Loop: Header=BB107_145 Depth=1
	v_add_co_u32 v206, vcc_lo, v195, v158
	s_wait_alu 0xfffd
	v_add_co_ci_u32_e64 v207, null, v196, v159, vcc_lo
	v_add_co_u32 v208, vcc_lo, v193, v158
	s_wait_alu 0xfffd
	v_add_co_ci_u32_e64 v209, null, v194, v159, vcc_lo
	global_load_u16 v4, v[206:207], off
	global_load_u16 v203, v[208:209], off
	s_wait_loadcnt 0x1
	v_lshlrev_b32_e32 v224, 16, v4
	s_wait_loadcnt 0x0
	v_lshlrev_b32_e32 v4, 16, v203
.LBB107_154:                            ;   in Loop: Header=BB107_145 Depth=1
	s_wait_alu 0xfffe
	s_or_b32 exec_lo, exec_lo, s2
	v_add_co_u32 v206, vcc_lo, v160, 3
	s_wait_alu 0xfffd
	v_add_co_ci_u32_e64 v207, null, 0, v161, vcc_lo
	v_dual_mov_b32 v226, 0 :: v_dual_mov_b32 v227, 0
	s_mov_b32 s2, exec_lo
	s_delay_alu instid0(VALU_DEP_2)
	v_cmpx_gt_i64_e64 s[4:5], v[206:207]
	s_cbranch_execz .LBB107_156
; %bb.155:                              ;   in Loop: Header=BB107_145 Depth=1
	v_add_co_u32 v206, vcc_lo, v191, v158
	s_wait_alu 0xfffd
	v_add_co_ci_u32_e64 v207, null, v192, v159, vcc_lo
	v_add_co_u32 v208, vcc_lo, v189, v158
	s_wait_alu 0xfffd
	v_add_co_ci_u32_e64 v209, null, v190, v159, vcc_lo
	global_load_u16 v5, v[206:207], off
	global_load_u16 v203, v[208:209], off
	s_wait_loadcnt 0x1
	v_lshlrev_b32_e32 v227, 16, v5
	s_wait_loadcnt 0x0
	v_lshlrev_b32_e32 v5, 16, v203
.LBB107_156:                            ;   in Loop: Header=BB107_145 Depth=1
	s_wait_alu 0xfffe
	s_or_b32 exec_lo, exec_lo, s2
	v_add_co_u32 v206, vcc_lo, v160, 4
	s_wait_alu 0xfffd
	v_add_co_ci_u32_e64 v207, null, 0, v161, vcc_lo
	s_mov_b32 s2, exec_lo
	v_cmpx_gt_i64_e64 s[4:5], v[206:207]
	s_cbranch_execz .LBB107_158
; %bb.157:                              ;   in Loop: Header=BB107_145 Depth=1
	v_add_co_u32 v206, vcc_lo, v187, v158
	s_wait_alu 0xfffd
	v_add_co_ci_u32_e64 v207, null, v188, v159, vcc_lo
	v_add_co_u32 v208, vcc_lo, v185, v158
	s_wait_alu 0xfffd
	v_add_co_ci_u32_e64 v209, null, v186, v159, vcc_lo
	global_load_u16 v6, v[206:207], off
	global_load_u16 v203, v[208:209], off
	s_wait_loadcnt 0x1
	v_lshlrev_b32_e32 v226, 16, v6
	s_wait_loadcnt 0x0
	v_lshlrev_b32_e32 v6, 16, v203
.LBB107_158:                            ;   in Loop: Header=BB107_145 Depth=1
	;; [unrolled: 46-line block ×6, first 2 shown]
	s_wait_alu 0xfffe
	s_or_b32 exec_lo, exec_lo, s2
	v_add_co_u32 v206, vcc_lo, v160, 13
	s_wait_alu 0xfffd
	v_add_co_ci_u32_e64 v207, null, 0, v161, vcc_lo
	v_dual_mov_b32 v236, 0 :: v_dual_mov_b32 v237, 0
	s_mov_b32 s2, exec_lo
	s_delay_alu instid0(VALU_DEP_2)
	v_cmpx_gt_i64_e64 s[4:5], v[206:207]
	s_cbranch_execz .LBB107_176
; %bb.175:                              ;   in Loop: Header=BB107_145 Depth=1
	v_add_co_u32 v206, vcc_lo, v242, v158
	s_wait_alu 0xfffd
	v_add_co_ci_u32_e64 v207, null, v243, v159, vcc_lo
	v_add_co_u32 v208, vcc_lo, v240, v158
	s_wait_alu 0xfffd
	v_add_co_ci_u32_e64 v209, null, v241, v159, vcc_lo
	global_load_u16 v15, v[206:207], off
	global_load_u16 v203, v[208:209], off
	s_wait_loadcnt 0x1
	v_lshlrev_b32_e32 v237, 16, v15
	s_wait_loadcnt 0x0
	v_lshlrev_b32_e32 v15, 16, v203
.LBB107_176:                            ;   in Loop: Header=BB107_145 Depth=1
	s_wait_alu 0xfffe
	s_or_b32 exec_lo, exec_lo, s2
	v_add_co_u32 v206, vcc_lo, v160, 14
	s_wait_alu 0xfffd
	v_add_co_ci_u32_e64 v207, null, 0, v161, vcc_lo
	s_mov_b32 s2, exec_lo
	v_cmpx_gt_i64_e64 s[4:5], v[206:207]
	s_cbranch_execz .LBB107_178
; %bb.177:                              ;   in Loop: Header=BB107_145 Depth=1
	scratch_load_b32 v16, off, off offset:284 ; 4-byte Folded Reload
	s_wait_loadcnt 0x0
	v_add_co_u32 v206, vcc_lo, v16, v158
	scratch_load_b32 v16, off, off offset:288 ; 4-byte Folded Reload
	s_wait_loadcnt 0x0
	s_wait_alu 0xfffd
	v_add_co_ci_u32_e64 v207, null, v16, v159, vcc_lo
	scratch_load_b32 v16, off, off offset:276 ; 4-byte Folded Reload
	s_wait_loadcnt 0x0
	v_add_co_u32 v208, vcc_lo, v16, v158
	scratch_load_b32 v16, off, off offset:280 ; 4-byte Folded Reload
	s_wait_loadcnt 0x0
	s_wait_alu 0xfffd
	v_add_co_ci_u32_e64 v209, null, v16, v159, vcc_lo
	global_load_u16 v16, v[206:207], off
	global_load_u16 v203, v[208:209], off
	s_wait_loadcnt 0x1
	v_lshlrev_b32_e32 v236, 16, v16
	s_wait_loadcnt 0x0
	v_lshlrev_b32_e32 v16, 16, v203
.LBB107_178:                            ;   in Loop: Header=BB107_145 Depth=1
	s_wait_alu 0xfffe
	s_or_b32 exec_lo, exec_lo, s2
	v_add_co_u32 v206, vcc_lo, v160, 15
	s_wait_alu 0xfffd
	v_add_co_ci_u32_e64 v207, null, 0, v161, vcc_lo
	v_mov_b32_e32 v239, 0
	v_mov_b32_e32 v203, 0
	s_mov_b32 s2, exec_lo
	scratch_store_b32 off, v203, off offset:292 ; 4-byte Folded Spill
	v_cmpx_gt_i64_e64 s[4:5], v[206:207]
	s_cbranch_execz .LBB107_180
; %bb.179:                              ;   in Loop: Header=BB107_145 Depth=1
	scratch_load_b32 v17, off, off offset:268 ; 4-byte Folded Reload
	s_wait_loadcnt 0x0
	v_add_co_u32 v206, vcc_lo, v17, v158
	scratch_load_b32 v17, off, off offset:272 ; 4-byte Folded Reload
	s_wait_loadcnt 0x0
	s_wait_alu 0xfffd
	v_add_co_ci_u32_e64 v207, null, v17, v159, vcc_lo
	scratch_load_b32 v17, off, off offset:260 ; 4-byte Folded Reload
	s_wait_loadcnt 0x0
	v_add_co_u32 v208, vcc_lo, v17, v158
	scratch_load_b32 v17, off, off offset:264 ; 4-byte Folded Reload
	s_wait_loadcnt 0x0
	s_wait_alu 0xfffd
	v_add_co_ci_u32_e64 v209, null, v17, v159, vcc_lo
	global_load_u16 v17, v[206:207], off
	global_load_u16 v203, v[208:209], off
	s_wait_loadcnt 0x1
	v_lshlrev_b32_e32 v17, 16, v17
	scratch_store_b32 off, v17, off offset:292 ; 4-byte Folded Spill
	s_wait_loadcnt 0x0
	v_lshlrev_b32_e32 v17, 16, v203
.LBB107_180:                            ;   in Loop: Header=BB107_145 Depth=1
	s_wait_alu 0xfffe
	s_or_b32 exec_lo, exec_lo, s2
	v_add_co_u32 v206, vcc_lo, v160, 16
	s_wait_alu 0xfffd
	v_add_co_ci_u32_e64 v207, null, 0, v161, vcc_lo
	s_mov_b32 s2, exec_lo
	v_cmpx_gt_i64_e64 s[4:5], v[206:207]
	s_cbranch_execz .LBB107_182
; %bb.181:                              ;   in Loop: Header=BB107_145 Depth=1
	scratch_load_b32 v18, off, off offset:252 ; 4-byte Folded Reload
	s_wait_loadcnt 0x0
	v_add_co_u32 v206, vcc_lo, v18, v158
	scratch_load_b32 v18, off, off offset:256 ; 4-byte Folded Reload
	s_wait_loadcnt 0x0
	s_wait_alu 0xfffd
	v_add_co_ci_u32_e64 v207, null, v18, v159, vcc_lo
	scratch_load_b32 v18, off, off offset:244 ; 4-byte Folded Reload
	s_wait_loadcnt 0x0
	v_add_co_u32 v208, vcc_lo, v18, v158
	scratch_load_b32 v18, off, off offset:248 ; 4-byte Folded Reload
	s_wait_loadcnt 0x0
	s_wait_alu 0xfffd
	v_add_co_ci_u32_e64 v209, null, v18, v159, vcc_lo
	global_load_u16 v18, v[206:207], off
	global_load_u16 v203, v[208:209], off
	s_wait_loadcnt 0x1
	v_lshlrev_b32_e32 v239, 16, v18
	s_wait_loadcnt 0x0
	v_lshlrev_b32_e32 v18, 16, v203
.LBB107_182:                            ;   in Loop: Header=BB107_145 Depth=1
	s_wait_alu 0xfffe
	s_or_b32 exec_lo, exec_lo, s2
	v_add_co_u32 v206, vcc_lo, v160, 17
	s_wait_alu 0xfffd
	v_add_co_ci_u32_e64 v207, null, 0, v161, vcc_lo
	v_mov_b32_e32 v203, 0
	s_delay_alu instid0(VALU_DEP_2)
	v_cmp_gt_i64_e32 vcc_lo, s[4:5], v[206:207]
	v_mov_b32_e32 v206, 0
	s_and_saveexec_b32 s2, vcc_lo
	s_cbranch_execz .LBB107_184
; %bb.183:                              ;   in Loop: Header=BB107_145 Depth=1
	scratch_load_b32 v19, off, off offset:236 ; 4-byte Folded Reload
	s_wait_loadcnt 0x0
	v_add_co_u32 v206, vcc_lo, v19, v158
	scratch_load_b32 v19, off, off offset:240 ; 4-byte Folded Reload
	s_wait_loadcnt 0x0
	s_wait_alu 0xfffd
	v_add_co_ci_u32_e64 v207, null, v19, v159, vcc_lo
	scratch_load_b32 v19, off, off offset:228 ; 4-byte Folded Reload
	s_wait_loadcnt 0x0
	v_add_co_u32 v208, vcc_lo, v19, v158
	scratch_load_b32 v19, off, off offset:232 ; 4-byte Folded Reload
	s_wait_loadcnt 0x0
	s_wait_alu 0xfffd
	v_add_co_ci_u32_e64 v209, null, v19, v159, vcc_lo
	global_load_u16 v19, v[206:207], off
	global_load_u16 v207, v[208:209], off
	s_wait_loadcnt 0x1
	v_lshlrev_b32_e32 v206, 16, v19
	s_wait_loadcnt 0x0
	v_lshlrev_b32_e32 v19, 16, v207
.LBB107_184:                            ;   in Loop: Header=BB107_145 Depth=1
	s_wait_alu 0xfffe
	s_or_b32 exec_lo, exec_lo, s2
	v_add_co_u32 v207, vcc_lo, v160, 18
	s_wait_alu 0xfffd
	v_add_co_ci_u32_e64 v208, null, 0, v161, vcc_lo
	s_mov_b32 s2, exec_lo
	v_cmpx_gt_i64_e64 s[4:5], v[207:208]
	s_cbranch_execz .LBB107_186
; %bb.185:                              ;   in Loop: Header=BB107_145 Depth=1
	scratch_load_b32 v20, off, off offset:220 ; 4-byte Folded Reload
	s_wait_loadcnt 0x0
	v_add_co_u32 v207, vcc_lo, v20, v158
	scratch_load_b32 v20, off, off offset:224 ; 4-byte Folded Reload
	s_wait_loadcnt 0x0
	s_wait_alu 0xfffd
	v_add_co_ci_u32_e64 v208, null, v20, v159, vcc_lo
	scratch_load_b32 v20, off, off offset:212 ; 4-byte Folded Reload
	s_wait_loadcnt 0x0
	v_add_co_u32 v209, vcc_lo, v20, v158
	scratch_load_b32 v20, off, off offset:216 ; 4-byte Folded Reload
	s_wait_loadcnt 0x0
	s_wait_alu 0xfffd
	v_add_co_ci_u32_e64 v210, null, v20, v159, vcc_lo
	global_load_u16 v20, v[207:208], off
	global_load_u16 v207, v[209:210], off
	s_wait_loadcnt 0x1
	v_lshlrev_b32_e32 v203, 16, v20
	s_wait_loadcnt 0x0
	v_lshlrev_b32_e32 v20, 16, v207
.LBB107_186:                            ;   in Loop: Header=BB107_145 Depth=1
	s_wait_alu 0xfffe
	s_or_b32 exec_lo, exec_lo, s2
	v_add_co_u32 v207, vcc_lo, v160, 19
	s_wait_alu 0xfffd
	v_add_co_ci_u32_e64 v208, null, 0, v161, vcc_lo
	s_delay_alu instid0(VALU_DEP_1)
	v_cmp_gt_i64_e32 vcc_lo, s[4:5], v[207:208]
	v_dual_mov_b32 v207, 0 :: v_dual_mov_b32 v208, 0
	s_and_saveexec_b32 s2, vcc_lo
	s_cbranch_execz .LBB107_188
; %bb.187:                              ;   in Loop: Header=BB107_145 Depth=1
	scratch_load_b32 v21, off, off offset:204 ; 4-byte Folded Reload
	s_wait_loadcnt 0x0
	v_add_co_u32 v208, vcc_lo, v21, v158
	scratch_load_b32 v21, off, off offset:208 ; 4-byte Folded Reload
	s_wait_loadcnt 0x0
	s_wait_alu 0xfffd
	v_add_co_ci_u32_e64 v209, null, v21, v159, vcc_lo
	scratch_load_b32 v21, off, off offset:196 ; 4-byte Folded Reload
	s_wait_loadcnt 0x0
	v_add_co_u32 v210, vcc_lo, v21, v158
	scratch_load_b32 v21, off, off offset:200 ; 4-byte Folded Reload
	s_wait_loadcnt 0x0
	s_wait_alu 0xfffd
	v_add_co_ci_u32_e64 v211, null, v21, v159, vcc_lo
	global_load_u16 v21, v[208:209], off
	global_load_u16 v209, v[210:211], off
	s_wait_loadcnt 0x1
	v_lshlrev_b32_e32 v208, 16, v21
	s_wait_loadcnt 0x0
	v_lshlrev_b32_e32 v21, 16, v209
.LBB107_188:                            ;   in Loop: Header=BB107_145 Depth=1
	s_wait_alu 0xfffe
	s_or_b32 exec_lo, exec_lo, s2
	v_add_co_u32 v209, vcc_lo, v160, 20
	s_wait_alu 0xfffd
	v_add_co_ci_u32_e64 v210, null, 0, v161, vcc_lo
	s_mov_b32 s2, exec_lo
	v_cmpx_gt_i64_e64 s[4:5], v[209:210]
	s_cbranch_execz .LBB107_190
; %bb.189:                              ;   in Loop: Header=BB107_145 Depth=1
	scratch_load_b32 v22, off, off offset:188 ; 4-byte Folded Reload
	s_wait_loadcnt 0x0
	v_add_co_u32 v209, vcc_lo, v22, v158
	scratch_load_b32 v22, off, off offset:192 ; 4-byte Folded Reload
	s_wait_loadcnt 0x0
	s_wait_alu 0xfffd
	v_add_co_ci_u32_e64 v210, null, v22, v159, vcc_lo
	scratch_load_b32 v22, off, off offset:180 ; 4-byte Folded Reload
	s_wait_loadcnt 0x0
	v_add_co_u32 v211, vcc_lo, v22, v158
	scratch_load_b32 v22, off, off offset:184 ; 4-byte Folded Reload
	s_wait_loadcnt 0x0
	s_wait_alu 0xfffd
	v_add_co_ci_u32_e64 v212, null, v22, v159, vcc_lo
	global_load_u16 v22, v[209:210], off
	global_load_u16 v209, v[211:212], off
	s_wait_loadcnt 0x1
	v_lshlrev_b32_e32 v207, 16, v22
	s_wait_loadcnt 0x0
	v_lshlrev_b32_e32 v22, 16, v209
.LBB107_190:                            ;   in Loop: Header=BB107_145 Depth=1
	s_wait_alu 0xfffe
	s_or_b32 exec_lo, exec_lo, s2
	v_add_co_u32 v209, vcc_lo, v160, 21
	s_wait_alu 0xfffd
	v_add_co_ci_u32_e64 v210, null, 0, v161, vcc_lo
	s_delay_alu instid0(VALU_DEP_1)
	v_cmp_gt_i64_e32 vcc_lo, s[4:5], v[209:210]
	v_dual_mov_b32 v209, 0 :: v_dual_mov_b32 v210, 0
	;; [unrolled: 62-line block ×6, first 2 shown]
	s_and_saveexec_b32 s2, vcc_lo
	s_cbranch_execz .LBB107_208
; %bb.207:                              ;   in Loop: Header=BB107_145 Depth=1
	scratch_load_b32 v31, off, off offset:44 ; 4-byte Folded Reload
	s_wait_loadcnt 0x0
	v_add_co_u32 v218, vcc_lo, v31, v158
	scratch_load_b32 v31, off, off offset:48 ; 4-byte Folded Reload
	s_wait_loadcnt 0x0
	s_wait_alu 0xfffd
	v_add_co_ci_u32_e64 v219, null, v31, v159, vcc_lo
	scratch_load_b32 v31, off, off offset:36 ; 4-byte Folded Reload
	s_wait_loadcnt 0x0
	v_add_co_u32 v220, vcc_lo, v31, v158
	scratch_load_b32 v31, off, off offset:40 ; 4-byte Folded Reload
	s_wait_loadcnt 0x0
	s_wait_alu 0xfffd
	v_add_co_ci_u32_e64 v221, null, v31, v159, vcc_lo
	global_load_u16 v31, v[218:219], off
	global_load_u16 v219, v[220:221], off
	s_wait_loadcnt 0x1
	v_lshlrev_b32_e32 v218, 16, v31
	s_wait_loadcnt 0x0
	v_lshlrev_b32_e32 v31, 16, v219
.LBB107_208:                            ;   in Loop: Header=BB107_145 Depth=1
	s_wait_alu 0xfffe
	s_or_b32 exec_lo, exec_lo, s2
	v_add_co_u32 v219, vcc_lo, v160, 30
	s_wait_alu 0xfffd
	v_add_co_ci_u32_e64 v220, null, 0, v161, vcc_lo
	s_mov_b32 s2, exec_lo
	v_cmpx_gt_i64_e64 s[4:5], v[219:220]
	s_cbranch_execz .LBB107_210
; %bb.209:                              ;   in Loop: Header=BB107_145 Depth=1
	scratch_load_b32 v32, off, off offset:28 ; 4-byte Folded Reload
	s_wait_loadcnt 0x0
	v_add_co_u32 v219, vcc_lo, v32, v158
	scratch_load_b32 v32, off, off offset:32 ; 4-byte Folded Reload
	s_wait_loadcnt 0x0
	s_wait_alu 0xfffd
	v_add_co_ci_u32_e64 v220, null, v32, v159, vcc_lo
	scratch_load_b32 v32, off, off offset:20 ; 4-byte Folded Reload
	s_wait_loadcnt 0x0
	v_add_co_u32 v221, vcc_lo, v32, v158
	scratch_load_b32 v32, off, off offset:24 ; 4-byte Folded Reload
	s_wait_loadcnt 0x0
	s_wait_alu 0xfffd
	v_add_co_ci_u32_e64 v222, null, v32, v159, vcc_lo
	global_load_u16 v32, v[219:220], off
	global_load_u16 v219, v[221:222], off
	s_wait_loadcnt 0x1
	v_lshlrev_b32_e32 v217, 16, v32
	s_wait_loadcnt 0x0
	v_lshlrev_b32_e32 v32, 16, v219
.LBB107_210:                            ;   in Loop: Header=BB107_145 Depth=1
	s_wait_alu 0xfffe
	s_or_b32 exec_lo, exec_lo, s2
	v_add_co_u32 v219, vcc_lo, v160, 31
	s_wait_alu 0xfffd
	v_add_co_ci_u32_e64 v220, null, 0, v161, vcc_lo
	s_delay_alu instid0(VALU_DEP_1)
	v_cmp_gt_i64_e32 vcc_lo, s[4:5], v[219:220]
	v_mov_b32_e32 v219, 0
	s_and_saveexec_b32 s2, vcc_lo
	s_cbranch_execz .LBB107_212
; %bb.211:                              ;   in Loop: Header=BB107_145 Depth=1
	scratch_load_b32 v33, off, off offset:12 ; 4-byte Folded Reload
	s_wait_loadcnt 0x0
	v_add_co_u32 v219, vcc_lo, v33, v158
	scratch_load_b32 v33, off, off offset:16 ; 4-byte Folded Reload
	s_wait_loadcnt 0x0
	s_wait_alu 0xfffd
	v_add_co_ci_u32_e64 v220, null, v33, v159, vcc_lo
	scratch_load_b32 v33, off, off offset:4 ; 4-byte Folded Reload
	s_wait_loadcnt 0x0
	v_add_co_u32 v221, vcc_lo, v33, v158
	scratch_load_b32 v33, off, off offset:8 ; 4-byte Folded Reload
	s_wait_loadcnt 0x0
	s_wait_alu 0xfffd
	v_add_co_ci_u32_e64 v222, null, v33, v159, vcc_lo
	global_load_u16 v33, v[219:220], off
	global_load_u16 v220, v[221:222], off
	s_wait_loadcnt 0x1
	v_lshlrev_b32_e32 v219, 16, v33
	s_wait_loadcnt 0x0
	v_lshlrev_b32_e32 v33, 16, v220
.LBB107_212:                            ;   in Loop: Header=BB107_145 Depth=1
	s_wait_alu 0xfffe
	s_or_b32 exec_lo, exec_lo, s2
	s_wait_loadcnt 0x1
	ds_bpermute_b32 v220, v1, v201
	ds_bpermute_b32 v222, v1, v201 offset:8
	ds_bpermute_b32 v221, v1, v201 offset:4
	s_mov_b32 s2, 0
	s_wait_dscnt 0x2
	v_sub_f32_e32 v220, v223, v220
	ds_bpermute_b32 v223, v1, v201 offset:12
	s_wait_dscnt 0x2
	v_sub_f32_e32 v222, v224, v222
	ds_bpermute_b32 v224, v1, v201 offset:16
	;; [unrolled: 3-line block ×16, first 2 shown]
	s_wait_dscnt 0x1
	v_sub_f32_e32 v234, v236, v234
	scratch_load_b32 v236, off, off offset:292 th:TH_LOAD_LU ; 4-byte Folded Reload
	s_wait_dscnt 0x0
	v_sub_f32_e32 v208, v208, v237
	ds_bpermute_b32 v237, v1, v201 offset:80
	s_wait_dscnt 0x0
	v_sub_f32_e32 v207, v207, v237
	ds_bpermute_b32 v237, v1, v201 offset:84
	;; [unrolled: 3-line block ×11, first 2 shown]
	s_wait_dscnt 0x0
	v_sub_f32_e32 v217, v217, v237
	s_wait_loadcnt 0x0
	v_sub_f32_e32 v235, v236, v235
	ds_bpermute_b32 v236, v1, v201 offset:64
	ds_bpermute_b32 v201, v1, v201 offset:124
	s_wait_dscnt 0x1
	v_sub_f32_e32 v236, v239, v236
	s_wait_dscnt 0x0
	v_sub_f32_e32 v201, v219, v201
	v_add_f32_e32 v219, v238, v2
	s_delay_alu instid0(VALU_DEP_1) | instskip(SKIP_1) | instid1(VALU_DEP_2)
	v_dual_mul_f32 v2, v2, v220 :: v_dual_add_f32 v219, v3, v219
	v_mul_f32_e32 v3, v3, v221
	v_add_f32_e32 v219, v4, v219
	s_delay_alu instid0(VALU_DEP_1) | instskip(SKIP_1) | instid1(VALU_DEP_2)
	v_dual_mul_f32 v4, v4, v222 :: v_dual_add_f32 v219, v5, v219
	v_mul_f32_e32 v5, v5, v223
	;; [unrolled: 4-line block ×8, first 2 shown]
	v_add_f32_e32 v219, v18, v219
	s_delay_alu instid0(VALU_DEP_1) | instskip(SKIP_1) | instid1(VALU_DEP_2)
	v_dual_mul_f32 v18, v18, v236 :: v_dual_add_f32 v219, v19, v219
	v_dual_mul_f32 v19, v19, v206 :: v_dual_mul_f32 v206, v33, v201
	v_add_f32_e32 v219, v20, v219
	v_mul_f32_e32 v20, v20, v203
	s_delay_alu instid0(VALU_DEP_2) | instskip(SKIP_1) | instid1(VALU_DEP_2)
	v_add_f32_e32 v219, v21, v219
	v_mul_f32_e32 v21, v21, v208
	v_add_f32_e32 v219, v22, v219
	v_mul_f32_e32 v22, v22, v207
	s_delay_alu instid0(VALU_DEP_2) | instskip(SKIP_1) | instid1(VALU_DEP_2)
	v_add_f32_e32 v219, v23, v219
	v_mul_f32_e32 v23, v23, v210
	v_add_f32_e32 v219, v24, v219
	s_delay_alu instid0(VALU_DEP_1) | instskip(SKIP_1) | instid1(VALU_DEP_2)
	v_dual_mul_f32 v24, v24, v209 :: v_dual_add_f32 v219, v25, v219
	v_mul_f32_e32 v25, v25, v212
	v_add_f32_e32 v219, v26, v219
	v_mul_f32_e32 v26, v26, v211
	s_delay_alu instid0(VALU_DEP_2) | instskip(SKIP_1) | instid1(VALU_DEP_2)
	v_add_f32_e32 v219, v27, v219
	v_mul_f32_e32 v27, v27, v214
	v_add_f32_e32 v219, v28, v219
	s_delay_alu instid0(VALU_DEP_1) | instskip(SKIP_1) | instid1(VALU_DEP_2)
	v_dual_mul_f32 v28, v28, v213 :: v_dual_add_f32 v219, v29, v219
	v_mul_f32_e32 v29, v29, v216
	v_add_f32_e32 v203, v30, v219
	v_mul_f32_e32 v30, v30, v215
	s_delay_alu instid0(VALU_DEP_2) | instskip(SKIP_1) | instid1(VALU_DEP_2)
	v_add_f32_e32 v203, v31, v203
	v_mul_f32_e32 v31, v31, v218
	v_add_f32_e32 v203, v32, v203
	s_delay_alu instid0(VALU_DEP_1)
	v_dual_mul_f32 v32, v32, v217 :: v_dual_add_f32 v201, v33, v203
	ds_bpermute_b32 v33, v1, v204
	s_wait_dscnt 0x0
	v_fma_f32 v203, v2, v33, v205
	ds_bpermute_b32 v2, v1, v204 offset:4
	s_wait_dscnt 0x0
	v_fmac_f32_e32 v203, v3, v2
	ds_bpermute_b32 v2, v1, v204 offset:8
	ds_bpermute_b32 v3, v1, v204 offset:112
	s_wait_dscnt 0x1
	v_fmac_f32_e32 v203, v4, v2
	ds_bpermute_b32 v2, v1, v204 offset:12
	;; [unrolled: 4-line block ×4, first 2 shown]
	s_wait_dscnt 0x0
	v_fmac_f32_e32 v203, v7, v2
	ds_bpermute_b32 v2, v1, v204 offset:24
	s_wait_dscnt 0x0
	v_fmac_f32_e32 v203, v8, v2
	ds_bpermute_b32 v2, v1, v204 offset:28
	;; [unrolled: 3-line block ×23, first 2 shown]
	v_fmac_f32_e32 v203, v30, v3
	s_wait_dscnt 0x0
	s_delay_alu instid0(VALU_DEP_1) | instskip(NEXT) | instid1(VALU_DEP_1)
	v_fmac_f32_e32 v203, v31, v2
	v_fmac_f32_e32 v203, v32, v4
	s_delay_alu instid0(VALU_DEP_1)
	v_fmac_f32_e32 v203, v206, v5
.LBB107_213:                            ;   in Loop: Header=BB107_145 Depth=1
	s_wait_alu 0xfffe
	s_and_b32 vcc_lo, exec_lo, s2
	s_wait_alu 0xfffe
	s_cbranch_vccz .LBB107_217
; %bb.214:                              ;   in Loop: Header=BB107_145 Depth=1
	s_load_b32 s2, s[10:11], 0x0
	v_dual_mov_b32 v4, 0 :: v_dual_mov_b32 v5, 0
	s_wait_kmcnt 0x0
	s_cmp_lt_u32 ttmp9, s2
	s_cselect_b32 s2, 12, 18
	s_wait_alu 0xfffe
	s_add_nc_u64 s[24:25], s[10:11], s[2:3]
	s_load_u16 s2, s[24:25], 0x0
	s_clause 0x1
	scratch_load_b32 v2, off, off offset:296
	scratch_load_b32 v3, off, off offset:300
	s_wait_loadcnt 0x0
	s_wait_kmcnt 0x0
	v_mad_u32_u24 v2, v2, s2, v3
	s_mov_b32 s2, exec_lo
	s_delay_alu instid0(VALU_DEP_1) | instskip(NEXT) | instid1(VALU_DEP_1)
	v_and_b32_e32 v2, 31, v2
	v_add_co_u32 v2, vcc_lo, v160, v2
	s_wait_alu 0xfffd
	v_add_co_ci_u32_e64 v3, null, 0, v161, vcc_lo
	s_delay_alu instid0(VALU_DEP_1)
	v_cmpx_gt_i64_e64 s[4:5], v[2:3]
	s_cbranch_execz .LBB107_216
; %bb.215:                              ;   in Loop: Header=BB107_145 Depth=1
	v_lshlrev_b64_e32 v[2:3], 2, v[2:3]
	s_delay_alu instid0(VALU_DEP_1) | instskip(SKIP_1) | instid1(VALU_DEP_2)
	v_add_co_u32 v4, vcc_lo, s12, v2
	s_wait_alu 0xfffd
	v_add_co_ci_u32_e64 v5, null, s13, v3, vcc_lo
	v_add_co_u32 v2, vcc_lo, s14, v2
	s_wait_alu 0xfffd
	v_add_co_ci_u32_e64 v3, null, s15, v3, vcc_lo
	global_load_b32 v5, v[4:5], off
	global_load_b32 v4, v[2:3], off
.LBB107_216:                            ;   in Loop: Header=BB107_145 Depth=1
	s_wait_alu 0xfffe
	s_or_b32 exec_lo, exec_lo, s2
	v_add_co_u32 v2, vcc_lo, v166, v158
	s_wait_alu 0xfffd
	v_add_co_ci_u32_e64 v3, null, v167, v159, vcc_lo
	global_load_u16 v6, v[2:3], off
	v_add_co_u32 v2, vcc_lo, v164, v158
	s_wait_alu 0xfffd
	v_add_co_ci_u32_e64 v3, null, v165, v159, vcc_lo
	global_load_u16 v2, v[2:3], off
	s_wait_loadcnt 0x1
	v_lshlrev_b32_e32 v3, 16, v6
	ds_bpermute_b32 v6, v1, v5
	s_wait_loadcnt 0x0
	v_lshlrev_b32_e32 v2, 16, v2
	s_wait_dscnt 0x0
	v_sub_f32_e32 v3, v3, v6
	ds_bpermute_b32 v6, v1, v4
	v_mul_f32_e32 v3, v3, v2
	s_wait_dscnt 0x0
	s_delay_alu instid0(VALU_DEP_1)
	v_fmac_f32_e32 v205, v3, v6
	v_add_co_u32 v6, vcc_lo, v42, v158
	s_wait_alu 0xfffd
	v_add_co_ci_u32_e64 v7, null, v43, v159, vcc_lo
	global_load_u16 v3, v[6:7], off
	v_add_co_u32 v6, vcc_lo, v34, v158
	s_wait_alu 0xfffd
	v_add_co_ci_u32_e64 v7, null, v35, v159, vcc_lo
	global_load_u16 v6, v[6:7], off
	ds_bpermute_b32 v7, v1, v5 offset:4
	s_wait_loadcnt 0x1
	v_lshlrev_b32_e32 v3, 16, v3
	s_wait_dscnt 0x0
	s_delay_alu instid0(VALU_DEP_1) | instskip(SKIP_2) | instid1(VALU_DEP_1)
	v_dual_sub_f32 v7, v3, v7 :: v_dual_add_f32 v2, v238, v2
	s_wait_loadcnt 0x0
	v_lshlrev_b32_e32 v3, 16, v6
	v_mul_f32_e32 v6, v7, v3
	ds_bpermute_b32 v7, v1, v4 offset:4
	s_wait_dscnt 0x0
	v_fmac_f32_e32 v205, v6, v7
	v_add_co_u32 v6, vcc_lo, v46, v158
	s_wait_alu 0xfffd
	v_add_co_ci_u32_e64 v7, null, v47, v159, vcc_lo
	global_load_u16 v8, v[6:7], off
	v_add_co_u32 v6, vcc_lo, v36, v158
	s_wait_alu 0xfffd
	v_add_co_ci_u32_e64 v7, null, v37, v159, vcc_lo
	global_load_u16 v6, v[6:7], off
	s_wait_loadcnt 0x1
	v_lshlrev_b32_e32 v7, 16, v8
	ds_bpermute_b32 v8, v1, v5 offset:8
	s_wait_loadcnt_dscnt 0x0
	v_dual_sub_f32 v7, v7, v8 :: v_dual_lshlrev_b32 v6, 16, v6
	ds_bpermute_b32 v8, v1, v4 offset:8
	v_mul_f32_e32 v7, v7, v6
	s_wait_dscnt 0x0
	s_delay_alu instid0(VALU_DEP_1)
	v_fmac_f32_e32 v205, v7, v8
	v_add_co_u32 v7, vcc_lo, v48, v158
	s_wait_alu 0xfffd
	v_add_co_ci_u32_e64 v8, null, v49, v159, vcc_lo
	global_load_u16 v9, v[7:8], off
	v_add_co_u32 v7, vcc_lo, v38, v158
	s_wait_alu 0xfffd
	v_add_co_ci_u32_e64 v8, null, v39, v159, vcc_lo
	global_load_u16 v7, v[7:8], off
	s_wait_loadcnt 0x1
	v_lshlrev_b32_e32 v8, 16, v9
	ds_bpermute_b32 v9, v1, v5 offset:12
	s_wait_loadcnt_dscnt 0x0
	v_dual_sub_f32 v8, v8, v9 :: v_dual_lshlrev_b32 v7, 16, v7
	ds_bpermute_b32 v9, v1, v4 offset:12
	v_mul_f32_e32 v8, v8, v7
	s_wait_dscnt 0x0
	s_delay_alu instid0(VALU_DEP_1)
	;; [unrolled: 18-line block ×3, first 2 shown]
	v_fmac_f32_e32 v205, v9, v10
	v_add_co_u32 v9, vcc_lo, v54, v158
	s_wait_alu 0xfffd
	v_add_co_ci_u32_e64 v10, null, v55, v159, vcc_lo
	global_load_u16 v11, v[9:10], off
	v_add_co_u32 v9, vcc_lo, v44, v158
	s_wait_alu 0xfffd
	v_add_co_ci_u32_e64 v10, null, v45, v159, vcc_lo
	global_load_u16 v9, v[9:10], off
	s_wait_loadcnt 0x1
	v_lshlrev_b32_e32 v10, 16, v11
	ds_bpermute_b32 v11, v1, v5 offset:20
	s_wait_loadcnt_dscnt 0x0
	v_dual_sub_f32 v10, v10, v11 :: v_dual_lshlrev_b32 v9, 16, v9
	ds_bpermute_b32 v11, v1, v4 offset:20
	v_add_f32_e32 v2, v2, v3
	v_mul_f32_e32 v10, v10, v9
	s_delay_alu instid0(VALU_DEP_2) | instskip(SKIP_1) | instid1(VALU_DEP_2)
	v_add_f32_e32 v2, v2, v6
	s_wait_dscnt 0x0
	v_fmac_f32_e32 v205, v10, v11
	v_add_co_u32 v10, vcc_lo, v56, v158
	s_wait_alu 0xfffd
	v_add_co_ci_u32_e64 v11, null, v57, v159, vcc_lo
	global_load_u16 v12, v[10:11], off
	v_add_co_u32 v10, vcc_lo, v52, v158
	s_wait_alu 0xfffd
	v_add_co_ci_u32_e64 v11, null, v53, v159, vcc_lo
	global_load_u16 v10, v[10:11], off
	s_wait_loadcnt 0x1
	v_lshlrev_b32_e32 v11, 16, v12
	ds_bpermute_b32 v12, v1, v5 offset:24
	s_wait_loadcnt_dscnt 0x0
	v_dual_sub_f32 v11, v11, v12 :: v_dual_lshlrev_b32 v10, 16, v10
	ds_bpermute_b32 v12, v1, v4 offset:24
	v_mul_f32_e32 v11, v11, v10
	s_wait_dscnt 0x0
	s_delay_alu instid0(VALU_DEP_1)
	v_fmac_f32_e32 v205, v11, v12
	v_add_co_u32 v11, vcc_lo, v60, v158
	s_wait_alu 0xfffd
	v_add_co_ci_u32_e64 v12, null, v61, v159, vcc_lo
	global_load_u16 v13, v[11:12], off
	v_add_co_u32 v11, vcc_lo, v58, v158
	s_wait_alu 0xfffd
	v_add_co_ci_u32_e64 v12, null, v59, v159, vcc_lo
	global_load_u16 v11, v[11:12], off
	s_wait_loadcnt 0x1
	v_lshlrev_b32_e32 v12, 16, v13
	ds_bpermute_b32 v13, v1, v5 offset:28
	s_wait_loadcnt_dscnt 0x0
	v_dual_sub_f32 v12, v12, v13 :: v_dual_lshlrev_b32 v11, 16, v11
	ds_bpermute_b32 v13, v1, v4 offset:28
	v_add_f32_e32 v2, v2, v7
	v_mul_f32_e32 v12, v12, v11
	s_wait_dscnt 0x0
	s_delay_alu instid0(VALU_DEP_1)
	v_dual_add_f32 v2, v2, v8 :: v_dual_fmac_f32 v205, v12, v13
	v_add_co_u32 v12, vcc_lo, v64, v158
	s_wait_alu 0xfffd
	v_add_co_ci_u32_e64 v13, null, v65, v159, vcc_lo
	global_load_u16 v14, v[12:13], off
	v_add_co_u32 v12, vcc_lo, v62, v158
	s_wait_alu 0xfffd
	v_add_co_ci_u32_e64 v13, null, v63, v159, vcc_lo
	global_load_u16 v12, v[12:13], off
	s_wait_loadcnt 0x1
	v_lshlrev_b32_e32 v13, 16, v14
	ds_bpermute_b32 v14, v1, v5 offset:32
	s_wait_loadcnt_dscnt 0x0
	v_dual_sub_f32 v13, v13, v14 :: v_dual_lshlrev_b32 v12, 16, v12
	ds_bpermute_b32 v14, v1, v4 offset:32
	v_mul_f32_e32 v13, v13, v12
	s_wait_dscnt 0x0
	s_delay_alu instid0(VALU_DEP_1)
	v_fmac_f32_e32 v205, v13, v14
	v_add_co_u32 v13, vcc_lo, v68, v158
	s_wait_alu 0xfffd
	v_add_co_ci_u32_e64 v14, null, v69, v159, vcc_lo
	global_load_u16 v15, v[13:14], off
	v_add_co_u32 v13, vcc_lo, v66, v158
	s_wait_alu 0xfffd
	v_add_co_ci_u32_e64 v14, null, v67, v159, vcc_lo
	global_load_u16 v13, v[13:14], off
	s_wait_loadcnt 0x1
	v_lshlrev_b32_e32 v14, 16, v15
	ds_bpermute_b32 v15, v1, v5 offset:36
	s_wait_loadcnt_dscnt 0x0
	v_dual_sub_f32 v14, v14, v15 :: v_dual_lshlrev_b32 v13, 16, v13
	ds_bpermute_b32 v15, v1, v4 offset:36
	v_mul_f32_e32 v14, v14, v13
	s_wait_dscnt 0x0
	s_delay_alu instid0(VALU_DEP_1)
	v_fmac_f32_e32 v205, v14, v15
	v_add_co_u32 v14, vcc_lo, v72, v158
	s_wait_alu 0xfffd
	v_add_co_ci_u32_e64 v15, null, v73, v159, vcc_lo
	global_load_u16 v16, v[14:15], off
	v_add_co_u32 v14, vcc_lo, v70, v158
	s_wait_alu 0xfffd
	v_add_co_ci_u32_e64 v15, null, v71, v159, vcc_lo
	global_load_u16 v14, v[14:15], off
	s_wait_loadcnt 0x1
	v_lshlrev_b32_e32 v15, 16, v16
	ds_bpermute_b32 v16, v1, v5 offset:40
	s_wait_loadcnt_dscnt 0x0
	v_dual_sub_f32 v15, v15, v16 :: v_dual_lshlrev_b32 v16, 16, v14
	s_delay_alu instid0(VALU_DEP_1) | instskip(SKIP_2) | instid1(VALU_DEP_1)
	v_mul_f32_e32 v14, v15, v16
	ds_bpermute_b32 v15, v1, v4 offset:40
	v_add_f32_e32 v2, v2, v9
	v_add_f32_e32 v2, v2, v10
	s_wait_dscnt 0x0
	v_fmac_f32_e32 v205, v14, v15
	v_add_co_u32 v14, vcc_lo, v76, v158
	s_wait_alu 0xfffd
	v_add_co_ci_u32_e64 v15, null, v77, v159, vcc_lo
	global_load_u16 v17, v[14:15], off
	v_add_co_u32 v14, vcc_lo, v74, v158
	s_wait_alu 0xfffd
	v_add_co_ci_u32_e64 v15, null, v75, v159, vcc_lo
	global_load_u16 v14, v[14:15], off
	s_wait_loadcnt 0x1
	v_lshlrev_b32_e32 v15, 16, v17
	ds_bpermute_b32 v17, v1, v5 offset:44
	s_wait_dscnt 0x0
	v_sub_f32_e32 v15, v15, v17
	s_wait_loadcnt 0x0
	v_lshlrev_b32_e32 v17, 16, v14
	s_delay_alu instid0(VALU_DEP_1)
	v_mul_f32_e32 v14, v15, v17
	ds_bpermute_b32 v15, v1, v4 offset:44
	s_wait_dscnt 0x0
	v_fmac_f32_e32 v205, v14, v15
	v_add_co_u32 v14, vcc_lo, v80, v158
	s_wait_alu 0xfffd
	v_add_co_ci_u32_e64 v15, null, v81, v159, vcc_lo
	global_load_u16 v18, v[14:15], off
	v_add_co_u32 v14, vcc_lo, v78, v158
	s_wait_alu 0xfffd
	v_add_co_ci_u32_e64 v15, null, v79, v159, vcc_lo
	global_load_u16 v14, v[14:15], off
	s_wait_loadcnt 0x1
	v_lshlrev_b32_e32 v15, 16, v18
	ds_bpermute_b32 v18, v1, v5 offset:48
	s_wait_dscnt 0x0
	v_sub_f32_e32 v15, v15, v18
	s_wait_loadcnt 0x0
	v_lshlrev_b32_e32 v18, 16, v14
	s_delay_alu instid0(VALU_DEP_1) | instskip(SKIP_2) | instid1(VALU_DEP_1)
	v_mul_f32_e32 v14, v15, v18
	ds_bpermute_b32 v15, v1, v4 offset:48
	v_add_f32_e32 v2, v2, v11
	v_add_f32_e32 v2, v2, v12
	s_wait_dscnt 0x0
	v_fmac_f32_e32 v205, v14, v15
	v_add_co_u32 v14, vcc_lo, v84, v158
	s_wait_alu 0xfffd
	v_add_co_ci_u32_e64 v15, null, v85, v159, vcc_lo
	global_load_u16 v19, v[14:15], off
	v_add_co_u32 v14, vcc_lo, v82, v158
	s_wait_alu 0xfffd
	v_add_co_ci_u32_e64 v15, null, v83, v159, vcc_lo
	global_load_u16 v14, v[14:15], off
	s_wait_loadcnt 0x1
	v_lshlrev_b32_e32 v15, 16, v19
	ds_bpermute_b32 v19, v1, v5 offset:52
	s_wait_dscnt 0x0
	v_sub_f32_e32 v15, v15, v19
	s_wait_loadcnt 0x0
	v_lshlrev_b32_e32 v19, 16, v14
	s_delay_alu instid0(VALU_DEP_1)
	v_mul_f32_e32 v14, v15, v19
	ds_bpermute_b32 v15, v1, v4 offset:52
	s_wait_dscnt 0x0
	v_fmac_f32_e32 v205, v14, v15
	v_add_co_u32 v14, vcc_lo, v88, v158
	s_wait_alu 0xfffd
	v_add_co_ci_u32_e64 v15, null, v89, v159, vcc_lo
	global_load_u16 v20, v[14:15], off
	v_add_co_u32 v14, vcc_lo, v86, v158
	s_wait_alu 0xfffd
	v_add_co_ci_u32_e64 v15, null, v87, v159, vcc_lo
	global_load_u16 v14, v[14:15], off
	s_wait_loadcnt 0x1
	v_lshlrev_b32_e32 v15, 16, v20
	ds_bpermute_b32 v20, v1, v5 offset:56
	s_wait_loadcnt_dscnt 0x0
	v_dual_sub_f32 v15, v15, v20 :: v_dual_lshlrev_b32 v20, 16, v14
	s_delay_alu instid0(VALU_DEP_1)
	v_mul_f32_e32 v14, v15, v20
	ds_bpermute_b32 v15, v1, v4 offset:56
	s_wait_dscnt 0x0
	v_fmac_f32_e32 v205, v14, v15
	v_add_co_u32 v14, vcc_lo, v92, v158
	s_wait_alu 0xfffd
	v_add_co_ci_u32_e64 v15, null, v93, v159, vcc_lo
	global_load_u16 v21, v[14:15], off
	v_add_co_u32 v14, vcc_lo, v90, v158
	s_wait_alu 0xfffd
	v_add_co_ci_u32_e64 v15, null, v91, v159, vcc_lo
	global_load_u16 v14, v[14:15], off
	s_wait_loadcnt 0x1
	v_lshlrev_b32_e32 v15, 16, v21
	ds_bpermute_b32 v21, v1, v5 offset:60
	s_wait_dscnt 0x0
	v_sub_f32_e32 v15, v15, v21
	s_wait_loadcnt 0x0
	v_lshlrev_b32_e32 v21, 16, v14
	s_delay_alu instid0(VALU_DEP_1)
	v_mul_f32_e32 v14, v15, v21
	ds_bpermute_b32 v15, v1, v4 offset:60
	s_wait_dscnt 0x0
	v_fmac_f32_e32 v205, v14, v15
	v_add_co_u32 v14, vcc_lo, v96, v158
	s_wait_alu 0xfffd
	v_add_co_ci_u32_e64 v15, null, v97, v159, vcc_lo
	global_load_u16 v22, v[14:15], off
	v_add_co_u32 v14, vcc_lo, v94, v158
	s_wait_alu 0xfffd
	v_add_co_ci_u32_e64 v15, null, v95, v159, vcc_lo
	global_load_u16 v14, v[14:15], off
	s_wait_loadcnt 0x1
	v_lshlrev_b32_e32 v15, 16, v22
	ds_bpermute_b32 v22, v1, v5 offset:64
	s_wait_dscnt 0x0
	v_sub_f32_e32 v15, v15, v22
	s_wait_loadcnt 0x0
	v_lshlrev_b32_e32 v22, 16, v14
	s_delay_alu instid0(VALU_DEP_1) | instskip(SKIP_2) | instid1(VALU_DEP_1)
	v_mul_f32_e32 v14, v15, v22
	ds_bpermute_b32 v15, v1, v4 offset:64
	v_add_f32_e32 v2, v2, v13
	v_add_f32_e32 v2, v2, v16
	s_wait_dscnt 0x0
	v_fmac_f32_e32 v205, v14, v15
	v_add_co_u32 v14, vcc_lo, v100, v158
	s_wait_alu 0xfffd
	v_add_co_ci_u32_e64 v15, null, v101, v159, vcc_lo
	global_load_u16 v23, v[14:15], off
	v_add_co_u32 v14, vcc_lo, v98, v158
	s_wait_alu 0xfffd
	v_add_co_ci_u32_e64 v15, null, v99, v159, vcc_lo
	global_load_u16 v14, v[14:15], off
	s_wait_loadcnt 0x1
	v_lshlrev_b32_e32 v15, 16, v23
	ds_bpermute_b32 v23, v1, v5 offset:68
	s_wait_dscnt 0x0
	v_sub_f32_e32 v15, v15, v23
	s_wait_loadcnt 0x0
	v_lshlrev_b32_e32 v23, 16, v14
	s_delay_alu instid0(VALU_DEP_1)
	v_mul_f32_e32 v14, v15, v23
	ds_bpermute_b32 v15, v1, v4 offset:68
	s_wait_dscnt 0x0
	v_fmac_f32_e32 v205, v14, v15
	v_add_co_u32 v14, vcc_lo, v104, v158
	s_wait_alu 0xfffd
	v_add_co_ci_u32_e64 v15, null, v105, v159, vcc_lo
	global_load_u16 v24, v[14:15], off
	v_add_co_u32 v14, vcc_lo, v102, v158
	s_wait_alu 0xfffd
	v_add_co_ci_u32_e64 v15, null, v103, v159, vcc_lo
	global_load_u16 v14, v[14:15], off
	s_wait_loadcnt 0x1
	v_lshlrev_b32_e32 v15, 16, v24
	ds_bpermute_b32 v24, v1, v5 offset:72
	s_wait_loadcnt_dscnt 0x0
	v_dual_sub_f32 v15, v15, v24 :: v_dual_lshlrev_b32 v24, 16, v14
	s_delay_alu instid0(VALU_DEP_1)
	v_mul_f32_e32 v14, v15, v24
	ds_bpermute_b32 v15, v1, v4 offset:72
	s_wait_dscnt 0x0
	v_fmac_f32_e32 v205, v14, v15
	v_add_co_u32 v14, vcc_lo, v108, v158
	s_wait_alu 0xfffd
	v_add_co_ci_u32_e64 v15, null, v109, v159, vcc_lo
	global_load_u16 v25, v[14:15], off
	v_add_co_u32 v14, vcc_lo, v106, v158
	s_wait_alu 0xfffd
	v_add_co_ci_u32_e64 v15, null, v107, v159, vcc_lo
	global_load_u16 v14, v[14:15], off
	s_wait_loadcnt 0x1
	v_lshlrev_b32_e32 v15, 16, v25
	ds_bpermute_b32 v25, v1, v5 offset:76
	s_wait_dscnt 0x0
	v_sub_f32_e32 v15, v15, v25
	s_wait_loadcnt 0x0
	v_lshlrev_b32_e32 v25, 16, v14
	s_delay_alu instid0(VALU_DEP_1) | instskip(SKIP_2) | instid1(VALU_DEP_1)
	v_mul_f32_e32 v14, v15, v25
	ds_bpermute_b32 v15, v1, v4 offset:76
	v_add_f32_e32 v2, v2, v17
	v_add_f32_e32 v2, v2, v18
	s_wait_dscnt 0x0
	v_fmac_f32_e32 v205, v14, v15
	v_add_co_u32 v14, vcc_lo, v112, v158
	s_wait_alu 0xfffd
	v_add_co_ci_u32_e64 v15, null, v113, v159, vcc_lo
	global_load_u16 v26, v[14:15], off
	v_add_co_u32 v14, vcc_lo, v110, v158
	s_wait_alu 0xfffd
	v_add_co_ci_u32_e64 v15, null, v111, v159, vcc_lo
	global_load_u16 v14, v[14:15], off
	s_wait_loadcnt 0x1
	v_lshlrev_b32_e32 v15, 16, v26
	ds_bpermute_b32 v26, v1, v5 offset:80
	s_wait_dscnt 0x0
	v_sub_f32_e32 v15, v15, v26
	s_wait_loadcnt 0x0
	v_lshlrev_b32_e32 v26, 16, v14
	s_delay_alu instid0(VALU_DEP_1)
	v_mul_f32_e32 v14, v15, v26
	ds_bpermute_b32 v15, v1, v4 offset:80
	s_wait_dscnt 0x0
	v_fmac_f32_e32 v205, v14, v15
	v_add_co_u32 v14, vcc_lo, v116, v158
	s_wait_alu 0xfffd
	v_add_co_ci_u32_e64 v15, null, v117, v159, vcc_lo
	global_load_u16 v27, v[14:15], off
	v_add_co_u32 v14, vcc_lo, v114, v158
	s_wait_alu 0xfffd
	v_add_co_ci_u32_e64 v15, null, v115, v159, vcc_lo
	global_load_u16 v14, v[14:15], off
	s_wait_loadcnt 0x1
	v_lshlrev_b32_e32 v15, 16, v27
	ds_bpermute_b32 v27, v1, v5 offset:84
	s_wait_dscnt 0x0
	v_sub_f32_e32 v15, v15, v27
	s_wait_loadcnt 0x0
	v_lshlrev_b32_e32 v27, 16, v14
	s_delay_alu instid0(VALU_DEP_1) | instskip(SKIP_2) | instid1(VALU_DEP_1)
	v_mul_f32_e32 v14, v15, v27
	ds_bpermute_b32 v15, v1, v4 offset:84
	v_add_f32_e32 v2, v2, v19
	v_add_f32_e32 v2, v2, v20
	s_wait_dscnt 0x0
	v_fmac_f32_e32 v205, v14, v15
	v_add_co_u32 v14, vcc_lo, v120, v158
	s_wait_alu 0xfffd
	v_add_co_ci_u32_e64 v15, null, v121, v159, vcc_lo
	global_load_u16 v28, v[14:15], off
	v_add_co_u32 v14, vcc_lo, v118, v158
	s_wait_alu 0xfffd
	v_add_co_ci_u32_e64 v15, null, v119, v159, vcc_lo
	global_load_u16 v14, v[14:15], off
	s_wait_loadcnt 0x1
	v_lshlrev_b32_e32 v15, 16, v28
	ds_bpermute_b32 v28, v1, v5 offset:88
	s_wait_loadcnt_dscnt 0x0
	v_dual_sub_f32 v15, v15, v28 :: v_dual_lshlrev_b32 v28, 16, v14
	s_delay_alu instid0(VALU_DEP_1)
	v_mul_f32_e32 v14, v15, v28
	ds_bpermute_b32 v15, v1, v4 offset:88
	s_wait_dscnt 0x0
	v_fmac_f32_e32 v205, v14, v15
	v_add_co_u32 v14, vcc_lo, v124, v158
	s_wait_alu 0xfffd
	v_add_co_ci_u32_e64 v15, null, v125, v159, vcc_lo
	global_load_u16 v29, v[14:15], off
	v_add_co_u32 v14, vcc_lo, v122, v158
	s_wait_alu 0xfffd
	v_add_co_ci_u32_e64 v15, null, v123, v159, vcc_lo
	global_load_u16 v14, v[14:15], off
	s_wait_loadcnt 0x1
	v_lshlrev_b32_e32 v15, 16, v29
	ds_bpermute_b32 v29, v1, v5 offset:92
	s_wait_dscnt 0x0
	v_sub_f32_e32 v15, v15, v29
	s_wait_loadcnt 0x0
	v_lshlrev_b32_e32 v29, 16, v14
	s_delay_alu instid0(VALU_DEP_1)
	v_mul_f32_e32 v14, v15, v29
	ds_bpermute_b32 v15, v1, v4 offset:92
	s_wait_dscnt 0x0
	v_fmac_f32_e32 v205, v14, v15
	v_add_co_u32 v14, vcc_lo, v128, v158
	s_wait_alu 0xfffd
	v_add_co_ci_u32_e64 v15, null, v129, v159, vcc_lo
	global_load_u16 v30, v[14:15], off
	v_add_co_u32 v14, vcc_lo, v126, v158
	s_wait_alu 0xfffd
	v_add_co_ci_u32_e64 v15, null, v127, v159, vcc_lo
	global_load_u16 v14, v[14:15], off
	s_wait_loadcnt 0x1
	v_lshlrev_b32_e32 v15, 16, v30
	ds_bpermute_b32 v30, v1, v5 offset:96
	s_wait_dscnt 0x0
	v_sub_f32_e32 v15, v15, v30
	s_wait_loadcnt 0x0
	v_lshlrev_b32_e32 v30, 16, v14
	;; [unrolled: 20-line block ×3, first 2 shown]
	s_delay_alu instid0(VALU_DEP_1) | instskip(SKIP_2) | instid1(VALU_DEP_1)
	v_mul_f32_e32 v14, v15, v31
	ds_bpermute_b32 v15, v1, v4 offset:100
	v_add_f32_e32 v2, v2, v21
	v_add_f32_e32 v2, v2, v22
	s_wait_dscnt 0x0
	v_fmac_f32_e32 v205, v14, v15
	v_add_co_u32 v14, vcc_lo, v136, v158
	s_wait_alu 0xfffd
	v_add_co_ci_u32_e64 v15, null, v137, v159, vcc_lo
	global_load_u16 v32, v[14:15], off
	v_add_co_u32 v14, vcc_lo, v134, v158
	s_wait_alu 0xfffd
	v_add_co_ci_u32_e64 v15, null, v135, v159, vcc_lo
	global_load_u16 v14, v[14:15], off
	s_wait_loadcnt 0x1
	v_lshlrev_b32_e32 v15, 16, v32
	ds_bpermute_b32 v32, v1, v5 offset:104
	s_wait_loadcnt_dscnt 0x0
	v_dual_sub_f32 v15, v15, v32 :: v_dual_lshlrev_b32 v32, 16, v14
	s_delay_alu instid0(VALU_DEP_1)
	v_mul_f32_e32 v14, v15, v32
	ds_bpermute_b32 v15, v1, v4 offset:104
	s_wait_dscnt 0x0
	v_fmac_f32_e32 v205, v14, v15
	v_add_co_u32 v14, vcc_lo, v140, v158
	s_wait_alu 0xfffd
	v_add_co_ci_u32_e64 v15, null, v141, v159, vcc_lo
	global_load_u16 v33, v[14:15], off
	v_add_co_u32 v14, vcc_lo, v138, v158
	s_wait_alu 0xfffd
	v_add_co_ci_u32_e64 v15, null, v139, v159, vcc_lo
	global_load_u16 v14, v[14:15], off
	s_wait_loadcnt 0x1
	v_lshlrev_b32_e32 v15, 16, v33
	ds_bpermute_b32 v33, v1, v5 offset:108
	s_wait_dscnt 0x0
	v_sub_f32_e32 v15, v15, v33
	s_wait_loadcnt 0x0
	v_lshlrev_b32_e32 v33, 16, v14
	s_delay_alu instid0(VALU_DEP_1)
	v_mul_f32_e32 v14, v15, v33
	ds_bpermute_b32 v15, v1, v4 offset:108
	s_wait_dscnt 0x0
	v_fmac_f32_e32 v205, v14, v15
	v_add_co_u32 v14, vcc_lo, v144, v158
	s_wait_alu 0xfffd
	v_add_co_ci_u32_e64 v15, null, v145, v159, vcc_lo
	global_load_u16 v160, v[14:15], off
	v_add_co_u32 v14, vcc_lo, v142, v158
	s_wait_alu 0xfffd
	v_add_co_ci_u32_e64 v15, null, v143, v159, vcc_lo
	global_load_u16 v14, v[14:15], off
	s_wait_loadcnt 0x1
	v_lshlrev_b32_e32 v15, 16, v160
	ds_bpermute_b32 v160, v1, v5 offset:112
	s_wait_loadcnt_dscnt 0x0
	v_dual_sub_f32 v15, v15, v160 :: v_dual_lshlrev_b32 v160, 16, v14
	s_delay_alu instid0(VALU_DEP_1) | instskip(SKIP_2) | instid1(VALU_DEP_1)
	v_mul_f32_e32 v14, v15, v160
	ds_bpermute_b32 v15, v1, v4 offset:112
	v_add_f32_e32 v2, v2, v23
	v_add_f32_e32 v2, v2, v24
	s_delay_alu instid0(VALU_DEP_1) | instskip(NEXT) | instid1(VALU_DEP_1)
	v_add_f32_e32 v2, v2, v25
	v_add_f32_e32 v2, v2, v26
	s_wait_dscnt 0x0
	v_fmac_f32_e32 v205, v14, v15
	v_add_co_u32 v14, vcc_lo, v148, v158
	s_wait_alu 0xfffd
	v_add_co_ci_u32_e64 v15, null, v149, v159, vcc_lo
	v_add_f32_e32 v2, v2, v27
	global_load_u16 v161, v[14:15], off
	v_add_co_u32 v14, vcc_lo, v146, v158
	s_wait_alu 0xfffd
	v_add_co_ci_u32_e64 v15, null, v147, v159, vcc_lo
	v_add_f32_e32 v2, v2, v28
	global_load_u16 v14, v[14:15], off
	v_add_f32_e32 v2, v2, v29
	s_delay_alu instid0(VALU_DEP_1) | instskip(NEXT) | instid1(VALU_DEP_1)
	v_add_f32_e32 v2, v2, v30
	v_add_f32_e32 v2, v2, v31
	s_delay_alu instid0(VALU_DEP_1) | instskip(NEXT) | instid1(VALU_DEP_1)
	v_add_f32_e32 v2, v2, v32
	v_add_f32_e32 v2, v2, v33
	s_wait_loadcnt 0x1
	s_delay_alu instid0(VALU_DEP_1)
	v_dual_add_f32 v2, v2, v160 :: v_dual_lshlrev_b32 v15, 16, v161
	ds_bpermute_b32 v161, v1, v5 offset:116
	s_wait_dscnt 0x0
	v_sub_f32_e32 v15, v15, v161
	s_wait_loadcnt 0x0
	v_lshlrev_b32_e32 v161, 16, v14
	s_delay_alu instid0(VALU_DEP_1)
	v_mul_f32_e32 v14, v15, v161
	ds_bpermute_b32 v15, v1, v4 offset:116
	v_add_f32_e32 v2, v2, v161
	s_wait_dscnt 0x0
	v_fmac_f32_e32 v205, v14, v15
	v_add_co_u32 v14, vcc_lo, v152, v158
	s_wait_alu 0xfffd
	v_add_co_ci_u32_e64 v15, null, v153, v159, vcc_lo
	global_load_u16 v201, v[14:15], off
	v_add_co_u32 v14, vcc_lo, v150, v158
	s_wait_alu 0xfffd
	v_add_co_ci_u32_e64 v15, null, v151, v159, vcc_lo
	global_load_u16 v14, v[14:15], off
	s_wait_loadcnt 0x1
	v_lshlrev_b32_e32 v15, 16, v201
	ds_bpermute_b32 v201, v1, v5 offset:120
	ds_bpermute_b32 v5, v1, v5 offset:124
	s_wait_dscnt 0x1
	v_sub_f32_e32 v15, v15, v201
	s_wait_loadcnt 0x0
	v_lshlrev_b32_e32 v201, 16, v14
	s_delay_alu instid0(VALU_DEP_1)
	v_mul_f32_e32 v14, v15, v201
	ds_bpermute_b32 v15, v1, v4 offset:120
	ds_bpermute_b32 v4, v1, v4 offset:124
	v_add_f32_e32 v2, v2, v201
	s_wait_dscnt 0x1
	v_fmac_f32_e32 v205, v14, v15
	v_add_co_u32 v14, vcc_lo, v156, v158
	s_wait_alu 0xfffd
	v_add_co_ci_u32_e64 v15, null, v157, v159, vcc_lo
	global_load_u16 v203, v[14:15], off
	v_add_co_u32 v14, vcc_lo, v154, v158
	s_wait_alu 0xfffd
	v_add_co_ci_u32_e64 v15, null, v155, v159, vcc_lo
	global_load_u16 v14, v[14:15], off
	s_wait_loadcnt 0x1
	v_lshlrev_b32_e32 v15, 16, v203
	s_wait_loadcnt 0x0
	s_delay_alu instid0(VALU_DEP_1) | instskip(NEXT) | instid1(VALU_DEP_1)
	v_dual_sub_f32 v5, v15, v5 :: v_dual_lshlrev_b32 v14, 16, v14
	v_mul_f32_e32 v5, v5, v14
	v_add_f32_e32 v201, v2, v14
	s_wait_dscnt 0x0
	s_delay_alu instid0(VALU_DEP_2) | instskip(NEXT) | instid1(VALU_DEP_1)
	v_fmac_f32_e32 v205, v5, v4
	v_mov_b32_e32 v203, v205
.LBB107_217:                            ;   in Loop: Header=BB107_145 Depth=1
	scratch_load_b32 v2, off, off           ; 4-byte Folded Reload
	v_add_co_u32 v164, vcc_lo, v164, s18
	s_wait_alu 0xfffd
	v_add_co_ci_u32_e64 v165, null, s19, v165, vcc_lo
	v_add_co_u32 v166, vcc_lo, v166, s18
	s_wait_alu 0xfffd
	v_add_co_ci_u32_e64 v167, null, s19, v167, vcc_lo
	;; [unrolled: 3-line block ×64, first 2 shown]
	s_add_nc_u64 s[22:23], s[22:23], s[8:9]
	s_add_nc_u64 s[20:21], s[20:21], s[8:9]
	s_wait_alu 0xfffe
	v_cmp_ge_i64_e64 s2, s[22:23], s[4:5]
	s_wait_loadcnt 0x0
	v_add_co_u32 v2, vcc_lo, v2, s8
	s_wait_alu 0xfffd
	v_add_co_ci_u32_e64 v202, null, 0, v202, vcc_lo
	scratch_store_b32 off, v2, off          ; 4-byte Folded Spill
	scratch_load_b32 v2, off, off offset:4  ; 4-byte Folded Reload
	s_wait_loadcnt 0x0
	v_add_co_u32 v2, vcc_lo, v2, s18
	scratch_store_b32 off, v2, off offset:4 ; 4-byte Folded Spill
	scratch_load_b32 v2, off, off offset:8  ; 4-byte Folded Reload
	s_wait_loadcnt 0x0
	s_wait_alu 0xfffd
	v_add_co_ci_u32_e64 v2, null, s19, v2, vcc_lo
	scratch_store_b32 off, v2, off offset:8 ; 4-byte Folded Spill
	scratch_load_b32 v2, off, off offset:12 ; 4-byte Folded Reload
	s_wait_loadcnt 0x0
	v_add_co_u32 v2, vcc_lo, v2, s18
	scratch_store_b32 off, v2, off offset:12 ; 4-byte Folded Spill
	scratch_load_b32 v2, off, off offset:16 ; 4-byte Folded Reload
	s_wait_loadcnt 0x0
	s_wait_alu 0xfffd
	v_add_co_ci_u32_e64 v2, null, s19, v2, vcc_lo
	scratch_store_b32 off, v2, off offset:16 ; 4-byte Folded Spill
	scratch_load_b32 v2, off, off offset:20 ; 4-byte Folded Reload
	s_wait_loadcnt 0x0
	v_add_co_u32 v2, vcc_lo, v2, s18
	scratch_store_b32 off, v2, off offset:20 ; 4-byte Folded Spill
	scratch_load_b32 v2, off, off offset:24 ; 4-byte Folded Reload
	;; [unrolled: 9-line block ×35, first 2 shown]
	s_wait_loadcnt 0x0
	s_wait_alu 0xfffd
	v_add_co_ci_u32_e64 v2, null, s19, v2, vcc_lo
	v_add_co_u32 v240, vcc_lo, v240, s18
	s_wait_alu 0xfffd
	v_add_co_ci_u32_e64 v241, null, s19, v241, vcc_lo
	v_add_co_u32 v242, vcc_lo, v242, s18
	;; [unrolled: 3-line block ×26, first 2 shown]
	s_wait_alu 0xfffd
	v_add_co_ci_u32_e64 v200, null, s19, v200, vcc_lo
	s_and_b32 vcc_lo, exec_lo, s2
	scratch_store_b32 off, v2, off offset:288 ; 4-byte Folded Spill
	s_wait_alu 0xfffe
	s_cbranch_vccnz .LBB107_219
; %bb.218:                              ;   in Loop: Header=BB107_145 Depth=1
	v_dual_mov_b32 v238, v201 :: v_dual_mov_b32 v205, v203
	s_branch .LBB107_145
.LBB107_219:
	scratch_load_b32 v228, off, off offset:304 ; 4-byte Folded Reload
.LBB107_220:
	s_mov_b32 s2, ttmp9
	s_mov_b32 s3, 0
	s_wait_alu 0xfffe
	s_lshl_b64 s[2:3], s[2:3], 5
	s_wait_loadcnt 0x0
	s_wait_alu 0xfffe
	v_and_or_b32 v4, 0x3ff, v228, s2
	v_mov_b32_e32 v5, s3
	s_mov_b32 s2, exec_lo
	s_delay_alu instid0(VALU_DEP_1)
	v_cmpx_gt_i64_e64 s[6:7], v[4:5]
	s_cbranch_execz .LBB107_225
; %bb.221:
	s_clause 0x1
	s_load_u16 s4, s[0:1], 0x4e
	s_load_b128 s[0:3], s[0:1], 0x30
	v_bfe_u32 v0, v228, 10, 10
	v_mov_b32_e32 v1, 0
	s_wait_kmcnt 0x0
	s_delay_alu instid0(VALU_DEP_1) | instskip(SKIP_2) | instid1(VALU_DEP_2)
	v_mad_co_u64_u32 v[2:3], null, s4, ttmp7, v[0:1]
	v_lshlrev_b64_e32 v[0:1], 1, v[4:5]
	s_cmp_eq_u64 s[0:1], 0
	v_mul_lo_u32 v3, v3, s6
	s_delay_alu instid0(VALU_DEP_3)
	v_mul_lo_u32 v6, v2, s7
	s_cbranch_scc1 .LBB107_223
; %bb.222:
	v_mad_co_u64_u32 v[4:5], null, v2, s6, 0
	v_bfe_u32 v7, v203, 16, 1
	s_delay_alu instid0(VALU_DEP_1) | instskip(NEXT) | instid1(VALU_DEP_3)
	v_add3_u32 v7, v203, v7, 0x7fff
	v_add3_u32 v5, v5, v6, v3
	s_delay_alu instid0(VALU_DEP_2) | instskip(NEXT) | instid1(VALU_DEP_2)
	v_lshrrev_b32_e32 v7, 16, v7
	v_lshlrev_b64_e32 v[4:5], 1, v[4:5]
	s_delay_alu instid0(VALU_DEP_1) | instskip(SKIP_1) | instid1(VALU_DEP_2)
	v_add_co_u32 v4, vcc_lo, s0, v4
	s_wait_alu 0xfffd
	v_add_co_ci_u32_e64 v5, null, s1, v5, vcc_lo
	v_cmp_o_f32_e32 vcc_lo, v203, v203
	s_wait_alu 0xfffd
	v_cndmask_b32_e32 v7, 0x7fc0, v7, vcc_lo
	v_add_co_u32 v4, vcc_lo, v4, v0
	s_wait_alu 0xfffd
	v_add_co_ci_u32_e64 v5, null, v5, v1, vcc_lo
	global_store_b16 v[4:5], v7, off
.LBB107_223:
	s_cmp_eq_u64 s[2:3], 0
	s_cbranch_scc1 .LBB107_225
; %bb.224:
	v_mad_co_u64_u32 v[4:5], null, v2, s6, 0
	v_bfe_u32 v2, v201, 16, 1
	s_delay_alu instid0(VALU_DEP_2) | instskip(NEXT) | instid1(VALU_DEP_2)
	v_add3_u32 v5, v5, v6, v3
	v_add3_u32 v6, v201, v2, 0x7fff
	s_delay_alu instid0(VALU_DEP_2) | instskip(NEXT) | instid1(VALU_DEP_2)
	v_lshlrev_b64_e32 v[2:3], 1, v[4:5]
	v_lshrrev_b32_e32 v4, 16, v6
	s_delay_alu instid0(VALU_DEP_2) | instskip(SKIP_1) | instid1(VALU_DEP_3)
	v_add_co_u32 v2, vcc_lo, s2, v2
	s_wait_alu 0xfffd
	v_add_co_ci_u32_e64 v3, null, s3, v3, vcc_lo
	v_cmp_o_f32_e32 vcc_lo, v201, v201
	s_wait_alu 0xfffd
	v_cndmask_b32_e32 v4, 0x7fc0, v4, vcc_lo
	v_add_co_u32 v0, vcc_lo, v2, v0
	s_wait_alu 0xfffd
	v_add_co_ci_u32_e64 v1, null, v3, v1, vcc_lo
	global_store_b16 v[0:1], v4, off
.LBB107_225:
	s_nop 0
	s_sendmsg sendmsg(MSG_DEALLOC_VGPRS)
	s_endpgm
	.section	.rodata,"a",@progbits
	.p2align	6, 0x0
	.amdhsa_kernel _ZN2at6native12_GLOBAL__N_135GammaBetaBackwardCUDAKernelTemplateIN3c108BFloat16EfLj32ELj1ELj32ELb1ELb0ELb0EEEvllPKT_S7_PKT0_SA_PS5_SB_
		.amdhsa_group_segment_fixed_size 0
		.amdhsa_private_segment_fixed_size 312
		.amdhsa_kernarg_size 320
		.amdhsa_user_sgpr_count 2
		.amdhsa_user_sgpr_dispatch_ptr 0
		.amdhsa_user_sgpr_queue_ptr 0
		.amdhsa_user_sgpr_kernarg_segment_ptr 1
		.amdhsa_user_sgpr_dispatch_id 0
		.amdhsa_user_sgpr_private_segment_size 0
		.amdhsa_wavefront_size32 1
		.amdhsa_uses_dynamic_stack 0
		.amdhsa_enable_private_segment 1
		.amdhsa_system_sgpr_workgroup_id_x 1
		.amdhsa_system_sgpr_workgroup_id_y 1
		.amdhsa_system_sgpr_workgroup_id_z 0
		.amdhsa_system_sgpr_workgroup_info 0
		.amdhsa_system_vgpr_workitem_id 1
		.amdhsa_next_free_vgpr 256
		.amdhsa_next_free_sgpr 36
		.amdhsa_reserve_vcc 1
		.amdhsa_float_round_mode_32 0
		.amdhsa_float_round_mode_16_64 0
		.amdhsa_float_denorm_mode_32 3
		.amdhsa_float_denorm_mode_16_64 3
		.amdhsa_fp16_overflow 0
		.amdhsa_workgroup_processor_mode 1
		.amdhsa_memory_ordered 1
		.amdhsa_forward_progress 1
		.amdhsa_inst_pref_size 255
		.amdhsa_round_robin_scheduling 0
		.amdhsa_exception_fp_ieee_invalid_op 0
		.amdhsa_exception_fp_denorm_src 0
		.amdhsa_exception_fp_ieee_div_zero 0
		.amdhsa_exception_fp_ieee_overflow 0
		.amdhsa_exception_fp_ieee_underflow 0
		.amdhsa_exception_fp_ieee_inexact 0
		.amdhsa_exception_int_div_zero 0
	.end_amdhsa_kernel
	.section	.text._ZN2at6native12_GLOBAL__N_135GammaBetaBackwardCUDAKernelTemplateIN3c108BFloat16EfLj32ELj1ELj32ELb1ELb0ELb0EEEvllPKT_S7_PKT0_SA_PS5_SB_,"axG",@progbits,_ZN2at6native12_GLOBAL__N_135GammaBetaBackwardCUDAKernelTemplateIN3c108BFloat16EfLj32ELj1ELj32ELb1ELb0ELb0EEEvllPKT_S7_PKT0_SA_PS5_SB_,comdat
.Lfunc_end107:
	.size	_ZN2at6native12_GLOBAL__N_135GammaBetaBackwardCUDAKernelTemplateIN3c108BFloat16EfLj32ELj1ELj32ELb1ELb0ELb0EEEvllPKT_S7_PKT0_SA_PS5_SB_, .Lfunc_end107-_ZN2at6native12_GLOBAL__N_135GammaBetaBackwardCUDAKernelTemplateIN3c108BFloat16EfLj32ELj1ELj32ELb1ELb0ELb0EEEvllPKT_S7_PKT0_SA_PS5_SB_
                                        ; -- End function
	.set _ZN2at6native12_GLOBAL__N_135GammaBetaBackwardCUDAKernelTemplateIN3c108BFloat16EfLj32ELj1ELj32ELb1ELb0ELb0EEEvllPKT_S7_PKT0_SA_PS5_SB_.num_vgpr, 256
	.set _ZN2at6native12_GLOBAL__N_135GammaBetaBackwardCUDAKernelTemplateIN3c108BFloat16EfLj32ELj1ELj32ELb1ELb0ELb0EEEvllPKT_S7_PKT0_SA_PS5_SB_.num_agpr, 0
	.set _ZN2at6native12_GLOBAL__N_135GammaBetaBackwardCUDAKernelTemplateIN3c108BFloat16EfLj32ELj1ELj32ELb1ELb0ELb0EEEvllPKT_S7_PKT0_SA_PS5_SB_.numbered_sgpr, 36
	.set _ZN2at6native12_GLOBAL__N_135GammaBetaBackwardCUDAKernelTemplateIN3c108BFloat16EfLj32ELj1ELj32ELb1ELb0ELb0EEEvllPKT_S7_PKT0_SA_PS5_SB_.num_named_barrier, 0
	.set _ZN2at6native12_GLOBAL__N_135GammaBetaBackwardCUDAKernelTemplateIN3c108BFloat16EfLj32ELj1ELj32ELb1ELb0ELb0EEEvllPKT_S7_PKT0_SA_PS5_SB_.private_seg_size, 312
	.set _ZN2at6native12_GLOBAL__N_135GammaBetaBackwardCUDAKernelTemplateIN3c108BFloat16EfLj32ELj1ELj32ELb1ELb0ELb0EEEvllPKT_S7_PKT0_SA_PS5_SB_.uses_vcc, 1
	.set _ZN2at6native12_GLOBAL__N_135GammaBetaBackwardCUDAKernelTemplateIN3c108BFloat16EfLj32ELj1ELj32ELb1ELb0ELb0EEEvllPKT_S7_PKT0_SA_PS5_SB_.uses_flat_scratch, 1
	.set _ZN2at6native12_GLOBAL__N_135GammaBetaBackwardCUDAKernelTemplateIN3c108BFloat16EfLj32ELj1ELj32ELb1ELb0ELb0EEEvllPKT_S7_PKT0_SA_PS5_SB_.has_dyn_sized_stack, 0
	.set _ZN2at6native12_GLOBAL__N_135GammaBetaBackwardCUDAKernelTemplateIN3c108BFloat16EfLj32ELj1ELj32ELb1ELb0ELb0EEEvllPKT_S7_PKT0_SA_PS5_SB_.has_recursion, 0
	.set _ZN2at6native12_GLOBAL__N_135GammaBetaBackwardCUDAKernelTemplateIN3c108BFloat16EfLj32ELj1ELj32ELb1ELb0ELb0EEEvllPKT_S7_PKT0_SA_PS5_SB_.has_indirect_call, 0
	.section	.AMDGPU.csdata,"",@progbits
; Kernel info:
; codeLenInByte = 39064
; TotalNumSgprs: 38
; NumVgprs: 256
; ScratchSize: 312
; MemoryBound: 0
; FloatMode: 240
; IeeeMode: 1
; LDSByteSize: 0 bytes/workgroup (compile time only)
; SGPRBlocks: 0
; VGPRBlocks: 31
; NumSGPRsForWavesPerEU: 38
; NumVGPRsForWavesPerEU: 256
; Occupancy: 5
; WaveLimiterHint : 0
; COMPUTE_PGM_RSRC2:SCRATCH_EN: 1
; COMPUTE_PGM_RSRC2:USER_SGPR: 2
; COMPUTE_PGM_RSRC2:TRAP_HANDLER: 0
; COMPUTE_PGM_RSRC2:TGID_X_EN: 1
; COMPUTE_PGM_RSRC2:TGID_Y_EN: 1
; COMPUTE_PGM_RSRC2:TGID_Z_EN: 0
; COMPUTE_PGM_RSRC2:TIDIG_COMP_CNT: 1
	.section	.text._ZN2at6native12_GLOBAL__N_135GammaBetaBackwardCUDAKernelTemplateIN3c108BFloat16EfLj32ELj1ELj8ELb1ELb1ELb0EEEvllPKT_S7_PKT0_SA_PS5_SB_,"axG",@progbits,_ZN2at6native12_GLOBAL__N_135GammaBetaBackwardCUDAKernelTemplateIN3c108BFloat16EfLj32ELj1ELj8ELb1ELb1ELb0EEEvllPKT_S7_PKT0_SA_PS5_SB_,comdat
	.globl	_ZN2at6native12_GLOBAL__N_135GammaBetaBackwardCUDAKernelTemplateIN3c108BFloat16EfLj32ELj1ELj8ELb1ELb1ELb0EEEvllPKT_S7_PKT0_SA_PS5_SB_ ; -- Begin function _ZN2at6native12_GLOBAL__N_135GammaBetaBackwardCUDAKernelTemplateIN3c108BFloat16EfLj32ELj1ELj8ELb1ELb1ELb0EEEvllPKT_S7_PKT0_SA_PS5_SB_
	.p2align	8
	.type	_ZN2at6native12_GLOBAL__N_135GammaBetaBackwardCUDAKernelTemplateIN3c108BFloat16EfLj32ELj1ELj8ELb1ELb1ELb0EEEvllPKT_S7_PKT0_SA_PS5_SB_,@function
_ZN2at6native12_GLOBAL__N_135GammaBetaBackwardCUDAKernelTemplateIN3c108BFloat16EfLj32ELj1ELj8ELb1ELb1ELb0EEEvllPKT_S7_PKT0_SA_PS5_SB_: ; @_ZN2at6native12_GLOBAL__N_135GammaBetaBackwardCUDAKernelTemplateIN3c108BFloat16EfLj32ELj1ELj8ELb1ELb1ELb0EEEvllPKT_S7_PKT0_SA_PS5_SB_
; %bb.0:
	s_load_b128 s[12:15], s[0:1], 0x0
	s_lshl_b32 s2, ttmp7, 3
	s_mov_b32 s3, 0
	v_bfe_u32 v6, v0, 10, 10
	s_add_nc_u64 s[20:21], s[0:1], 64
	s_wait_kmcnt 0x0
	v_cmp_gt_i64_e64 s4, s[12:13], s[2:3]
	s_and_b32 vcc_lo, exec_lo, s4
	s_cbranch_vccnz .LBB108_2
; %bb.1:
	v_bfe_u32 v1, v0, 10, 10
	s_add_nc_u64 s[4:5], s[0:1], 64
	s_mov_b32 s6, s3
	s_branch .LBB108_3
.LBB108_2:
	s_mov_b32 s6, -1
                                        ; implicit-def: $sgpr4_sgpr5
                                        ; implicit-def: $vgpr1
.LBB108_3:
	s_load_b128 s[16:19], s[0:1], 0x30
	v_dual_mov_b32 v8, 0 :: v_dual_and_b32 v7, 0x3ff, v0
	v_mov_b32_e32 v10, 0
	s_and_not1_b32 vcc_lo, exec_lo, s6
	s_cbranch_vccnz .LBB108_11
; %bb.4:
	s_load_b32 s22, s[0:1], 0x4c
	v_dual_mov_b32 v9, 8 :: v_dual_lshlrev_b32 v0, 3, v6
	s_clause 0x1
	s_load_b32 s24, s[0:1], 0x44
	s_load_b256 s[4:11], s[0:1], 0x10
	v_dual_mov_b32 v1, 0 :: v_dual_mov_b32 v12, 12
	v_add_co_u32 v2, s0, v0, s2
	s_delay_alu instid0(VALU_DEP_1) | instskip(SKIP_1) | instid1(VALU_DEP_3)
	v_add_co_ci_u32_e64 v3, null, 0, 0, s0
	v_lshl_add_u32 v0, ttmp9, 5, v7
	v_mul_lo_u32 v8, s15, v2
	v_mad_co_u64_u32 v[4:5], null, s14, v2, 0
	s_delay_alu instid0(VALU_DEP_4) | instskip(NEXT) | instid1(VALU_DEP_4)
	v_mul_lo_u32 v10, s14, v3
	v_lshlrev_b64_e32 v[16:17], 1, v[0:1]
	s_mov_b32 s23, 0
	v_dual_mov_b32 v11, 4 :: v_dual_mov_b32 v14, 20
	s_lshl_b64 s[28:29], s[14:15], 1
	s_wait_kmcnt 0x0
	s_and_b32 s0, s22, 0xffff
	v_mov_b32_e32 v0, 28
	s_wait_alu 0xfffe
	v_mad_u32_u24 v15, v6, s0, v7
	v_mov_b32_e32 v13, 16
	v_add3_u32 v5, v5, v10, v8
	s_lshl_b32 s22, s24, 3
	v_mov_b32_e32 v10, 0
	v_dual_mov_b32 v15, 24 :: v_dual_and_b32 v20, 31, v15
	s_delay_alu instid0(VALU_DEP_3) | instskip(SKIP_2) | instid1(VALU_DEP_3)
	v_lshlrev_b64_e32 v[18:19], 1, v[4:5]
	v_mov_b32_e32 v8, 0
	s_mul_u64 s[26:27], s[14:15], s[22:23]
	v_add_co_u32 v2, vcc_lo, v2, v20
	s_delay_alu instid0(VALU_DEP_1) | instskip(NEXT) | instid1(VALU_DEP_4)
	v_add_co_ci_u32_e64 v3, null, 0, v3, vcc_lo
	v_add_co_u32 v16, vcc_lo, v18, v16
	v_cmp_gt_u32_e64 s0, 8, v20
	s_delay_alu instid0(VALU_DEP_3)
	v_lshlrev_b64_e32 v[4:5], 2, v[2:3]
	s_wait_alu 0xfffd
	v_add_co_ci_u32_e64 v17, null, v19, v17, vcc_lo
	s_lshl_b64 s[24:25], s[22:23], 2
	s_lshl_b64 s[26:27], s[26:27], 1
	s_branch .LBB108_7
.LBB108_5:                              ;   in Loop: Header=BB108_7 Depth=1
	s_or_b32 exec_lo, exec_lo, s30
.LBB108_6:                              ;   in Loop: Header=BB108_7 Depth=1
	s_wait_alu 0xfffe
	s_or_b32 exec_lo, exec_lo, s1
	v_add_co_u32 v20, vcc_lo, s4, v16
	s_wait_alu 0xfffd
	v_add_co_ci_u32_e64 v21, null, s5, v17, vcc_lo
	v_add_co_u32 v22, vcc_lo, s6, v16
	s_wait_alu 0xfffd
	v_add_co_ci_u32_e64 v23, null, s7, v17, vcc_lo
	v_add_co_u32 v24, vcc_lo, v20, s28
	s_wait_alu 0xfffd
	v_add_co_ci_u32_e64 v25, null, s29, v21, vcc_lo
	v_add_co_u32 v26, vcc_lo, v22, s28
	s_wait_alu 0xfffd
	v_add_co_ci_u32_e64 v27, null, s29, v23, vcc_lo
	v_add_co_u32 v28, vcc_lo, v24, s28
	s_wait_alu 0xfffd
	v_add_co_ci_u32_e64 v29, null, s29, v25, vcc_lo
	global_load_u16 v30, v[20:21], off
	global_load_u16 v31, v[22:23], off
	;; [unrolled: 1-line block ×5, first 2 shown]
	v_add_co_u32 v20, vcc_lo, v26, s28
	s_wait_alu 0xfffd
	v_add_co_ci_u32_e64 v21, null, s29, v27, vcc_lo
	v_add_co_u32 v22, vcc_lo, v28, s28
	s_wait_alu 0xfffd
	v_add_co_ci_u32_e64 v23, null, s29, v29, vcc_lo
	;; [unrolled: 3-line block ×5, first 2 shown]
	global_load_u16 v35, v[20:21], off
	global_load_u16 v36, v[22:23], off
	;; [unrolled: 1-line block ×5, first 2 shown]
	v_add_co_u32 v20, vcc_lo, v26, s28
	s_wait_alu 0xfffd
	v_add_co_ci_u32_e64 v21, null, s29, v27, vcc_lo
	v_add_co_u32 v22, vcc_lo, v28, s28
	s_wait_alu 0xfffd
	v_add_co_ci_u32_e64 v23, null, s29, v29, vcc_lo
	;; [unrolled: 3-line block ×4, first 2 shown]
	global_load_u16 v28, v[20:21], off
	global_load_u16 v29, v[22:23], off
	;; [unrolled: 1-line block ×4, first 2 shown]
	v_add_co_u32 v20, vcc_lo, v26, s28
	s_wait_alu 0xfffd
	v_add_co_ci_u32_e64 v21, null, s29, v27, vcc_lo
	v_add_co_u32 v22, vcc_lo, v24, s28
	s_wait_alu 0xfffd
	v_add_co_ci_u32_e64 v23, null, s29, v25, vcc_lo
	global_load_u16 v20, v[20:21], off
	global_load_u16 v21, v[22:23], off
	s_wait_loadcnt 0x11
	ds_bpermute_b32 v25, v11, v18
	ds_bpermute_b32 v22, v1, v18
	s_wait_loadcnt 0x10
	ds_bpermute_b32 v23, v1, v19
	ds_bpermute_b32 v24, v11, v19
	;; [unrolled: 1-line block ×14, first 2 shown]
	v_add_co_u32 v4, vcc_lo, v4, s24
	s_add_nc_u64 s[2:3], s[2:3], s[22:23]
	s_wait_alu 0xfffd
	v_add_co_ci_u32_e64 v5, null, s25, v5, vcc_lo
	v_add_co_u32 v2, vcc_lo, v2, s22
	s_wait_alu 0xfffe
	v_cmp_lt_i64_e64 s1, s[2:3], s[12:13]
	s_wait_alu 0xfffd
	v_add_co_ci_u32_e64 v3, null, 0, v3, vcc_lo
	v_add_co_u32 v16, vcc_lo, v16, s26
	s_wait_alu 0xfffd
	v_add_co_ci_u32_e64 v17, null, s27, v17, vcc_lo
	s_and_b32 vcc_lo, exec_lo, s1
	s_wait_loadcnt 0xc
	v_lshlrev_b32_e32 v33, 16, v33
	s_wait_dscnt 0xf
	s_delay_alu instid0(VALU_DEP_1) | instskip(NEXT) | instid1(VALU_DEP_1)
	v_dual_sub_f32 v25, v33, v25 :: v_dual_lshlrev_b32 v30, 16, v30
	v_dual_add_f32 v10, v10, v30 :: v_dual_lshlrev_b32 v31, 16, v31
	s_wait_dscnt 0xe
	s_delay_alu instid0(VALU_DEP_1) | instskip(NEXT) | instid1(VALU_DEP_1)
	v_dual_sub_f32 v22, v31, v22 :: v_dual_lshlrev_b32 v31, 16, v32
	v_mul_f32_e32 v22, v22, v30
	s_delay_alu instid0(VALU_DEP_2) | instskip(SKIP_1) | instid1(VALU_DEP_2)
	v_add_f32_e32 v10, v10, v31
	s_wait_dscnt 0xd
	v_fmac_f32_e32 v8, v22, v23
	s_wait_loadcnt 0x8
	v_dual_mul_f32 v22, v25, v31 :: v_dual_lshlrev_b32 v25, 16, v37
	s_wait_dscnt 0xc
	s_delay_alu instid0(VALU_DEP_1) | instskip(SKIP_4) | instid1(VALU_DEP_1)
	v_fmac_f32_e32 v8, v22, v24
	s_wait_loadcnt 0x6
	v_lshlrev_b32_e32 v24, 16, v39
	v_lshlrev_b32_e32 v32, 16, v35
	s_wait_dscnt 0xb
	v_dual_sub_f32 v23, v32, v27 :: v_dual_lshlrev_b32 v30, 16, v34
	s_delay_alu instid0(VALU_DEP_1)
	v_dual_mul_f32 v22, v23, v30 :: v_dual_lshlrev_b32 v27, 16, v36
	s_wait_dscnt 0xa
	v_sub_f32_e32 v23, v25, v43
	v_lshlrev_b32_e32 v25, 16, v38
	v_add_f32_e32 v10, v10, v30
	s_wait_dscnt 0x9
	v_fmac_f32_e32 v8, v22, v26
	s_wait_dscnt 0x8
	v_dual_mul_f32 v22, v23, v27 :: v_dual_sub_f32 v23, v24, v45
	s_wait_loadcnt 0x4
	v_lshlrev_b32_e32 v24, 16, v29
	v_add_f32_e32 v10, v10, v27
	v_lshlrev_b32_e32 v26, 16, v28
	s_wait_loadcnt_dscnt 0x7
	v_dual_fmac_f32 v8, v22, v42 :: v_dual_lshlrev_b32 v21, 16, v21
	s_wait_dscnt 0x6
	v_dual_mul_f32 v22, v23, v25 :: v_dual_sub_f32 v23, v24, v47
	v_lshlrev_b32_e32 v24, 16, v41
	v_dual_add_f32 v10, v10, v25 :: v_dual_lshlrev_b32 v25, 16, v40
	s_wait_dscnt 0x5
	s_delay_alu instid0(VALU_DEP_3)
	v_fmac_f32_e32 v8, v22, v44
	s_wait_dscnt 0x4
	v_dual_mul_f32 v22, v23, v26 :: v_dual_sub_f32 v23, v24, v49
	v_lshlrev_b32_e32 v20, 16, v20
	v_add_f32_e32 v10, v10, v26
	s_wait_dscnt 0x3
	s_delay_alu instid0(VALU_DEP_3)
	v_fmac_f32_e32 v8, v22, v46
	v_mul_f32_e32 v22, v23, v25
	s_wait_dscnt 0x2
	v_sub_f32_e32 v18, v20, v18
	v_add_f32_e32 v10, v10, v25
	s_wait_dscnt 0x1
	v_fmac_f32_e32 v8, v22, v48
	s_delay_alu instid0(VALU_DEP_3) | instskip(NEXT) | instid1(VALU_DEP_3)
	v_mul_f32_e32 v18, v18, v21
	v_add_f32_e32 v10, v10, v21
	s_wait_dscnt 0x0
	s_delay_alu instid0(VALU_DEP_2)
	v_fmac_f32_e32 v8, v18, v19
	s_wait_alu 0xfffe
	s_cbranch_vccz .LBB108_10
.LBB108_7:                              ; =>This Inner Loop Header: Depth=1
	v_dual_mov_b32 v19, 0 :: v_dual_mov_b32 v18, 0
	s_and_saveexec_b32 s1, s0
	s_cbranch_execz .LBB108_6
; %bb.8:                                ;   in Loop: Header=BB108_7 Depth=1
	v_dual_mov_b32 v18, 0 :: v_dual_mov_b32 v19, 0
	s_mov_b32 s30, exec_lo
	v_cmpx_gt_i64_e64 s[12:13], v[2:3]
	s_cbranch_execz .LBB108_5
; %bb.9:                                ;   in Loop: Header=BB108_7 Depth=1
	v_add_co_u32 v18, vcc_lo, s8, v4
	s_wait_alu 0xfffd
	v_add_co_ci_u32_e64 v19, null, s9, v5, vcc_lo
	v_add_co_u32 v20, vcc_lo, s10, v4
	s_wait_alu 0xfffd
	v_add_co_ci_u32_e64 v21, null, s11, v5, vcc_lo
	global_load_b32 v18, v[18:19], off
	global_load_b32 v19, v[20:21], off
	s_branch .LBB108_5
.LBB108_10:
	v_mov_b32_e32 v1, v6
	s_mov_b64 s[4:5], s[20:21]
.LBB108_11:
	s_load_u16 s2, s[4:5], 0xe
	v_mov_b32_e32 v2, 0
	s_mov_b32 s0, ttmp9
	s_mov_b32 s1, 0
	s_wait_alu 0xfffe
	s_lshl_b64 s[0:1], s[0:1], 5
	s_wait_kmcnt 0x0
	s_cmp_eq_u64 s[16:17], 0
	s_wait_alu 0xfffe
	v_add_co_u32 v0, s0, s0, v7
	s_wait_alu 0xf1ff
	v_mad_co_u64_u32 v[2:3], null, s2, ttmp7, v[1:2]
	v_add_co_ci_u32_e64 v1, null, s1, 0, s0
	s_delay_alu instid0(VALU_DEP_1) | instskip(NEXT) | instid1(VALU_DEP_3)
	v_lshlrev_b64_e32 v[0:1], 1, v[0:1]
	v_mul_lo_u32 v3, v3, s14
	s_delay_alu instid0(VALU_DEP_4)
	v_mul_lo_u32 v4, v2, s15
	s_cbranch_scc1 .LBB108_13
; %bb.12:
	v_mad_co_u64_u32 v[5:6], null, v2, s14, 0
	v_bfe_u32 v7, v8, 16, 1
	s_delay_alu instid0(VALU_DEP_1) | instskip(NEXT) | instid1(VALU_DEP_3)
	v_add3_u32 v7, v8, v7, 0x7fff
	v_add3_u32 v6, v6, v4, v3
	s_delay_alu instid0(VALU_DEP_2) | instskip(NEXT) | instid1(VALU_DEP_2)
	v_lshrrev_b32_e32 v7, 16, v7
	v_lshlrev_b64_e32 v[5:6], 1, v[5:6]
	s_delay_alu instid0(VALU_DEP_1) | instskip(SKIP_1) | instid1(VALU_DEP_2)
	v_add_co_u32 v5, vcc_lo, s16, v5
	s_wait_alu 0xfffd
	v_add_co_ci_u32_e64 v6, null, s17, v6, vcc_lo
	v_cmp_o_f32_e32 vcc_lo, v8, v8
	s_wait_alu 0xfffd
	v_cndmask_b32_e32 v7, 0x7fc0, v7, vcc_lo
	v_add_co_u32 v5, vcc_lo, v5, v0
	s_wait_alu 0xfffd
	v_add_co_ci_u32_e64 v6, null, v6, v1, vcc_lo
	global_store_b16 v[5:6], v7, off
.LBB108_13:
	s_cmp_eq_u64 s[18:19], 0
	s_cbranch_scc1 .LBB108_15
; %bb.14:
	v_mad_co_u64_u32 v[5:6], null, v2, s14, 0
	v_bfe_u32 v2, v10, 16, 1
	s_delay_alu instid0(VALU_DEP_2) | instskip(NEXT) | instid1(VALU_DEP_2)
	v_add3_u32 v6, v6, v4, v3
	v_add3_u32 v4, v10, v2, 0x7fff
	s_delay_alu instid0(VALU_DEP_2) | instskip(NEXT) | instid1(VALU_DEP_2)
	v_lshlrev_b64_e32 v[2:3], 1, v[5:6]
	v_lshrrev_b32_e32 v4, 16, v4
	s_delay_alu instid0(VALU_DEP_2) | instskip(SKIP_1) | instid1(VALU_DEP_3)
	v_add_co_u32 v2, vcc_lo, s18, v2
	s_wait_alu 0xfffd
	v_add_co_ci_u32_e64 v3, null, s19, v3, vcc_lo
	v_cmp_o_f32_e32 vcc_lo, v10, v10
	s_wait_alu 0xfffd
	v_cndmask_b32_e32 v4, 0x7fc0, v4, vcc_lo
	v_add_co_u32 v0, vcc_lo, v2, v0
	s_wait_alu 0xfffd
	v_add_co_ci_u32_e64 v1, null, v3, v1, vcc_lo
	global_store_b16 v[0:1], v4, off
.LBB108_15:
	s_endpgm
	.section	.rodata,"a",@progbits
	.p2align	6, 0x0
	.amdhsa_kernel _ZN2at6native12_GLOBAL__N_135GammaBetaBackwardCUDAKernelTemplateIN3c108BFloat16EfLj32ELj1ELj8ELb1ELb1ELb0EEEvllPKT_S7_PKT0_SA_PS5_SB_
		.amdhsa_group_segment_fixed_size 0
		.amdhsa_private_segment_fixed_size 0
		.amdhsa_kernarg_size 320
		.amdhsa_user_sgpr_count 2
		.amdhsa_user_sgpr_dispatch_ptr 0
		.amdhsa_user_sgpr_queue_ptr 0
		.amdhsa_user_sgpr_kernarg_segment_ptr 1
		.amdhsa_user_sgpr_dispatch_id 0
		.amdhsa_user_sgpr_private_segment_size 0
		.amdhsa_wavefront_size32 1
		.amdhsa_uses_dynamic_stack 0
		.amdhsa_enable_private_segment 0
		.amdhsa_system_sgpr_workgroup_id_x 1
		.amdhsa_system_sgpr_workgroup_id_y 1
		.amdhsa_system_sgpr_workgroup_id_z 0
		.amdhsa_system_sgpr_workgroup_info 0
		.amdhsa_system_vgpr_workitem_id 1
		.amdhsa_next_free_vgpr 50
		.amdhsa_next_free_sgpr 31
		.amdhsa_reserve_vcc 1
		.amdhsa_float_round_mode_32 0
		.amdhsa_float_round_mode_16_64 0
		.amdhsa_float_denorm_mode_32 3
		.amdhsa_float_denorm_mode_16_64 3
		.amdhsa_fp16_overflow 0
		.amdhsa_workgroup_processor_mode 1
		.amdhsa_memory_ordered 1
		.amdhsa_forward_progress 1
		.amdhsa_inst_pref_size 15
		.amdhsa_round_robin_scheduling 0
		.amdhsa_exception_fp_ieee_invalid_op 0
		.amdhsa_exception_fp_denorm_src 0
		.amdhsa_exception_fp_ieee_div_zero 0
		.amdhsa_exception_fp_ieee_overflow 0
		.amdhsa_exception_fp_ieee_underflow 0
		.amdhsa_exception_fp_ieee_inexact 0
		.amdhsa_exception_int_div_zero 0
	.end_amdhsa_kernel
	.section	.text._ZN2at6native12_GLOBAL__N_135GammaBetaBackwardCUDAKernelTemplateIN3c108BFloat16EfLj32ELj1ELj8ELb1ELb1ELb0EEEvllPKT_S7_PKT0_SA_PS5_SB_,"axG",@progbits,_ZN2at6native12_GLOBAL__N_135GammaBetaBackwardCUDAKernelTemplateIN3c108BFloat16EfLj32ELj1ELj8ELb1ELb1ELb0EEEvllPKT_S7_PKT0_SA_PS5_SB_,comdat
.Lfunc_end108:
	.size	_ZN2at6native12_GLOBAL__N_135GammaBetaBackwardCUDAKernelTemplateIN3c108BFloat16EfLj32ELj1ELj8ELb1ELb1ELb0EEEvllPKT_S7_PKT0_SA_PS5_SB_, .Lfunc_end108-_ZN2at6native12_GLOBAL__N_135GammaBetaBackwardCUDAKernelTemplateIN3c108BFloat16EfLj32ELj1ELj8ELb1ELb1ELb0EEEvllPKT_S7_PKT0_SA_PS5_SB_
                                        ; -- End function
	.set _ZN2at6native12_GLOBAL__N_135GammaBetaBackwardCUDAKernelTemplateIN3c108BFloat16EfLj32ELj1ELj8ELb1ELb1ELb0EEEvllPKT_S7_PKT0_SA_PS5_SB_.num_vgpr, 50
	.set _ZN2at6native12_GLOBAL__N_135GammaBetaBackwardCUDAKernelTemplateIN3c108BFloat16EfLj32ELj1ELj8ELb1ELb1ELb0EEEvllPKT_S7_PKT0_SA_PS5_SB_.num_agpr, 0
	.set _ZN2at6native12_GLOBAL__N_135GammaBetaBackwardCUDAKernelTemplateIN3c108BFloat16EfLj32ELj1ELj8ELb1ELb1ELb0EEEvllPKT_S7_PKT0_SA_PS5_SB_.numbered_sgpr, 31
	.set _ZN2at6native12_GLOBAL__N_135GammaBetaBackwardCUDAKernelTemplateIN3c108BFloat16EfLj32ELj1ELj8ELb1ELb1ELb0EEEvllPKT_S7_PKT0_SA_PS5_SB_.num_named_barrier, 0
	.set _ZN2at6native12_GLOBAL__N_135GammaBetaBackwardCUDAKernelTemplateIN3c108BFloat16EfLj32ELj1ELj8ELb1ELb1ELb0EEEvllPKT_S7_PKT0_SA_PS5_SB_.private_seg_size, 0
	.set _ZN2at6native12_GLOBAL__N_135GammaBetaBackwardCUDAKernelTemplateIN3c108BFloat16EfLj32ELj1ELj8ELb1ELb1ELb0EEEvllPKT_S7_PKT0_SA_PS5_SB_.uses_vcc, 1
	.set _ZN2at6native12_GLOBAL__N_135GammaBetaBackwardCUDAKernelTemplateIN3c108BFloat16EfLj32ELj1ELj8ELb1ELb1ELb0EEEvllPKT_S7_PKT0_SA_PS5_SB_.uses_flat_scratch, 0
	.set _ZN2at6native12_GLOBAL__N_135GammaBetaBackwardCUDAKernelTemplateIN3c108BFloat16EfLj32ELj1ELj8ELb1ELb1ELb0EEEvllPKT_S7_PKT0_SA_PS5_SB_.has_dyn_sized_stack, 0
	.set _ZN2at6native12_GLOBAL__N_135GammaBetaBackwardCUDAKernelTemplateIN3c108BFloat16EfLj32ELj1ELj8ELb1ELb1ELb0EEEvllPKT_S7_PKT0_SA_PS5_SB_.has_recursion, 0
	.set _ZN2at6native12_GLOBAL__N_135GammaBetaBackwardCUDAKernelTemplateIN3c108BFloat16EfLj32ELj1ELj8ELb1ELb1ELb0EEEvllPKT_S7_PKT0_SA_PS5_SB_.has_indirect_call, 0
	.section	.AMDGPU.csdata,"",@progbits
; Kernel info:
; codeLenInByte = 1896
; TotalNumSgprs: 33
; NumVgprs: 50
; ScratchSize: 0
; MemoryBound: 0
; FloatMode: 240
; IeeeMode: 1
; LDSByteSize: 0 bytes/workgroup (compile time only)
; SGPRBlocks: 0
; VGPRBlocks: 6
; NumSGPRsForWavesPerEU: 33
; NumVGPRsForWavesPerEU: 50
; Occupancy: 16
; WaveLimiterHint : 0
; COMPUTE_PGM_RSRC2:SCRATCH_EN: 0
; COMPUTE_PGM_RSRC2:USER_SGPR: 2
; COMPUTE_PGM_RSRC2:TRAP_HANDLER: 0
; COMPUTE_PGM_RSRC2:TGID_X_EN: 1
; COMPUTE_PGM_RSRC2:TGID_Y_EN: 1
; COMPUTE_PGM_RSRC2:TGID_Z_EN: 0
; COMPUTE_PGM_RSRC2:TIDIG_COMP_CNT: 1
	.section	.text._ZN2at6native12_GLOBAL__N_135GammaBetaBackwardCUDAKernelTemplateIN3c108BFloat16EfLj32ELj1ELj8ELb1ELb0ELb0EEEvllPKT_S7_PKT0_SA_PS5_SB_,"axG",@progbits,_ZN2at6native12_GLOBAL__N_135GammaBetaBackwardCUDAKernelTemplateIN3c108BFloat16EfLj32ELj1ELj8ELb1ELb0ELb0EEEvllPKT_S7_PKT0_SA_PS5_SB_,comdat
	.globl	_ZN2at6native12_GLOBAL__N_135GammaBetaBackwardCUDAKernelTemplateIN3c108BFloat16EfLj32ELj1ELj8ELb1ELb0ELb0EEEvllPKT_S7_PKT0_SA_PS5_SB_ ; -- Begin function _ZN2at6native12_GLOBAL__N_135GammaBetaBackwardCUDAKernelTemplateIN3c108BFloat16EfLj32ELj1ELj8ELb1ELb0ELb0EEEvllPKT_S7_PKT0_SA_PS5_SB_
	.p2align	8
	.type	_ZN2at6native12_GLOBAL__N_135GammaBetaBackwardCUDAKernelTemplateIN3c108BFloat16EfLj32ELj1ELj8ELb1ELb0ELb0EEEvllPKT_S7_PKT0_SA_PS5_SB_,@function
_ZN2at6native12_GLOBAL__N_135GammaBetaBackwardCUDAKernelTemplateIN3c108BFloat16EfLj32ELj1ELj8ELb1ELb0ELb0EEEvllPKT_S7_PKT0_SA_PS5_SB_: ; @_ZN2at6native12_GLOBAL__N_135GammaBetaBackwardCUDAKernelTemplateIN3c108BFloat16EfLj32ELj1ELj8ELb1ELb0ELb0EEEvllPKT_S7_PKT0_SA_PS5_SB_
; %bb.0:
	s_clause 0x1
	s_load_b256 s[4:11], s[0:1], 0x0
	s_load_b128 s[12:15], s[0:1], 0x20
	s_lshl_b32 s30, ttmp9, 5
	s_mov_b32 s17, 0
	s_or_b32 s16, s30, 31
	s_wait_kmcnt 0x0
	v_cmp_le_i64_e64 s2, s[6:7], s[16:17]
	s_lshl_b32 s16, ttmp7, 3
	s_wait_alu 0xfffe
	v_cmp_gt_i64_e64 s31, s[4:5], s[16:17]
	s_and_b32 vcc_lo, exec_lo, s2
	v_cndmask_b32_e64 v1, 0, 1, s31
	s_delay_alu instid0(VALU_DEP_1)
	v_cmp_ne_u32_e64 s2, 1, v1
	s_cbranch_vccz .LBB109_49
; %bb.1:
	v_mov_b32_e32 v10, 0
	v_mov_b32_e32 v54, 0
	s_and_b32 vcc_lo, exec_lo, s2
	s_cbranch_vccnz .LBB109_50
; %bb.2:
	v_bfe_u32 v22, v0, 10, 10
	v_dual_mov_b32 v1, 0 :: v_dual_and_b32 v24, 0x3ff, v0
	s_load_b32 s3, s[0:1], 0x44
	s_mov_b32 s19, 0
	s_delay_alu instid0(VALU_DEP_2) | instskip(NEXT) | instid1(VALU_DEP_2)
	v_dual_mov_b32 v54, 0 :: v_dual_lshlrev_b32 v23, 3, v22
	v_dual_mov_b32 v5, v1 :: v_dual_add_nc_u32 v4, s30, v24
	s_mov_b32 s23, s19
	s_delay_alu instid0(VALU_DEP_2) | instskip(NEXT) | instid1(VALU_DEP_1)
	v_add_co_u32 v10, s2, v23, s16
	v_add_co_ci_u32_e64 v11, null, 0, 0, s2
	s_delay_alu instid0(VALU_DEP_3) | instskip(NEXT) | instid1(VALU_DEP_3)
	v_cmp_gt_i64_e64 s2, s[6:7], v[4:5]
	v_mul_lo_u32 v6, s7, v10
	v_mad_co_u64_u32 v[2:3], null, s6, v10, 0
	s_delay_alu instid0(VALU_DEP_4)
	v_mul_lo_u32 v7, s6, v11
	v_lshlrev_b64_e32 v[18:19], 1, v[4:5]
	v_mov_b32_e32 v25, v1
	v_mov_b32_e32 v59, 0
	s_add_nc_u64 s[20:21], s[0:1], 64
	s_wait_kmcnt 0x0
	s_lshl_b32 s22, s3, 3
	s_mov_b64 s[26:27], 7
	s_mul_u64 s[24:25], s[6:7], s[22:23]
	v_add3_u32 v3, v3, v7, v6
	v_add_co_u32 v6, vcc_lo, v10, 7
	s_delay_alu instid0(VALU_DEP_1)
	v_add_co_ci_u32_e64 v7, null, 0, v11, vcc_lo
	v_add_co_u32 v8, vcc_lo, v10, 6
	s_wait_alu 0xfffd
	v_add_co_ci_u32_e64 v9, null, 0, v11, vcc_lo
	v_lshlrev_b64_e32 v[4:5], 1, v[2:3]
	v_mul_lo_u32 v12, s7, v6
	v_mul_lo_u32 v13, s6, v7
	v_mad_co_u64_u32 v[6:7], null, s6, v6, 0
	v_mul_lo_u32 v14, s7, v8
	v_mul_lo_u32 v15, s6, v9
	v_mad_co_u64_u32 v[8:9], null, s6, v8, 0
	v_add_co_u32 v26, vcc_lo, s8, v4
	s_wait_alu 0xfffd
	v_add_co_ci_u32_e64 v27, null, s9, v5, vcc_lo
	v_add_co_u32 v28, vcc_lo, s10, v4
	v_add3_u32 v7, v7, v13, v12
	s_wait_alu 0xfffd
	v_add_co_ci_u32_e64 v29, null, s11, v5, vcc_lo
	v_add_co_u32 v12, vcc_lo, v10, 5
	v_add3_u32 v9, v9, v15, v14
	s_wait_alu 0xfffd
	v_add_co_ci_u32_e64 v13, null, 0, v11, vcc_lo
	v_lshlrev_b64_e32 v[4:5], 1, v[6:7]
	v_mul_lo_u32 v14, s7, v12
	v_lshlrev_b64_e32 v[6:7], 1, v[8:9]
	s_delay_alu instid0(VALU_DEP_4)
	v_mul_lo_u32 v13, s6, v13
	v_mad_co_u64_u32 v[8:9], null, s6, v12, 0
	v_add_co_u32 v30, vcc_lo, s8, v4
	s_wait_alu 0xfffd
	v_add_co_ci_u32_e64 v31, null, s9, v5, vcc_lo
	v_add_co_u32 v32, vcc_lo, s10, v4
	s_wait_alu 0xfffd
	v_add_co_ci_u32_e64 v33, null, s11, v5, vcc_lo
	v_add_co_u32 v34, vcc_lo, s8, v6
	v_add3_u32 v9, v9, v13, v14
	s_wait_alu 0xfffd
	v_add_co_ci_u32_e64 v35, null, s9, v7, vcc_lo
	v_add_co_u32 v12, vcc_lo, v10, 4
	v_add_co_u32 v36, s3, s10, v6
	s_wait_alu 0xfffd
	v_add_co_ci_u32_e64 v6, null, 0, v11, vcc_lo
	v_lshlrev_b64_e32 v[4:5], 1, v[8:9]
	v_add_co_u32 v8, vcc_lo, v10, 3
	s_wait_alu 0xfffd
	v_add_co_ci_u32_e64 v9, null, 0, v11, vcc_lo
	s_wait_alu 0xf1ff
	v_add_co_ci_u32_e64 v37, null, s11, v7, s3
	v_mul_lo_u32 v13, s7, v12
	v_mul_lo_u32 v14, s6, v6
	v_mad_co_u64_u32 v[6:7], null, s6, v12, 0
	v_mul_lo_u32 v12, s7, v8
	v_mul_lo_u32 v15, s6, v9
	v_mad_co_u64_u32 v[8:9], null, s6, v8, 0
	v_add_co_u32 v38, vcc_lo, s8, v4
	s_wait_alu 0xfffd
	v_add_co_ci_u32_e64 v39, null, s9, v5, vcc_lo
	v_add3_u32 v7, v7, v14, v13
	v_add_co_u32 v40, vcc_lo, s10, v4
	s_wait_alu 0xfffd
	v_add_co_ci_u32_e64 v41, null, s11, v5, vcc_lo
	v_add_co_u32 v10, vcc_lo, v10, 2
	v_add3_u32 v9, v9, v15, v12
	s_wait_alu 0xfffd
	v_add_co_ci_u32_e64 v11, null, 0, v11, vcc_lo
	v_lshlrev_b64_e32 v[4:5], 1, v[6:7]
	v_mul_lo_u32 v12, s7, v10
	v_lshlrev_b64_e32 v[6:7], 1, v[8:9]
	s_delay_alu instid0(VALU_DEP_4)
	v_mul_lo_u32 v11, s6, v11
	v_mad_co_u64_u32 v[8:9], null, s6, v10, 0
	v_add_co_u32 v42, vcc_lo, s8, v4
	s_wait_alu 0xfffd
	v_add_co_ci_u32_e64 v43, null, s9, v5, vcc_lo
	v_add_co_u32 v44, vcc_lo, s10, v4
	s_wait_alu 0xfffd
	v_add_co_ci_u32_e64 v45, null, s11, v5, vcc_lo
	;; [unrolled: 3-line block ×3, first 2 shown]
	v_add3_u32 v9, v9, v11, v12
	v_add_co_u32 v48, vcc_lo, s10, v6
	s_wait_alu 0xfffd
	v_add_co_ci_u32_e64 v49, null, s11, v7, vcc_lo
	v_add_co_u32 v2, vcc_lo, v2, s6
	s_wait_alu 0xfffd
	v_add_co_ci_u32_e64 v3, null, s7, v3, vcc_lo
	v_lshlrev_b64_e32 v[4:5], 1, v[8:9]
	s_lshl_b64 s[24:25], s[24:25], 1
	s_mov_b64 s[28:29], s[16:17]
	s_delay_alu instid0(VALU_DEP_2) | instskip(NEXT) | instid1(VALU_DEP_2)
	v_lshlrev_b64_e32 v[2:3], 1, v[2:3]
	v_add_co_u32 v50, vcc_lo, s8, v4
	s_wait_alu 0xfffd
	v_add_co_ci_u32_e64 v51, null, s9, v5, vcc_lo
	v_add_co_u32 v52, vcc_lo, s10, v4
	s_wait_alu 0xfffd
	v_add_co_ci_u32_e64 v53, null, s11, v5, vcc_lo
	;; [unrolled: 3-line block ×4, first 2 shown]
.LBB109_3:                              ; =>This Inner Loop Header: Depth=1
	s_add_nc_u64 s[34:35], s[16:17], s[26:27]
	v_add_co_u32 v20, vcc_lo, s16, v23
	s_wait_alu 0xfffe
	v_cmp_ge_i64_e64 s3, s[34:35], s[4:5]
	s_wait_alu 0xfffd
	v_add_co_ci_u32_e64 v21, null, 0, v25, vcc_lo
                                        ; implicit-def: $vgpr10_vgpr11_vgpr12_vgpr13_vgpr14_vgpr15_vgpr16_vgpr17
                                        ; implicit-def: $vgpr2_vgpr3_vgpr4_vgpr5_vgpr6_vgpr7_vgpr8_vgpr9
                                        ; implicit-def: $vgpr61
                                        ; implicit-def: $vgpr2
                                        ; implicit-def: $vgpr10
                                        ; implicit-def: $vgpr3
	s_and_b32 vcc_lo, exec_lo, s3
	s_mov_b32 s3, -1
	s_wait_alu 0xfffe
	s_cbranch_vccz .LBB109_25
; %bb.4:                                ;   in Loop: Header=BB109_3 Depth=1
	s_load_b32 s3, s[20:21], 0xc
	v_dual_mov_b32 v60, 0 :: v_dual_mov_b32 v61, 0
	s_wait_kmcnt 0x0
	s_and_b32 s3, s3, 0xffff
	s_wait_alu 0xfffe
	v_mad_u32_u24 v2, v22, s3, v24
	s_mov_b32 s3, exec_lo
	s_delay_alu instid0(VALU_DEP_1) | instskip(NEXT) | instid1(VALU_DEP_1)
	v_and_b32_e32 v2, 31, v2
	v_cmpx_gt_u32_e32 8, v2
	s_cbranch_execz .LBB109_8
; %bb.5:                                ;   in Loop: Header=BB109_3 Depth=1
	v_add_co_u32 v2, vcc_lo, v20, v2
	s_wait_alu 0xfffd
	v_add_co_ci_u32_e64 v3, null, 0, v21, vcc_lo
	v_dual_mov_b32 v60, 0 :: v_dual_mov_b32 v61, 0
	s_mov_b32 s18, exec_lo
	s_delay_alu instid0(VALU_DEP_2)
	v_cmpx_gt_i64_e64 s[4:5], v[2:3]
	s_cbranch_execz .LBB109_7
; %bb.6:                                ;   in Loop: Header=BB109_3 Depth=1
	v_lshlrev_b64_e32 v[2:3], 2, v[2:3]
	s_delay_alu instid0(VALU_DEP_1) | instskip(SKIP_1) | instid1(VALU_DEP_2)
	v_add_co_u32 v4, vcc_lo, s12, v2
	s_wait_alu 0xfffd
	v_add_co_ci_u32_e64 v5, null, s13, v3, vcc_lo
	v_add_co_u32 v2, vcc_lo, s14, v2
	s_wait_alu 0xfffd
	v_add_co_ci_u32_e64 v3, null, s15, v3, vcc_lo
	global_load_b32 v60, v[4:5], off
	global_load_b32 v61, v[2:3], off
.LBB109_7:                              ;   in Loop: Header=BB109_3 Depth=1
	s_or_b32 exec_lo, exec_lo, s18
.LBB109_8:                              ;   in Loop: Header=BB109_3 Depth=1
	s_wait_alu 0xfffe
	s_or_b32 exec_lo, exec_lo, s3
	v_mov_b32_e32 v8, v1
	v_dual_mov_b32 v2, v1 :: v_dual_mov_b32 v3, v1
	v_dual_mov_b32 v4, v1 :: v_dual_mov_b32 v5, v1
	;; [unrolled: 1-line block ×3, first 2 shown]
	v_cmp_gt_i64_e32 vcc_lo, s[4:5], v[20:21]
	s_delay_alu instid0(VALU_DEP_3) | instskip(NEXT) | instid1(VALU_DEP_3)
	v_dual_mov_b32 v17, v8 :: v_dual_mov_b32 v14, v5
	v_dual_mov_b32 v15, v6 :: v_dual_mov_b32 v16, v7
	;; [unrolled: 1-line block ×4, first 2 shown]
	v_mov_b32_e32 v9, v8
	v_mov_b32_e32 v8, v7
	;; [unrolled: 1-line block ×8, first 2 shown]
	s_and_b32 s18, s2, vcc_lo
	s_delay_alu instid0(SALU_CYCLE_1)
	s_and_saveexec_b32 s3, s18
	s_cbranch_execz .LBB109_10
; %bb.9:                                ;   in Loop: Header=BB109_3 Depth=1
	v_add_co_u32 v2, vcc_lo, v26, v18
	s_wait_alu 0xfffd
	v_add_co_ci_u32_e64 v3, null, v27, v19, vcc_lo
	v_add_co_u32 v4, vcc_lo, v28, v18
	s_wait_alu 0xfffd
	v_add_co_ci_u32_e64 v5, null, v29, v19, vcc_lo
	global_load_u16 v2, v[2:3], off
	global_load_u16 v10, v[4:5], off
	v_dual_mov_b32 v3, v1 :: v_dual_mov_b32 v4, v1
	v_dual_mov_b32 v5, v1 :: v_dual_mov_b32 v6, v1
	;; [unrolled: 1-line block ×6, first 2 shown]
	v_mov_b32_e32 v15, v1
	s_wait_loadcnt 0x1
	v_dual_mov_b32 v17, v1 :: v_dual_lshlrev_b32 v2, 16, v2
	s_wait_loadcnt 0x0
	v_lshlrev_b32_e32 v10, 16, v10
.LBB109_10:                             ;   in Loop: Header=BB109_3 Depth=1
	s_wait_alu 0xfffe
	s_or_b32 exec_lo, exec_lo, s3
	v_add_co_u32 v62, vcc_lo, v20, 1
	s_wait_alu 0xfffd
	v_add_co_ci_u32_e64 v63, null, 0, v21, vcc_lo
	s_delay_alu instid0(VALU_DEP_1) | instskip(SKIP_1) | instid1(SALU_CYCLE_1)
	v_cmp_gt_i64_e32 vcc_lo, s[4:5], v[62:63]
	s_and_b32 s18, s2, vcc_lo
	s_and_saveexec_b32 s3, s18
	s_cbranch_execz .LBB109_12
; %bb.11:                               ;   in Loop: Header=BB109_3 Depth=1
	v_add_co_u32 v62, vcc_lo, v55, v18
	s_wait_alu 0xfffd
	v_add_co_ci_u32_e64 v63, null, v56, v19, vcc_lo
	v_add_co_u32 v64, vcc_lo, v57, v18
	s_wait_alu 0xfffd
	v_add_co_ci_u32_e64 v65, null, v58, v19, vcc_lo
	global_load_u16 v3, v[62:63], off
	global_load_u16 v11, v[64:65], off
	s_wait_loadcnt 0x1
	v_lshlrev_b32_e32 v3, 16, v3
	s_wait_loadcnt 0x0
	v_lshlrev_b32_e32 v11, 16, v11
.LBB109_12:                             ;   in Loop: Header=BB109_3 Depth=1
	s_wait_alu 0xfffe
	s_or_b32 exec_lo, exec_lo, s3
	v_add_co_u32 v62, vcc_lo, v20, 2
	s_wait_alu 0xfffd
	v_add_co_ci_u32_e64 v63, null, 0, v21, vcc_lo
	s_delay_alu instid0(VALU_DEP_1) | instskip(SKIP_1) | instid1(SALU_CYCLE_1)
	v_cmp_gt_i64_e32 vcc_lo, s[4:5], v[62:63]
	s_and_b32 s18, s2, vcc_lo
	s_and_saveexec_b32 s3, s18
	s_cbranch_execz .LBB109_14
; %bb.13:                               ;   in Loop: Header=BB109_3 Depth=1
	v_add_co_u32 v62, vcc_lo, v50, v18
	s_wait_alu 0xfffd
	v_add_co_ci_u32_e64 v63, null, v51, v19, vcc_lo
	v_add_co_u32 v64, vcc_lo, v52, v18
	s_wait_alu 0xfffd
	v_add_co_ci_u32_e64 v65, null, v53, v19, vcc_lo
	global_load_u16 v4, v[62:63], off
	global_load_u16 v12, v[64:65], off
	s_wait_loadcnt 0x1
	v_lshlrev_b32_e32 v4, 16, v4
	s_wait_loadcnt 0x0
	v_lshlrev_b32_e32 v12, 16, v12
.LBB109_14:                             ;   in Loop: Header=BB109_3 Depth=1
	s_wait_alu 0xfffe
	s_or_b32 exec_lo, exec_lo, s3
	v_add_co_u32 v62, vcc_lo, v20, 3
	s_wait_alu 0xfffd
	v_add_co_ci_u32_e64 v63, null, 0, v21, vcc_lo
	s_delay_alu instid0(VALU_DEP_1) | instskip(SKIP_1) | instid1(SALU_CYCLE_1)
	v_cmp_gt_i64_e32 vcc_lo, s[4:5], v[62:63]
	s_and_b32 s18, s2, vcc_lo
	s_and_saveexec_b32 s3, s18
	s_cbranch_execz .LBB109_16
; %bb.15:                               ;   in Loop: Header=BB109_3 Depth=1
	v_add_co_u32 v62, vcc_lo, v46, v18
	s_wait_alu 0xfffd
	v_add_co_ci_u32_e64 v63, null, v47, v19, vcc_lo
	v_add_co_u32 v64, vcc_lo, v48, v18
	s_wait_alu 0xfffd
	v_add_co_ci_u32_e64 v65, null, v49, v19, vcc_lo
	global_load_u16 v5, v[62:63], off
	global_load_u16 v13, v[64:65], off
	s_wait_loadcnt 0x1
	v_lshlrev_b32_e32 v5, 16, v5
	s_wait_loadcnt 0x0
	v_lshlrev_b32_e32 v13, 16, v13
.LBB109_16:                             ;   in Loop: Header=BB109_3 Depth=1
	s_wait_alu 0xfffe
	s_or_b32 exec_lo, exec_lo, s3
	v_add_co_u32 v62, vcc_lo, v20, 4
	s_wait_alu 0xfffd
	v_add_co_ci_u32_e64 v63, null, 0, v21, vcc_lo
	s_delay_alu instid0(VALU_DEP_1) | instskip(SKIP_1) | instid1(SALU_CYCLE_1)
	v_cmp_gt_i64_e32 vcc_lo, s[4:5], v[62:63]
	s_and_b32 s18, s2, vcc_lo
	s_and_saveexec_b32 s3, s18
	s_cbranch_execz .LBB109_18
; %bb.17:                               ;   in Loop: Header=BB109_3 Depth=1
	v_add_co_u32 v62, vcc_lo, v42, v18
	s_wait_alu 0xfffd
	v_add_co_ci_u32_e64 v63, null, v43, v19, vcc_lo
	v_add_co_u32 v64, vcc_lo, v44, v18
	s_wait_alu 0xfffd
	v_add_co_ci_u32_e64 v65, null, v45, v19, vcc_lo
	global_load_u16 v6, v[62:63], off
	global_load_u16 v14, v[64:65], off
	s_wait_loadcnt 0x1
	v_lshlrev_b32_e32 v6, 16, v6
	s_wait_loadcnt 0x0
	v_lshlrev_b32_e32 v14, 16, v14
.LBB109_18:                             ;   in Loop: Header=BB109_3 Depth=1
	s_wait_alu 0xfffe
	s_or_b32 exec_lo, exec_lo, s3
	v_add_co_u32 v62, vcc_lo, v20, 5
	s_wait_alu 0xfffd
	v_add_co_ci_u32_e64 v63, null, 0, v21, vcc_lo
	s_delay_alu instid0(VALU_DEP_1) | instskip(SKIP_1) | instid1(SALU_CYCLE_1)
	v_cmp_gt_i64_e32 vcc_lo, s[4:5], v[62:63]
	s_and_b32 s18, s2, vcc_lo
	s_and_saveexec_b32 s3, s18
	s_cbranch_execz .LBB109_20
; %bb.19:                               ;   in Loop: Header=BB109_3 Depth=1
	v_add_co_u32 v62, vcc_lo, v38, v18
	s_wait_alu 0xfffd
	v_add_co_ci_u32_e64 v63, null, v39, v19, vcc_lo
	v_add_co_u32 v64, vcc_lo, v40, v18
	s_wait_alu 0xfffd
	v_add_co_ci_u32_e64 v65, null, v41, v19, vcc_lo
	global_load_u16 v7, v[62:63], off
	global_load_u16 v15, v[64:65], off
	s_wait_loadcnt 0x1
	v_lshlrev_b32_e32 v7, 16, v7
	s_wait_loadcnt 0x0
	v_lshlrev_b32_e32 v15, 16, v15
.LBB109_20:                             ;   in Loop: Header=BB109_3 Depth=1
	s_wait_alu 0xfffe
	s_or_b32 exec_lo, exec_lo, s3
	v_add_co_u32 v62, vcc_lo, v20, 6
	s_wait_alu 0xfffd
	v_add_co_ci_u32_e64 v63, null, 0, v21, vcc_lo
	s_delay_alu instid0(VALU_DEP_1) | instskip(SKIP_1) | instid1(SALU_CYCLE_1)
	v_cmp_gt_i64_e32 vcc_lo, s[4:5], v[62:63]
	s_and_b32 s18, s2, vcc_lo
	s_and_saveexec_b32 s3, s18
	s_cbranch_execz .LBB109_22
; %bb.21:                               ;   in Loop: Header=BB109_3 Depth=1
	v_add_co_u32 v62, vcc_lo, v34, v18
	s_wait_alu 0xfffd
	v_add_co_ci_u32_e64 v63, null, v35, v19, vcc_lo
	v_add_co_u32 v64, vcc_lo, v36, v18
	s_wait_alu 0xfffd
	v_add_co_ci_u32_e64 v65, null, v37, v19, vcc_lo
	global_load_u16 v8, v[62:63], off
	global_load_u16 v16, v[64:65], off
	s_wait_loadcnt 0x1
	v_lshlrev_b32_e32 v8, 16, v8
	s_wait_loadcnt 0x0
	v_lshlrev_b32_e32 v16, 16, v16
.LBB109_22:                             ;   in Loop: Header=BB109_3 Depth=1
	s_wait_alu 0xfffe
	s_or_b32 exec_lo, exec_lo, s3
	v_add_co_u32 v62, vcc_lo, v20, 7
	s_wait_alu 0xfffd
	v_add_co_ci_u32_e64 v63, null, 0, v21, vcc_lo
	s_delay_alu instid0(VALU_DEP_1) | instskip(SKIP_1) | instid1(SALU_CYCLE_1)
	v_cmp_gt_i64_e32 vcc_lo, s[4:5], v[62:63]
	s_and_b32 s18, s2, vcc_lo
	s_and_saveexec_b32 s3, s18
	s_cbranch_execz .LBB109_24
; %bb.23:                               ;   in Loop: Header=BB109_3 Depth=1
	v_add_co_u32 v62, vcc_lo, v30, v18
	s_wait_alu 0xfffd
	v_add_co_ci_u32_e64 v63, null, v31, v19, vcc_lo
	v_add_co_u32 v64, vcc_lo, v32, v18
	s_wait_alu 0xfffd
	v_add_co_ci_u32_e64 v65, null, v33, v19, vcc_lo
	global_load_u16 v9, v[62:63], off
	global_load_u16 v17, v[64:65], off
	s_wait_loadcnt 0x1
	v_lshlrev_b32_e32 v9, 16, v9
	s_wait_loadcnt 0x0
	v_lshlrev_b32_e32 v17, 16, v17
.LBB109_24:                             ;   in Loop: Header=BB109_3 Depth=1
	s_wait_alu 0xfffe
	s_or_b32 exec_lo, exec_lo, s3
	s_wait_loadcnt 0x1
	ds_bpermute_b32 v62, v1, v60
	ds_bpermute_b32 v63, v1, v60 offset:4
	ds_bpermute_b32 v64, v1, v60 offset:8
	s_wait_loadcnt 0x0
	ds_bpermute_b32 v65, v1, v61
	ds_bpermute_b32 v66, v1, v60 offset:12
	ds_bpermute_b32 v67, v1, v61 offset:4
	;; [unrolled: 1-line block ×7, first 2 shown]
	s_mov_b32 s3, 0
	s_wait_dscnt 0x9
	v_dual_sub_f32 v10, v10, v62 :: v_dual_sub_f32 v11, v11, v63
	v_add_f32_e32 v62, v54, v2
	s_wait_dscnt 0x8
	v_sub_f32_e32 v12, v12, v64
	ds_bpermute_b32 v63, v1, v61 offset:16
	ds_bpermute_b32 v64, v1, v61 offset:20
	v_mul_f32_e32 v11, v3, v11
	v_add_f32_e32 v3, v3, v62
	s_delay_alu instid0(VALU_DEP_1) | instskip(SKIP_1) | instid1(VALU_DEP_1)
	v_dual_mul_f32 v2, v2, v10 :: v_dual_add_f32 v3, v4, v3
	s_wait_dscnt 0x9
	v_fma_f32 v10, v2, v65, v59
	s_wait_dscnt 0x8
	v_sub_f32_e32 v2, v13, v66
	ds_bpermute_b32 v65, v1, v61 offset:24
	ds_bpermute_b32 v61, v1, v61 offset:28
	v_add_f32_e32 v3, v5, v3
	s_wait_dscnt 0x8
	v_dual_fmac_f32 v10, v11, v67 :: v_dual_sub_f32 v11, v14, v68
	v_dual_mul_f32 v12, v4, v12 :: v_dual_mul_f32 v13, v5, v2
	s_wait_dscnt 0x5
	v_dual_sub_f32 v5, v16, v72 :: v_dual_sub_f32 v4, v15, v71
	ds_bpermute_b32 v2, v1, v60 offset:28
	v_dual_fmac_f32 v10, v12, v69 :: v_dual_mul_f32 v11, v6, v11
	v_dual_mul_f32 v5, v8, v5 :: v_dual_mul_f32 v4, v7, v4
	s_wait_dscnt 0x5
	s_delay_alu instid0(VALU_DEP_2) | instskip(NEXT) | instid1(VALU_DEP_1)
	v_dual_add_f32 v3, v6, v3 :: v_dual_fmac_f32 v10, v13, v70
	v_add_f32_e32 v3, v7, v3
	s_wait_dscnt 0x4
	s_delay_alu instid0(VALU_DEP_2) | instskip(NEXT) | instid1(VALU_DEP_2)
	v_fmac_f32_e32 v10, v11, v63
	v_add_f32_e32 v3, v8, v3
	s_wait_dscnt 0x3
	s_delay_alu instid0(VALU_DEP_2) | instskip(SKIP_1) | instid1(VALU_DEP_1)
	v_fmac_f32_e32 v10, v4, v64
	s_wait_dscnt 0x2
	v_fmac_f32_e32 v10, v5, v65
.LBB109_25:                             ;   in Loop: Header=BB109_3 Depth=1
	s_wait_alu 0xfffe
	s_and_b32 vcc_lo, exec_lo, s3
	s_wait_alu 0xfffe
	s_cbranch_vccz .LBB109_40
; %bb.26:                               ;   in Loop: Header=BB109_3 Depth=1
	s_load_b32 s3, s[20:21], 0x0
	s_wait_dscnt 0x1
	v_dual_mov_b32 v60, 0 :: v_dual_mov_b32 v61, 0
	s_wait_kmcnt 0x0
	s_cmp_lt_u32 ttmp9, s3
	s_cselect_b32 s18, 12, 18
	s_delay_alu instid0(SALU_CYCLE_1)
	s_add_nc_u64 s[34:35], s[20:21], s[18:19]
	s_load_u16 s3, s[34:35], 0x0
	s_wait_dscnt 0x0
	s_wait_kmcnt 0x0
	v_mad_u32_u24 v2, v22, s3, v24
	s_mov_b32 s3, exec_lo
	s_delay_alu instid0(VALU_DEP_1) | instskip(NEXT) | instid1(VALU_DEP_1)
	v_and_b32_e32 v2, 31, v2
	v_cmpx_gt_u32_e32 8, v2
	s_cbranch_execz .LBB109_30
; %bb.27:                               ;   in Loop: Header=BB109_3 Depth=1
	v_add_co_u32 v2, vcc_lo, v20, v2
	s_wait_alu 0xfffd
	v_add_co_ci_u32_e64 v3, null, 0, v21, vcc_lo
	v_dual_mov_b32 v60, 0 :: v_dual_mov_b32 v61, 0
	s_mov_b32 s18, exec_lo
	s_delay_alu instid0(VALU_DEP_2)
	v_cmpx_gt_i64_e64 s[4:5], v[2:3]
	s_cbranch_execz .LBB109_29
; %bb.28:                               ;   in Loop: Header=BB109_3 Depth=1
	v_lshlrev_b64_e32 v[2:3], 2, v[2:3]
	s_delay_alu instid0(VALU_DEP_1) | instskip(SKIP_1) | instid1(VALU_DEP_2)
	v_add_co_u32 v4, vcc_lo, s12, v2
	s_wait_alu 0xfffd
	v_add_co_ci_u32_e64 v5, null, s13, v3, vcc_lo
	v_add_co_u32 v2, vcc_lo, s14, v2
	s_wait_alu 0xfffd
	v_add_co_ci_u32_e64 v3, null, s15, v3, vcc_lo
	global_load_b32 v60, v[4:5], off
	global_load_b32 v61, v[2:3], off
.LBB109_29:                             ;   in Loop: Header=BB109_3 Depth=1
	s_or_b32 exec_lo, exec_lo, s18
.LBB109_30:                             ;   in Loop: Header=BB109_3 Depth=1
	s_wait_alu 0xfffe
	s_or_b32 exec_lo, exec_lo, s3
	v_mov_b32_e32 v8, v1
	v_dual_mov_b32 v2, v1 :: v_dual_mov_b32 v3, v1
	v_dual_mov_b32 v4, v1 :: v_dual_mov_b32 v5, v1
	;; [unrolled: 1-line block ×3, first 2 shown]
	s_delay_alu instid0(VALU_DEP_4) | instskip(NEXT) | instid1(VALU_DEP_3)
	v_mov_b32_e32 v17, v8
	v_dual_mov_b32 v13, v4 :: v_dual_mov_b32 v12, v3
	s_delay_alu instid0(VALU_DEP_3) | instskip(NEXT) | instid1(VALU_DEP_4)
	v_dual_mov_b32 v15, v6 :: v_dual_mov_b32 v14, v5
	v_dual_mov_b32 v16, v7 :: v_dual_mov_b32 v11, v2
	;; [unrolled: 1-line block ×3, first 2 shown]
	v_mov_b32_e32 v8, v7
	v_mov_b32_e32 v7, v6
	;; [unrolled: 1-line block ×7, first 2 shown]
	s_and_saveexec_b32 s3, s2
	s_cbranch_execnz .LBB109_42
; %bb.31:                               ;   in Loop: Header=BB109_3 Depth=1
	s_wait_alu 0xfffe
	s_or_b32 exec_lo, exec_lo, s3
	s_and_saveexec_b32 s3, s2
	s_cbranch_execnz .LBB109_43
.LBB109_32:                             ;   in Loop: Header=BB109_3 Depth=1
	s_wait_alu 0xfffe
	s_or_b32 exec_lo, exec_lo, s3
	s_and_saveexec_b32 s3, s2
	s_cbranch_execnz .LBB109_44
.LBB109_33:                             ;   in Loop: Header=BB109_3 Depth=1
	s_wait_alu 0xfffe
	s_or_b32 exec_lo, exec_lo, s3
	s_and_saveexec_b32 s3, s2
	s_cbranch_execnz .LBB109_45
.LBB109_34:                             ;   in Loop: Header=BB109_3 Depth=1
	s_wait_alu 0xfffe
	s_or_b32 exec_lo, exec_lo, s3
	s_and_saveexec_b32 s3, s2
	s_cbranch_execnz .LBB109_46
.LBB109_35:                             ;   in Loop: Header=BB109_3 Depth=1
	s_wait_alu 0xfffe
	s_or_b32 exec_lo, exec_lo, s3
	s_and_saveexec_b32 s3, s2
	s_cbranch_execnz .LBB109_47
.LBB109_36:                             ;   in Loop: Header=BB109_3 Depth=1
	s_wait_alu 0xfffe
	s_or_b32 exec_lo, exec_lo, s3
	s_and_saveexec_b32 s3, s2
	s_cbranch_execnz .LBB109_48
.LBB109_37:                             ;   in Loop: Header=BB109_3 Depth=1
	s_wait_alu 0xfffe
	s_or_b32 exec_lo, exec_lo, s3
	s_and_saveexec_b32 s3, s2
	s_cbranch_execz .LBB109_39
.LBB109_38:                             ;   in Loop: Header=BB109_3 Depth=1
	v_add_co_u32 v20, vcc_lo, v30, v18
	s_wait_alu 0xfffd
	v_add_co_ci_u32_e64 v21, null, v31, v19, vcc_lo
	v_add_co_u32 v62, vcc_lo, v32, v18
	s_wait_alu 0xfffd
	v_add_co_ci_u32_e64 v63, null, v33, v19, vcc_lo
	global_load_u16 v9, v[20:21], off
	global_load_u16 v17, v[62:63], off
	s_wait_loadcnt 0x1
	v_lshlrev_b32_e32 v9, 16, v9
	s_wait_loadcnt 0x0
	v_lshlrev_b32_e32 v17, 16, v17
.LBB109_39:                             ;   in Loop: Header=BB109_3 Depth=1
	s_wait_alu 0xfffe
	s_or_b32 exec_lo, exec_lo, s3
	s_wait_loadcnt 0x1
	ds_bpermute_b32 v20, v1, v60
	ds_bpermute_b32 v21, v1, v60 offset:4
	ds_bpermute_b32 v62, v1, v60 offset:8
	s_wait_loadcnt 0x0
	ds_bpermute_b32 v63, v1, v61
	ds_bpermute_b32 v64, v1, v60 offset:12
	ds_bpermute_b32 v65, v1, v61 offset:4
	ds_bpermute_b32 v66, v1, v60 offset:16
	ds_bpermute_b32 v67, v1, v61 offset:8
	ds_bpermute_b32 v68, v1, v60 offset:20
	s_wait_dscnt 0x7
	v_dual_sub_f32 v10, v10, v20 :: v_dual_sub_f32 v11, v11, v21
	ds_bpermute_b32 v20, v1, v61 offset:12
	ds_bpermute_b32 v21, v1, v61 offset:16
	s_wait_dscnt 0x6
	v_dual_sub_f32 v13, v13, v64 :: v_dual_mul_f32 v10, v2, v10
	v_dual_mul_f32 v11, v3, v11 :: v_dual_add_f32 v2, v54, v2
	v_sub_f32_e32 v12, v12, v62
	ds_bpermute_b32 v54, v1, v61 offset:20
	v_fmac_f32_e32 v59, v10, v63
	ds_bpermute_b32 v10, v1, v60 offset:24
	v_add_f32_e32 v2, v3, v2
	s_wait_dscnt 0x7
	v_dual_mul_f32 v12, v4, v12 :: v_dual_fmac_f32 v59, v11, v65
	s_delay_alu instid0(VALU_DEP_2)
	v_dual_mul_f32 v11, v5, v13 :: v_dual_add_f32 v4, v4, v2
	s_wait_dscnt 0x4
	v_sub_f32_e32 v13, v15, v68
	v_sub_f32_e32 v3, v14, v66
	ds_bpermute_b32 v2, v1, v60 offset:28
	v_dual_add_f32 v4, v5, v4 :: v_dual_fmac_f32 v59, v12, v67
	ds_bpermute_b32 v12, v1, v61 offset:24
	ds_bpermute_b32 v61, v1, v61 offset:28
	v_dual_mul_f32 v5, v7, v13 :: v_dual_add_f32 v4, v6, v4
	v_mul_f32_e32 v3, v6, v3
	s_wait_dscnt 0x6
	v_fmac_f32_e32 v59, v11, v20
	s_delay_alu instid0(VALU_DEP_3) | instskip(SKIP_1) | instid1(VALU_DEP_2)
	v_add_f32_e32 v4, v7, v4
	s_wait_dscnt 0x5
	v_fmac_f32_e32 v59, v3, v21
	s_wait_dscnt 0x3
	v_sub_f32_e32 v3, v16, v10
	s_delay_alu instid0(VALU_DEP_2) | instskip(NEXT) | instid1(VALU_DEP_2)
	v_fmac_f32_e32 v59, v5, v54
	v_mul_f32_e32 v3, v8, v3
	s_wait_dscnt 0x1
	s_delay_alu instid0(VALU_DEP_1) | instskip(NEXT) | instid1(VALU_DEP_1)
	v_fmac_f32_e32 v59, v3, v12
	v_dual_add_f32 v3, v8, v4 :: v_dual_mov_b32 v10, v59
.LBB109_40:                             ;   in Loop: Header=BB109_3 Depth=1
	v_add_co_u32 v26, vcc_lo, v26, s24
	s_wait_alu 0xfffd
	v_add_co_ci_u32_e64 v27, null, s25, v27, vcc_lo
	v_add_co_u32 v28, vcc_lo, v28, s24
	s_wait_alu 0xfffd
	v_add_co_ci_u32_e64 v29, null, s25, v29, vcc_lo
	v_add_co_u32 v30, vcc_lo, v30, s24
	s_wait_alu 0xfffd
	v_add_co_ci_u32_e64 v31, null, s25, v31, vcc_lo
	v_add_co_u32 v32, vcc_lo, v32, s24
	s_wait_alu 0xfffd
	v_add_co_ci_u32_e64 v33, null, s25, v33, vcc_lo
	v_add_co_u32 v34, vcc_lo, v34, s24
	s_wait_alu 0xfffd
	v_add_co_ci_u32_e64 v35, null, s25, v35, vcc_lo
	v_add_co_u32 v36, vcc_lo, v36, s24
	s_wait_alu 0xfffd
	v_add_co_ci_u32_e64 v37, null, s25, v37, vcc_lo
	v_add_co_u32 v38, vcc_lo, v38, s24
	s_wait_alu 0xfffd
	v_add_co_ci_u32_e64 v39, null, s25, v39, vcc_lo
	v_add_co_u32 v40, vcc_lo, v40, s24
	s_wait_alu 0xfffd
	v_add_co_ci_u32_e64 v41, null, s25, v41, vcc_lo
	v_add_co_u32 v42, vcc_lo, v42, s24
	s_wait_alu 0xfffd
	v_add_co_ci_u32_e64 v43, null, s25, v43, vcc_lo
	v_add_co_u32 v44, vcc_lo, v44, s24
	s_wait_alu 0xfffd
	v_add_co_ci_u32_e64 v45, null, s25, v45, vcc_lo
	v_add_co_u32 v46, vcc_lo, v46, s24
	s_wait_alu 0xfffd
	v_add_co_ci_u32_e64 v47, null, s25, v47, vcc_lo
	v_add_co_u32 v48, vcc_lo, v48, s24
	s_wait_dscnt 0x0
	v_sub_f32_e32 v2, v17, v2
	s_wait_alu 0xfffd
	v_add_co_ci_u32_e64 v49, null, s25, v49, vcc_lo
	v_add_co_u32 v50, vcc_lo, v50, s24
	s_wait_alu 0xfffd
	v_add_co_ci_u32_e64 v51, null, s25, v51, vcc_lo
	v_add_co_u32 v52, vcc_lo, v52, s24
	;; [unrolled: 3-line block ×3, first 2 shown]
	s_add_nc_u64 s[28:29], s[28:29], s[22:23]
	v_mul_f32_e32 v2, v9, v2
	s_wait_alu 0xfffd
	v_add_co_ci_u32_e64 v56, null, s25, v56, vcc_lo
	v_add_co_u32 v57, vcc_lo, v57, s24
	s_wait_alu 0xfffe
	v_cmp_lt_i64_e64 s3, s[28:29], s[4:5]
	s_wait_alu 0xfffd
	v_add_co_ci_u32_e64 v58, null, s25, v58, vcc_lo
	v_add_co_u32 v23, vcc_lo, v23, s22
	v_add_f32_e32 v54, v3, v9
	v_fmac_f32_e32 v10, v2, v61
	s_wait_alu 0xfffd
	v_add_co_ci_u32_e64 v25, null, 0, v25, vcc_lo
	s_and_b32 vcc_lo, exec_lo, s3
	s_add_nc_u64 s[26:27], s[26:27], s[22:23]
	s_wait_alu 0xfffe
	s_cbranch_vccz .LBB109_50
; %bb.41:                               ;   in Loop: Header=BB109_3 Depth=1
	v_mov_b32_e32 v59, v10
	s_branch .LBB109_3
.LBB109_42:                             ;   in Loop: Header=BB109_3 Depth=1
	v_add_co_u32 v2, vcc_lo, v26, v18
	s_wait_alu 0xfffd
	v_add_co_ci_u32_e64 v3, null, v27, v19, vcc_lo
	v_add_co_u32 v4, vcc_lo, v28, v18
	s_wait_alu 0xfffd
	v_add_co_ci_u32_e64 v5, null, v29, v19, vcc_lo
	global_load_u16 v2, v[2:3], off
	global_load_u16 v10, v[4:5], off
	v_dual_mov_b32 v3, v1 :: v_dual_mov_b32 v4, v1
	v_dual_mov_b32 v5, v1 :: v_dual_mov_b32 v6, v1
	;; [unrolled: 1-line block ×6, first 2 shown]
	v_mov_b32_e32 v15, v1
	s_wait_loadcnt 0x1
	v_dual_mov_b32 v17, v1 :: v_dual_lshlrev_b32 v2, 16, v2
	s_wait_loadcnt 0x0
	v_lshlrev_b32_e32 v10, 16, v10
	s_wait_alu 0xfffe
	s_or_b32 exec_lo, exec_lo, s3
	s_and_saveexec_b32 s3, s2
	s_cbranch_execz .LBB109_32
.LBB109_43:                             ;   in Loop: Header=BB109_3 Depth=1
	v_add_co_u32 v20, vcc_lo, v55, v18
	s_wait_alu 0xfffd
	v_add_co_ci_u32_e64 v21, null, v56, v19, vcc_lo
	v_add_co_u32 v62, vcc_lo, v57, v18
	s_wait_alu 0xfffd
	v_add_co_ci_u32_e64 v63, null, v58, v19, vcc_lo
	global_load_u16 v3, v[20:21], off
	global_load_u16 v11, v[62:63], off
	s_wait_loadcnt 0x1
	v_lshlrev_b32_e32 v3, 16, v3
	s_wait_loadcnt 0x0
	v_lshlrev_b32_e32 v11, 16, v11
	s_wait_alu 0xfffe
	s_or_b32 exec_lo, exec_lo, s3
	s_and_saveexec_b32 s3, s2
	s_cbranch_execz .LBB109_33
.LBB109_44:                             ;   in Loop: Header=BB109_3 Depth=1
	v_add_co_u32 v20, vcc_lo, v50, v18
	s_wait_alu 0xfffd
	v_add_co_ci_u32_e64 v21, null, v51, v19, vcc_lo
	v_add_co_u32 v62, vcc_lo, v52, v18
	s_wait_alu 0xfffd
	v_add_co_ci_u32_e64 v63, null, v53, v19, vcc_lo
	global_load_u16 v4, v[20:21], off
	global_load_u16 v12, v[62:63], off
	s_wait_loadcnt 0x1
	v_lshlrev_b32_e32 v4, 16, v4
	s_wait_loadcnt 0x0
	v_lshlrev_b32_e32 v12, 16, v12
	s_wait_alu 0xfffe
	s_or_b32 exec_lo, exec_lo, s3
	s_and_saveexec_b32 s3, s2
	s_cbranch_execz .LBB109_34
.LBB109_45:                             ;   in Loop: Header=BB109_3 Depth=1
	v_add_co_u32 v20, vcc_lo, v46, v18
	s_wait_alu 0xfffd
	v_add_co_ci_u32_e64 v21, null, v47, v19, vcc_lo
	v_add_co_u32 v62, vcc_lo, v48, v18
	s_wait_alu 0xfffd
	v_add_co_ci_u32_e64 v63, null, v49, v19, vcc_lo
	global_load_u16 v5, v[20:21], off
	global_load_u16 v13, v[62:63], off
	s_wait_loadcnt 0x1
	v_lshlrev_b32_e32 v5, 16, v5
	s_wait_loadcnt 0x0
	v_lshlrev_b32_e32 v13, 16, v13
	s_wait_alu 0xfffe
	s_or_b32 exec_lo, exec_lo, s3
	s_and_saveexec_b32 s3, s2
	s_cbranch_execz .LBB109_35
.LBB109_46:                             ;   in Loop: Header=BB109_3 Depth=1
	v_add_co_u32 v20, vcc_lo, v42, v18
	s_wait_alu 0xfffd
	v_add_co_ci_u32_e64 v21, null, v43, v19, vcc_lo
	v_add_co_u32 v62, vcc_lo, v44, v18
	s_wait_alu 0xfffd
	v_add_co_ci_u32_e64 v63, null, v45, v19, vcc_lo
	global_load_u16 v6, v[20:21], off
	global_load_u16 v14, v[62:63], off
	s_wait_loadcnt 0x1
	v_lshlrev_b32_e32 v6, 16, v6
	s_wait_loadcnt 0x0
	v_lshlrev_b32_e32 v14, 16, v14
	s_wait_alu 0xfffe
	s_or_b32 exec_lo, exec_lo, s3
	s_and_saveexec_b32 s3, s2
	s_cbranch_execz .LBB109_36
.LBB109_47:                             ;   in Loop: Header=BB109_3 Depth=1
	v_add_co_u32 v20, vcc_lo, v38, v18
	s_wait_alu 0xfffd
	v_add_co_ci_u32_e64 v21, null, v39, v19, vcc_lo
	v_add_co_u32 v62, vcc_lo, v40, v18
	s_wait_alu 0xfffd
	v_add_co_ci_u32_e64 v63, null, v41, v19, vcc_lo
	global_load_u16 v7, v[20:21], off
	global_load_u16 v15, v[62:63], off
	s_wait_loadcnt 0x1
	v_lshlrev_b32_e32 v7, 16, v7
	s_wait_loadcnt 0x0
	v_lshlrev_b32_e32 v15, 16, v15
	s_wait_alu 0xfffe
	s_or_b32 exec_lo, exec_lo, s3
	s_and_saveexec_b32 s3, s2
	s_cbranch_execz .LBB109_37
.LBB109_48:                             ;   in Loop: Header=BB109_3 Depth=1
	v_add_co_u32 v20, vcc_lo, v34, v18
	s_wait_alu 0xfffd
	v_add_co_ci_u32_e64 v21, null, v35, v19, vcc_lo
	v_add_co_u32 v62, vcc_lo, v36, v18
	s_wait_alu 0xfffd
	v_add_co_ci_u32_e64 v63, null, v37, v19, vcc_lo
	global_load_u16 v8, v[20:21], off
	global_load_u16 v16, v[62:63], off
	s_wait_loadcnt 0x1
	v_lshlrev_b32_e32 v8, 16, v8
	s_wait_loadcnt 0x0
	v_lshlrev_b32_e32 v16, 16, v16
	s_wait_alu 0xfffe
	s_or_b32 exec_lo, exec_lo, s3
	s_and_saveexec_b32 s3, s2
	s_cbranch_execnz .LBB109_38
	s_branch .LBB109_39
.LBB109_49:
                                        ; implicit-def: $vgpr10
                                        ; implicit-def: $vgpr54
	s_branch .LBB109_51
.LBB109_50:
	s_cbranch_execnz .LBB109_83
.LBB109_51:
	v_mov_b32_e32 v10, 0
	v_mov_b32_e32 v54, 0
	s_and_not1_b32 vcc_lo, exec_lo, s31
	s_wait_alu 0xfffe
	s_cbranch_vccnz .LBB109_83
; %bb.52:
	v_bfe_u32 v50, v0, 10, 10
	v_dual_mov_b32 v1, 0 :: v_dual_and_b32 v52, 0x3ff, v0
	s_lshl_b64 s[22:23], s[16:17], 1
	s_mov_b32 s3, 0
	s_delay_alu instid0(VALU_DEP_2) | instskip(NEXT) | instid1(VALU_DEP_2)
	v_dual_mov_b32 v88, 0 :: v_dual_lshlrev_b32 v51, 3, v50
	v_dual_mov_b32 v53, v1 :: v_dual_lshlrev_b32 v8, 4, v50
	v_dual_mov_b32 v5, v1 :: v_dual_add_nc_u32 v4, s30, v52
	s_delay_alu instid0(VALU_DEP_3) | instskip(SKIP_2) | instid1(VALU_DEP_3)
	v_add_co_u32 v10, s2, v51, s16
	s_wait_alu 0xf1ff
	v_add_co_ci_u32_e64 v11, null, 0, 0, s2
	v_lshlrev_b64_e32 v[18:19], 1, v[4:5]
	s_delay_alu instid0(VALU_DEP_3) | instskip(SKIP_1) | instid1(VALU_DEP_4)
	v_mul_lo_u32 v6, s7, v10
	v_mad_co_u64_u32 v[2:3], null, s6, v10, 0
	v_mul_lo_u32 v7, s6, v11
	s_load_b32 s2, s[0:1], 0x44
	s_mov_b32 s21, s3
	v_mov_b32_e32 v87, 0
	s_add_nc_u64 s[18:19], s[0:1], 64
	s_delay_alu instid0(VALU_DEP_2) | instskip(SKIP_1) | instid1(VALU_DEP_1)
	v_add3_u32 v3, v3, v7, v6
	v_add_co_u32 v6, s20, v8, s22
	v_add_co_ci_u32_e64 v7, null, 0, s23, s20
	s_delay_alu instid0(VALU_DEP_3) | instskip(NEXT) | instid1(VALU_DEP_3)
	v_lshlrev_b64_e32 v[4:5], 1, v[2:3]
	v_add_co_u32 v8, vcc_lo, v6, 2
	s_wait_alu 0xfffd
	s_delay_alu instid0(VALU_DEP_3) | instskip(NEXT) | instid1(VALU_DEP_3)
	v_add_co_ci_u32_e64 v9, null, 0, v7, vcc_lo
	v_add_co_u32 v55, vcc_lo, s8, v4
	s_wait_alu 0xfffd
	v_add_co_ci_u32_e64 v56, null, s9, v5, vcc_lo
	v_add_co_u32 v57, vcc_lo, s10, v4
	s_wait_alu 0xfffd
	;; [unrolled: 3-line block ×5, first 2 shown]
	v_add_co_ci_u32_e64 v28, null, 0, v7, vcc_lo
	v_add_co_u32 v42, vcc_lo, v6, 10
	v_mad_co_u64_u32 v[22:23], null, s6, v4, s[8:9]
	v_mul_lo_u32 v5, s6, v5
	v_mul_lo_u32 v15, s7, v4
	v_mad_co_u64_u32 v[36:37], null, s6, v4, s[10:11]
	s_wait_alu 0xfffd
	v_add_co_ci_u32_e64 v30, null, 0, v7, vcc_lo
	v_add_co_u32 v44, vcc_lo, v6, 12
	s_wait_alu 0xfffd
	v_add_co_ci_u32_e64 v32, null, 0, v7, vcc_lo
	v_add_co_u32 v6, vcc_lo, v6, 14
	v_mad_co_u64_u32 v[20:21], null, s6, v8, s[8:9]
	v_mul_lo_u32 v9, s6, v9
	v_mul_lo_u32 v12, s7, v8
	v_mad_co_u64_u32 v[34:35], null, s6, v8, s[10:11]
	s_wait_alu 0xfffd
	v_add_co_ci_u32_e64 v7, null, 0, v7, vcc_lo
	v_add_co_u32 v4, vcc_lo, v10, 7
	v_add3_u32 v23, v15, v23, v5
	v_add3_u32 v37, v15, v37, v5
	s_wait_alu 0xfffd
	v_add_co_ci_u32_e64 v5, null, 0, v11, vcc_lo
	v_mul_lo_u32 v62, s6, v7
	v_add_co_u32 v7, vcc_lo, v10, 6
	v_add3_u32 v21, v12, v21, v9
	v_add3_u32 v35, v12, v35, v9
	s_wait_alu 0xfffd
	v_add_co_ci_u32_e64 v12, null, 0, v11, vcc_lo
	v_mul_lo_u32 v8, s7, v4
	v_mul_lo_u32 v9, s6, v5
	v_mad_co_u64_u32 v[4:5], null, s6, v4, 0
	v_mad_co_u64_u32 v[24:25], null, s6, v13, s[8:9]
	v_mul_lo_u32 v17, s7, v13
	v_mul_lo_u32 v60, s6, v32
	v_mad_co_u64_u32 v[32:33], null, s6, v6, s[8:9]
	v_mul_lo_u32 v63, s7, v6
	v_mad_co_u64_u32 v[38:39], null, s6, v13, s[10:11]
	v_mad_co_u64_u32 v[46:47], null, s6, v6, s[10:11]
	v_mul_lo_u32 v13, s7, v7
	v_mul_lo_u32 v12, s6, v12
	v_mad_co_u64_u32 v[6:7], null, s6, v7, 0
	v_add3_u32 v5, v5, v9, v8
	v_add_co_u32 v8, vcc_lo, v10, 5
	v_mul_lo_u32 v48, s6, v28
	v_mad_co_u64_u32 v[28:29], null, s6, v42, s[8:9]
	v_mul_lo_u32 v54, s6, v30
	v_mul_lo_u32 v59, s7, v42
	v_mad_co_u64_u32 v[42:43], null, s6, v42, s[10:11]
	s_wait_alu 0xfffd
	v_add_co_ci_u32_e64 v9, null, 0, v11, vcc_lo
	v_add3_u32 v7, v7, v12, v13
	v_mad_co_u64_u32 v[30:31], null, s6, v44, s[8:9]
	v_mul_lo_u32 v61, s7, v44
	v_mad_co_u64_u32 v[44:45], null, s6, v44, s[10:11]
	v_lshlrev_b64_e32 v[4:5], 1, v[4:5]
	v_mul_lo_u32 v12, s7, v8
	v_mul_lo_u32 v13, s6, v9
	v_mad_co_u64_u32 v[8:9], null, s6, v8, 0
	v_lshlrev_b64_e32 v[6:7], 1, v[6:7]
	v_add3_u32 v29, v59, v29, v54
	v_add3_u32 v43, v59, v43, v54
	v_add_co_u32 v59, vcc_lo, s8, v4
	v_add3_u32 v31, v61, v31, v60
	v_add3_u32 v45, v61, v45, v60
	s_wait_alu 0xfffd
	v_add_co_ci_u32_e64 v60, null, s9, v5, vcc_lo
	v_add_co_u32 v61, vcc_lo, s10, v4
	v_add3_u32 v33, v63, v33, v62
	v_add3_u32 v47, v63, v47, v62
	s_wait_alu 0xfffd
	v_add_co_ci_u32_e64 v62, null, s11, v5, vcc_lo
	v_add_co_u32 v63, vcc_lo, s8, v6
	v_mul_lo_u32 v14, s6, v14
	v_add3_u32 v9, v9, v13, v12
	s_wait_alu 0xfffd
	v_add_co_ci_u32_e64 v64, null, s9, v7, vcc_lo
	v_add_co_u32 v12, vcc_lo, v10, 4
	s_wait_kmcnt 0x0
	s_lshl_b32 s20, s2, 3
	v_add_co_u32 v65, s2, s10, v6
	s_wait_alu 0xfffd
	v_add_co_ci_u32_e64 v6, null, 0, v11, vcc_lo
	v_lshlrev_b64_e32 v[4:5], 1, v[8:9]
	v_add_co_u32 v8, vcc_lo, v10, 3
	s_wait_alu 0xfffd
	v_add_co_ci_u32_e64 v9, null, 0, v11, vcc_lo
	v_add3_u32 v25, v17, v25, v14
	v_add3_u32 v39, v17, v39, v14
	s_wait_alu 0xf1ff
	v_add_co_ci_u32_e64 v66, null, s11, v7, s2
	v_mul_lo_u32 v13, s7, v12
	v_mul_lo_u32 v14, s6, v6
	v_mad_co_u64_u32 v[6:7], null, s6, v12, 0
	v_mul_lo_u32 v12, s7, v8
	v_mul_lo_u32 v15, s6, v9
	v_mad_co_u64_u32 v[8:9], null, s6, v8, 0
	v_add_co_u32 v67, vcc_lo, s8, v4
	s_wait_alu 0xfffd
	v_add_co_ci_u32_e64 v68, null, s9, v5, vcc_lo
	v_add3_u32 v7, v7, v14, v13
	v_add_co_u32 v69, vcc_lo, s10, v4
	s_wait_alu 0xfffd
	v_add_co_ci_u32_e64 v70, null, s11, v5, vcc_lo
	v_add_co_u32 v10, vcc_lo, v10, 2
	v_add3_u32 v9, v9, v15, v12
	s_wait_alu 0xfffd
	v_add_co_ci_u32_e64 v11, null, 0, v11, vcc_lo
	v_lshlrev_b64_e32 v[4:5], 1, v[6:7]
	v_mul_lo_u32 v12, s7, v10
	v_lshlrev_b64_e32 v[6:7], 1, v[8:9]
	s_delay_alu instid0(VALU_DEP_4)
	v_mul_lo_u32 v11, s6, v11
	v_mad_co_u64_u32 v[8:9], null, s6, v10, 0
	v_add_co_u32 v71, vcc_lo, s8, v4
	s_wait_alu 0xfffd
	v_add_co_ci_u32_e64 v72, null, s9, v5, vcc_lo
	v_add_co_u32 v73, vcc_lo, s10, v4
	s_wait_alu 0xfffd
	v_add_co_ci_u32_e64 v74, null, s11, v5, vcc_lo
	v_add_co_u32 v75, vcc_lo, s8, v6
	s_wait_alu 0xfffd
	v_add_co_ci_u32_e64 v76, null, s9, v7, vcc_lo
	v_add3_u32 v9, v9, v11, v12
	v_add_co_u32 v77, vcc_lo, s10, v6
	s_wait_alu 0xfffd
	v_add_co_ci_u32_e64 v78, null, s11, v7, vcc_lo
	v_add_co_u32 v2, vcc_lo, v2, s6
	s_wait_alu 0xfffd
	v_add_co_ci_u32_e64 v3, null, s7, v3, vcc_lo
	v_lshlrev_b64_e32 v[4:5], 1, v[8:9]
	v_mad_co_u64_u32 v[26:27], null, s6, v16, s[8:9]
	s_delay_alu instid0(VALU_DEP_3)
	v_lshlrev_b64_e32 v[2:3], 1, v[2:3]
	v_mul_lo_u32 v49, s7, v16
	v_mad_co_u64_u32 v[40:41], null, s6, v16, s[10:11]
	v_add_co_u32 v79, vcc_lo, s8, v4
	s_wait_alu 0xfffd
	v_add_co_ci_u32_e64 v80, null, s9, v5, vcc_lo
	v_add_co_u32 v81, vcc_lo, s10, v4
	s_wait_alu 0xfffd
	v_add_co_ci_u32_e64 v82, null, s11, v5, vcc_lo
	;; [unrolled: 3-line block ×3, first 2 shown]
	v_add_co_u32 v85, vcc_lo, s10, v2
	v_add3_u32 v27, v49, v27, v48
	v_add3_u32 v41, v49, v41, v48
	s_wait_alu 0xfffd
	v_add_co_ci_u32_e64 v86, null, s11, v3, vcc_lo
	s_wait_alu 0xfffe
	s_mul_u64 s[22:23], s[6:7], s[20:21]
	s_mov_b64 s[10:11], 7
	s_wait_alu 0xfffe
	s_lshl_b64 s[8:9], s[22:23], 1
	s_mov_b64 s[22:23], s[16:17]
.LBB109_53:                             ; =>This Inner Loop Header: Depth=1
	s_add_nc_u64 s[24:25], s[16:17], s[10:11]
	v_add_co_u32 v48, vcc_lo, s16, v51
	s_wait_alu 0xfffe
	v_cmp_ge_i64_e64 s2, s[24:25], s[4:5]
	s_wait_alu 0xfffd
	v_add_co_ci_u32_e64 v49, null, 0, v53, vcc_lo
                                        ; implicit-def: $vgpr54
                                        ; implicit-def: $vgpr10
	s_and_b32 vcc_lo, exec_lo, s2
	s_mov_b32 s2, -1
	s_wait_alu 0xfffe
	s_cbranch_vccz .LBB109_75
; %bb.54:                               ;   in Loop: Header=BB109_53 Depth=1
	s_load_b32 s2, s[18:19], 0xc
	v_dual_mov_b32 v54, 0 :: v_dual_mov_b32 v89, 0
	s_wait_kmcnt 0x0
	s_and_b32 s2, s2, 0xffff
	s_wait_alu 0xfffe
	v_mad_u32_u24 v2, v50, s2, v52
	s_mov_b32 s2, exec_lo
	s_delay_alu instid0(VALU_DEP_1) | instskip(NEXT) | instid1(VALU_DEP_1)
	v_and_b32_e32 v2, 31, v2
	v_cmpx_gt_u32_e32 8, v2
	s_cbranch_execz .LBB109_58
; %bb.55:                               ;   in Loop: Header=BB109_53 Depth=1
	v_add_co_u32 v2, vcc_lo, v48, v2
	s_wait_alu 0xfffd
	v_add_co_ci_u32_e64 v3, null, 0, v49, vcc_lo
	v_dual_mov_b32 v89, 0 :: v_dual_mov_b32 v54, 0
	s_mov_b32 s24, exec_lo
	s_delay_alu instid0(VALU_DEP_2)
	v_cmpx_gt_i64_e64 s[4:5], v[2:3]
	s_cbranch_execz .LBB109_57
; %bb.56:                               ;   in Loop: Header=BB109_53 Depth=1
	v_lshlrev_b64_e32 v[2:3], 2, v[2:3]
	s_delay_alu instid0(VALU_DEP_1) | instskip(SKIP_1) | instid1(VALU_DEP_2)
	v_add_co_u32 v4, vcc_lo, s12, v2
	s_wait_alu 0xfffd
	v_add_co_ci_u32_e64 v5, null, s13, v3, vcc_lo
	v_add_co_u32 v2, vcc_lo, s14, v2
	s_wait_alu 0xfffd
	v_add_co_ci_u32_e64 v3, null, s15, v3, vcc_lo
	global_load_b32 v89, v[4:5], off
	global_load_b32 v54, v[2:3], off
.LBB109_57:                             ;   in Loop: Header=BB109_53 Depth=1
	s_wait_alu 0xfffe
	s_or_b32 exec_lo, exec_lo, s24
.LBB109_58:                             ;   in Loop: Header=BB109_53 Depth=1
	s_wait_alu 0xfffe
	s_or_b32 exec_lo, exec_lo, s2
	v_mov_b32_e32 v8, v1
	v_dual_mov_b32 v2, v1 :: v_dual_mov_b32 v3, v1
	v_dual_mov_b32 v4, v1 :: v_dual_mov_b32 v5, v1
	;; [unrolled: 1-line block ×3, first 2 shown]
	s_delay_alu instid0(VALU_DEP_4) | instskip(NEXT) | instid1(VALU_DEP_3)
	v_mov_b32_e32 v17, v8
	v_dual_mov_b32 v13, v4 :: v_dual_mov_b32 v12, v3
	s_delay_alu instid0(VALU_DEP_3) | instskip(NEXT) | instid1(VALU_DEP_4)
	v_dual_mov_b32 v15, v6 :: v_dual_mov_b32 v14, v5
	v_dual_mov_b32 v16, v7 :: v_dual_mov_b32 v11, v2
	;; [unrolled: 1-line block ×3, first 2 shown]
	v_mov_b32_e32 v8, v7
	v_mov_b32_e32 v7, v6
	;; [unrolled: 1-line block ×7, first 2 shown]
	s_mov_b32 s2, exec_lo
	v_cmpx_gt_i64_e64 s[4:5], v[48:49]
	s_cbranch_execz .LBB109_60
; %bb.59:                               ;   in Loop: Header=BB109_53 Depth=1
	v_add_co_u32 v2, vcc_lo, v55, v18
	s_wait_alu 0xfffd
	v_add_co_ci_u32_e64 v3, null, v56, v19, vcc_lo
	v_add_co_u32 v4, vcc_lo, v57, v18
	s_wait_alu 0xfffd
	v_add_co_ci_u32_e64 v5, null, v58, v19, vcc_lo
	global_load_u16 v2, v[2:3], off
	global_load_u16 v10, v[4:5], off
	v_dual_mov_b32 v3, v1 :: v_dual_mov_b32 v4, v1
	v_dual_mov_b32 v5, v1 :: v_dual_mov_b32 v6, v1
	;; [unrolled: 1-line block ×6, first 2 shown]
	v_mov_b32_e32 v15, v1
	s_wait_loadcnt 0x1
	v_dual_mov_b32 v17, v1 :: v_dual_lshlrev_b32 v2, 16, v2
	s_wait_loadcnt 0x0
	v_lshlrev_b32_e32 v10, 16, v10
.LBB109_60:                             ;   in Loop: Header=BB109_53 Depth=1
	s_wait_alu 0xfffe
	s_or_b32 exec_lo, exec_lo, s2
	v_add_co_u32 v90, vcc_lo, v48, 1
	s_wait_alu 0xfffd
	v_add_co_ci_u32_e64 v91, null, 0, v49, vcc_lo
	s_mov_b32 s2, exec_lo
	v_cmpx_gt_i64_e64 s[4:5], v[90:91]
	s_cbranch_execz .LBB109_62
; %bb.61:                               ;   in Loop: Header=BB109_53 Depth=1
	v_add_co_u32 v90, vcc_lo, v83, v18
	s_wait_alu 0xfffd
	v_add_co_ci_u32_e64 v91, null, v84, v19, vcc_lo
	v_add_co_u32 v92, vcc_lo, v85, v18
	s_wait_alu 0xfffd
	v_add_co_ci_u32_e64 v93, null, v86, v19, vcc_lo
	global_load_u16 v3, v[90:91], off
	global_load_u16 v11, v[92:93], off
	s_wait_loadcnt 0x1
	v_lshlrev_b32_e32 v3, 16, v3
	s_wait_loadcnt 0x0
	v_lshlrev_b32_e32 v11, 16, v11
.LBB109_62:                             ;   in Loop: Header=BB109_53 Depth=1
	s_wait_alu 0xfffe
	s_or_b32 exec_lo, exec_lo, s2
	v_add_co_u32 v90, vcc_lo, v48, 2
	s_wait_alu 0xfffd
	v_add_co_ci_u32_e64 v91, null, 0, v49, vcc_lo
	s_mov_b32 s2, exec_lo
	v_cmpx_gt_i64_e64 s[4:5], v[90:91]
	s_cbranch_execz .LBB109_64
; %bb.63:                               ;   in Loop: Header=BB109_53 Depth=1
	v_add_co_u32 v90, vcc_lo, v79, v18
	s_wait_alu 0xfffd
	v_add_co_ci_u32_e64 v91, null, v80, v19, vcc_lo
	v_add_co_u32 v92, vcc_lo, v81, v18
	s_wait_alu 0xfffd
	v_add_co_ci_u32_e64 v93, null, v82, v19, vcc_lo
	global_load_u16 v4, v[90:91], off
	global_load_u16 v12, v[92:93], off
	s_wait_loadcnt 0x1
	v_lshlrev_b32_e32 v4, 16, v4
	s_wait_loadcnt 0x0
	v_lshlrev_b32_e32 v12, 16, v12
.LBB109_64:                             ;   in Loop: Header=BB109_53 Depth=1
	;; [unrolled: 22-line block ×7, first 2 shown]
	s_wait_alu 0xfffe
	s_or_b32 exec_lo, exec_lo, s2
	s_wait_loadcnt 0x1
	ds_bpermute_b32 v90, v1, v89
	ds_bpermute_b32 v91, v1, v89 offset:4
	ds_bpermute_b32 v92, v1, v89 offset:8
	;; [unrolled: 1-line block ×3, first 2 shown]
	s_wait_loadcnt 0x0
	ds_bpermute_b32 v93, v1, v54
	ds_bpermute_b32 v95, v1, v54 offset:4
	ds_bpermute_b32 v96, v1, v89 offset:16
	ds_bpermute_b32 v97, v1, v54 offset:8
	ds_bpermute_b32 v100, v1, v89 offset:24
	ds_bpermute_b32 v98, v1, v54 offset:12
	ds_bpermute_b32 v99, v1, v89 offset:20
	ds_bpermute_b32 v89, v1, v89 offset:28
	s_mov_b32 s2, 0
	s_wait_dscnt 0xa
	v_dual_sub_f32 v10, v10, v90 :: v_dual_sub_f32 v11, v11, v91
	v_add_f32_e32 v90, v88, v2
	s_wait_dscnt 0x8
	v_dual_sub_f32 v12, v12, v92 :: v_dual_sub_f32 v13, v13, v94
	s_delay_alu instid0(VALU_DEP_3)
	v_mul_f32_e32 v2, v2, v10
	ds_bpermute_b32 v91, v1, v54 offset:16
	v_dual_mul_f32 v11, v3, v11 :: v_dual_mul_f32 v12, v4, v12
	v_add_f32_e32 v3, v3, v90
	v_mul_f32_e32 v13, v5, v13
	s_wait_dscnt 0x8
	v_fma_f32 v10, v2, v93, v87
	ds_bpermute_b32 v2, v1, v54 offset:20
	s_wait_dscnt 0x7
	v_dual_sub_f32 v14, v14, v96 :: v_dual_add_f32 v3, v4, v3
	ds_bpermute_b32 v4, v1, v54 offset:28
	v_fmac_f32_e32 v10, v11, v95
	ds_bpermute_b32 v11, v1, v54 offset:24
	v_dual_mul_f32 v14, v6, v14 :: v_dual_add_f32 v3, v5, v3
	s_wait_dscnt 0x7
	v_sub_f32_e32 v5, v16, v100
	v_fmac_f32_e32 v10, v12, v97
	s_wait_dscnt 0x5
	v_sub_f32_e32 v12, v15, v99
	s_wait_dscnt 0x4
	v_dual_add_f32 v3, v6, v3 :: v_dual_sub_f32 v6, v17, v89
	v_dual_fmac_f32 v10, v13, v98 :: v_dual_mul_f32 v5, v8, v5
	s_delay_alu instid0(VALU_DEP_3) | instskip(SKIP_1) | instid1(VALU_DEP_2)
	v_mul_f32_e32 v12, v7, v12
	s_wait_dscnt 0x3
	v_fmac_f32_e32 v10, v14, v91
	s_wait_dscnt 0x2
	s_delay_alu instid0(VALU_DEP_1) | instskip(SKIP_2) | instid1(VALU_DEP_2)
	v_fmac_f32_e32 v10, v12, v2
	v_dual_add_f32 v2, v7, v3 :: v_dual_mul_f32 v3, v9, v6
	s_wait_dscnt 0x0
	v_fmac_f32_e32 v10, v5, v11
	s_delay_alu instid0(VALU_DEP_2) | instskip(NEXT) | instid1(VALU_DEP_2)
	v_add_f32_e32 v2, v8, v2
	v_fmac_f32_e32 v10, v3, v4
	s_delay_alu instid0(VALU_DEP_2)
	v_add_f32_e32 v54, v9, v2
.LBB109_75:                             ;   in Loop: Header=BB109_53 Depth=1
	s_wait_alu 0xfffe
	s_and_b32 vcc_lo, exec_lo, s2
	s_wait_alu 0xfffe
	s_cbranch_vccz .LBB109_81
; %bb.76:                               ;   in Loop: Header=BB109_53 Depth=1
	s_load_b32 s2, s[18:19], 0x0
	v_dual_mov_b32 v4, 0 :: v_dual_mov_b32 v5, 0
	s_wait_kmcnt 0x0
	s_cmp_lt_u32 ttmp9, s2
	s_cselect_b32 s2, 12, 18
	s_wait_alu 0xfffe
	s_add_nc_u64 s[24:25], s[18:19], s[2:3]
	s_load_u16 s2, s[24:25], 0x0
	s_wait_kmcnt 0x0
	v_mad_u32_u24 v2, v50, s2, v52
	s_mov_b32 s2, exec_lo
	s_delay_alu instid0(VALU_DEP_1) | instskip(NEXT) | instid1(VALU_DEP_1)
	v_and_b32_e32 v2, 31, v2
	v_cmpx_gt_u32_e32 8, v2
	s_cbranch_execz .LBB109_80
; %bb.77:                               ;   in Loop: Header=BB109_53 Depth=1
	v_add_co_u32 v2, vcc_lo, v48, v2
	s_wait_alu 0xfffd
	v_add_co_ci_u32_e64 v3, null, 0, v49, vcc_lo
	v_dual_mov_b32 v4, 0 :: v_dual_mov_b32 v5, 0
	s_mov_b32 s24, exec_lo
	s_delay_alu instid0(VALU_DEP_2)
	v_cmpx_gt_i64_e64 s[4:5], v[2:3]
	s_cbranch_execz .LBB109_79
; %bb.78:                               ;   in Loop: Header=BB109_53 Depth=1
	v_lshlrev_b64_e32 v[2:3], 2, v[2:3]
	s_delay_alu instid0(VALU_DEP_1) | instskip(SKIP_1) | instid1(VALU_DEP_2)
	v_add_co_u32 v4, vcc_lo, s12, v2
	s_wait_alu 0xfffd
	v_add_co_ci_u32_e64 v5, null, s13, v3, vcc_lo
	v_add_co_u32 v2, vcc_lo, s14, v2
	s_wait_alu 0xfffd
	v_add_co_ci_u32_e64 v3, null, s15, v3, vcc_lo
	global_load_b32 v4, v[4:5], off
	global_load_b32 v5, v[2:3], off
.LBB109_79:                             ;   in Loop: Header=BB109_53 Depth=1
	s_wait_alu 0xfffe
	s_or_b32 exec_lo, exec_lo, s24
.LBB109_80:                             ;   in Loop: Header=BB109_53 Depth=1
	s_wait_alu 0xfffe
	s_or_b32 exec_lo, exec_lo, s2
	v_add_co_u32 v2, vcc_lo, v55, v18
	s_wait_alu 0xfffd
	v_add_co_ci_u32_e64 v3, null, v56, v19, vcc_lo
	s_wait_loadcnt 0x1
	ds_bpermute_b32 v89, v1, v4
	global_load_u16 v2, v[2:3], off
	s_wait_loadcnt 0x0
	v_lshlrev_b32_e32 v6, 16, v2
	v_add_co_u32 v2, vcc_lo, v57, v18
	s_wait_alu 0xfffd
	v_add_co_ci_u32_e64 v3, null, v58, v19, vcc_lo
	global_load_u16 v2, v[2:3], off
	s_wait_loadcnt 0x0
	v_lshlrev_b32_e32 v7, 16, v2
	v_add_co_u32 v2, vcc_lo, v20, v18
	s_wait_alu 0xfffd
	v_add_co_ci_u32_e64 v3, null, v21, v19, vcc_lo
	s_wait_dscnt 0x0
	v_sub_f32_e32 v7, v7, v89
	global_load_u16 v2, v[2:3], off
	v_mul_f32_e32 v7, v7, v6
	s_wait_loadcnt 0x0
	v_lshlrev_b32_e32 v8, 16, v2
	v_add_co_u32 v2, vcc_lo, v34, v18
	s_wait_alu 0xfffd
	v_add_co_ci_u32_e64 v3, null, v35, v19, vcc_lo
	global_load_u16 v2, v[2:3], off
	s_wait_loadcnt 0x0
	v_lshlrev_b32_e32 v9, 16, v2
	v_add_co_u32 v2, vcc_lo, v22, v18
	s_wait_alu 0xfffd
	v_add_co_ci_u32_e64 v3, null, v23, v19, vcc_lo
	global_load_u16 v2, v[2:3], off
	;; [unrolled: 6-line block ×13, first 2 shown]
	ds_bpermute_b32 v3, v1, v5
	s_wait_dscnt 0x0
	v_fmac_f32_e32 v87, v7, v3
	ds_bpermute_b32 v7, v1, v4 offset:4
	v_add_f32_e32 v3, v88, v6
	ds_bpermute_b32 v6, v1, v5 offset:4
	v_add_f32_e32 v3, v3, v8
	s_wait_dscnt 0x1
	v_sub_f32_e32 v7, v9, v7
	s_delay_alu instid0(VALU_DEP_2) | instskip(NEXT) | instid1(VALU_DEP_2)
	v_add_f32_e32 v3, v3, v10
	v_mul_f32_e32 v7, v7, v8
	s_delay_alu instid0(VALU_DEP_2) | instskip(SKIP_1) | instid1(VALU_DEP_2)
	v_add_f32_e32 v3, v3, v12
	s_wait_dscnt 0x0
	v_fmac_f32_e32 v87, v7, v6
	ds_bpermute_b32 v7, v1, v4 offset:8
	ds_bpermute_b32 v6, v1, v5 offset:8
	v_add_f32_e32 v3, v3, v14
	s_wait_dscnt 0x1
	v_sub_f32_e32 v7, v11, v7
	s_delay_alu instid0(VALU_DEP_2) | instskip(NEXT) | instid1(VALU_DEP_2)
	v_add_f32_e32 v3, v3, v16
	v_mul_f32_e32 v7, v7, v10
	s_wait_dscnt 0x0
	s_delay_alu instid0(VALU_DEP_1)
	v_fmac_f32_e32 v87, v7, v6
	ds_bpermute_b32 v7, v1, v4 offset:12
	ds_bpermute_b32 v6, v1, v5 offset:12
	s_wait_dscnt 0x1
	v_sub_f32_e32 v7, v13, v7
	v_add_f32_e32 v3, v3, v48
	s_delay_alu instid0(VALU_DEP_2) | instskip(SKIP_1) | instid1(VALU_DEP_1)
	v_mul_f32_e32 v7, v7, v12
	s_wait_dscnt 0x0
	v_fmac_f32_e32 v87, v7, v6
	ds_bpermute_b32 v7, v1, v4 offset:16
	ds_bpermute_b32 v6, v1, v5 offset:16
	s_wait_dscnt 0x1
	v_sub_f32_e32 v7, v15, v7
	s_delay_alu instid0(VALU_DEP_1) | instskip(SKIP_1) | instid1(VALU_DEP_1)
	v_mul_f32_e32 v7, v7, v14
	s_wait_dscnt 0x0
	v_fmac_f32_e32 v87, v7, v6
	ds_bpermute_b32 v7, v1, v4 offset:20
	ds_bpermute_b32 v6, v1, v5 offset:20
	s_wait_dscnt 0x1
	v_sub_f32_e32 v7, v17, v7
	s_delay_alu instid0(VALU_DEP_1) | instskip(SKIP_1) | instid1(VALU_DEP_1)
	v_mul_f32_e32 v7, v7, v16
	s_wait_dscnt 0x0
	v_fmac_f32_e32 v87, v7, v6
	ds_bpermute_b32 v7, v1, v4 offset:24
	ds_bpermute_b32 v4, v1, v4 offset:28
	;; [unrolled: 1-line block ×4, first 2 shown]
	s_wait_dscnt 0x3
	v_sub_f32_e32 v7, v49, v7
	s_delay_alu instid0(VALU_DEP_1) | instskip(SKIP_1) | instid1(VALU_DEP_1)
	v_mul_f32_e32 v7, v7, v48
	s_wait_dscnt 0x1
	v_fmac_f32_e32 v87, v7, v6
	s_wait_loadcnt 0x0
	v_lshlrev_b32_e32 v2, 16, v2
	s_delay_alu instid0(VALU_DEP_1) | instskip(NEXT) | instid1(VALU_DEP_1)
	v_sub_f32_e32 v2, v2, v4
	v_mul_f32_e32 v2, v2, v54
	s_wait_dscnt 0x0
	s_delay_alu instid0(VALU_DEP_1) | instskip(NEXT) | instid1(VALU_DEP_1)
	v_dual_add_f32 v54, v3, v54 :: v_dual_fmac_f32 v87, v2, v5
	v_mov_b32_e32 v10, v87
.LBB109_81:                             ;   in Loop: Header=BB109_53 Depth=1
	v_add_co_u32 v55, vcc_lo, v55, s8
	s_wait_alu 0xfffd
	v_add_co_ci_u32_e64 v56, null, s9, v56, vcc_lo
	v_add_co_u32 v57, vcc_lo, v57, s8
	s_wait_alu 0xfffd
	v_add_co_ci_u32_e64 v58, null, s9, v58, vcc_lo
	;; [unrolled: 3-line block ×28, first 2 shown]
	v_add_co_u32 v81, vcc_lo, v81, s8
	s_add_nc_u64 s[22:23], s[22:23], s[20:21]
	s_wait_alu 0xfffd
	v_add_co_ci_u32_e64 v82, null, s9, v82, vcc_lo
	v_add_co_u32 v83, vcc_lo, v83, s8
	s_wait_alu 0xfffe
	v_cmp_ge_i64_e64 s2, s[22:23], s[4:5]
	s_wait_alu 0xfffd
	v_add_co_ci_u32_e64 v84, null, s9, v84, vcc_lo
	v_add_co_u32 v85, vcc_lo, v85, s8
	s_wait_alu 0xfffd
	v_add_co_ci_u32_e64 v86, null, s9, v86, vcc_lo
	s_and_b32 vcc_lo, exec_lo, s2
	s_add_nc_u64 s[10:11], s[10:11], s[20:21]
	s_wait_alu 0xfffe
	s_cbranch_vccnz .LBB109_83
; %bb.82:                               ;   in Loop: Header=BB109_53 Depth=1
	v_dual_mov_b32 v88, v54 :: v_dual_mov_b32 v87, v10
	s_branch .LBB109_53
.LBB109_83:
	s_mov_b32 s2, ttmp9
	s_mov_b32 s3, 0
	s_wait_alu 0xfffe
	s_lshl_b64 s[2:3], s[2:3], 5
	s_wait_alu 0xfffe
	v_and_or_b32 v4, 0x3ff, v0, s2
	v_mov_b32_e32 v5, s3
	s_mov_b32 s2, exec_lo
	s_delay_alu instid0(VALU_DEP_1)
	v_cmpx_gt_i64_e64 s[6:7], v[4:5]
	s_cbranch_execz .LBB109_88
; %bb.84:
	s_clause 0x1
	s_load_u16 s4, s[0:1], 0x4e
	s_load_b128 s[0:3], s[0:1], 0x30
	v_bfe_u32 v0, v0, 10, 10
	v_mov_b32_e32 v1, 0
	s_wait_kmcnt 0x0
	s_delay_alu instid0(VALU_DEP_1) | instskip(SKIP_2) | instid1(VALU_DEP_2)
	v_mad_co_u64_u32 v[2:3], null, s4, ttmp7, v[0:1]
	v_lshlrev_b64_e32 v[0:1], 1, v[4:5]
	s_cmp_eq_u64 s[0:1], 0
	v_mul_lo_u32 v3, v3, s6
	s_delay_alu instid0(VALU_DEP_3)
	v_mul_lo_u32 v6, v2, s7
	s_cbranch_scc1 .LBB109_86
; %bb.85:
	v_mad_co_u64_u32 v[4:5], null, v2, s6, 0
	v_bfe_u32 v7, v10, 16, 1
	s_delay_alu instid0(VALU_DEP_1) | instskip(NEXT) | instid1(VALU_DEP_3)
	v_add3_u32 v7, v10, v7, 0x7fff
	v_add3_u32 v5, v5, v6, v3
	s_delay_alu instid0(VALU_DEP_2) | instskip(NEXT) | instid1(VALU_DEP_2)
	v_lshrrev_b32_e32 v7, 16, v7
	v_lshlrev_b64_e32 v[4:5], 1, v[4:5]
	s_delay_alu instid0(VALU_DEP_1) | instskip(SKIP_1) | instid1(VALU_DEP_2)
	v_add_co_u32 v4, vcc_lo, s0, v4
	s_wait_alu 0xfffd
	v_add_co_ci_u32_e64 v5, null, s1, v5, vcc_lo
	v_cmp_o_f32_e32 vcc_lo, v10, v10
	s_wait_alu 0xfffd
	v_cndmask_b32_e32 v7, 0x7fc0, v7, vcc_lo
	v_add_co_u32 v4, vcc_lo, v4, v0
	s_wait_alu 0xfffd
	v_add_co_ci_u32_e64 v5, null, v5, v1, vcc_lo
	global_store_b16 v[4:5], v7, off
.LBB109_86:
	s_cmp_eq_u64 s[2:3], 0
	s_cbranch_scc1 .LBB109_88
; %bb.87:
	v_mad_co_u64_u32 v[4:5], null, v2, s6, 0
	v_bfe_u32 v2, v54, 16, 1
	s_delay_alu instid0(VALU_DEP_2) | instskip(NEXT) | instid1(VALU_DEP_2)
	v_add3_u32 v5, v5, v6, v3
	v_add3_u32 v6, v54, v2, 0x7fff
	s_delay_alu instid0(VALU_DEP_2) | instskip(NEXT) | instid1(VALU_DEP_2)
	v_lshlrev_b64_e32 v[2:3], 1, v[4:5]
	v_lshrrev_b32_e32 v4, 16, v6
	s_delay_alu instid0(VALU_DEP_2) | instskip(SKIP_1) | instid1(VALU_DEP_3)
	v_add_co_u32 v2, vcc_lo, s2, v2
	s_wait_alu 0xfffd
	v_add_co_ci_u32_e64 v3, null, s3, v3, vcc_lo
	v_cmp_o_f32_e32 vcc_lo, v54, v54
	s_wait_alu 0xfffd
	v_cndmask_b32_e32 v4, 0x7fc0, v4, vcc_lo
	v_add_co_u32 v0, vcc_lo, v2, v0
	s_wait_alu 0xfffd
	v_add_co_ci_u32_e64 v1, null, v3, v1, vcc_lo
	global_store_b16 v[0:1], v4, off
.LBB109_88:
	s_nop 0
	s_sendmsg sendmsg(MSG_DEALLOC_VGPRS)
	s_endpgm
	.section	.rodata,"a",@progbits
	.p2align	6, 0x0
	.amdhsa_kernel _ZN2at6native12_GLOBAL__N_135GammaBetaBackwardCUDAKernelTemplateIN3c108BFloat16EfLj32ELj1ELj8ELb1ELb0ELb0EEEvllPKT_S7_PKT0_SA_PS5_SB_
		.amdhsa_group_segment_fixed_size 0
		.amdhsa_private_segment_fixed_size 0
		.amdhsa_kernarg_size 320
		.amdhsa_user_sgpr_count 2
		.amdhsa_user_sgpr_dispatch_ptr 0
		.amdhsa_user_sgpr_queue_ptr 0
		.amdhsa_user_sgpr_kernarg_segment_ptr 1
		.amdhsa_user_sgpr_dispatch_id 0
		.amdhsa_user_sgpr_private_segment_size 0
		.amdhsa_wavefront_size32 1
		.amdhsa_uses_dynamic_stack 0
		.amdhsa_enable_private_segment 0
		.amdhsa_system_sgpr_workgroup_id_x 1
		.amdhsa_system_sgpr_workgroup_id_y 1
		.amdhsa_system_sgpr_workgroup_id_z 0
		.amdhsa_system_sgpr_workgroup_info 0
		.amdhsa_system_vgpr_workitem_id 1
		.amdhsa_next_free_vgpr 101
		.amdhsa_next_free_sgpr 36
		.amdhsa_reserve_vcc 1
		.amdhsa_float_round_mode_32 0
		.amdhsa_float_round_mode_16_64 0
		.amdhsa_float_denorm_mode_32 3
		.amdhsa_float_denorm_mode_16_64 3
		.amdhsa_fp16_overflow 0
		.amdhsa_workgroup_processor_mode 1
		.amdhsa_memory_ordered 1
		.amdhsa_forward_progress 1
		.amdhsa_inst_pref_size 79
		.amdhsa_round_robin_scheduling 0
		.amdhsa_exception_fp_ieee_invalid_op 0
		.amdhsa_exception_fp_denorm_src 0
		.amdhsa_exception_fp_ieee_div_zero 0
		.amdhsa_exception_fp_ieee_overflow 0
		.amdhsa_exception_fp_ieee_underflow 0
		.amdhsa_exception_fp_ieee_inexact 0
		.amdhsa_exception_int_div_zero 0
	.end_amdhsa_kernel
	.section	.text._ZN2at6native12_GLOBAL__N_135GammaBetaBackwardCUDAKernelTemplateIN3c108BFloat16EfLj32ELj1ELj8ELb1ELb0ELb0EEEvllPKT_S7_PKT0_SA_PS5_SB_,"axG",@progbits,_ZN2at6native12_GLOBAL__N_135GammaBetaBackwardCUDAKernelTemplateIN3c108BFloat16EfLj32ELj1ELj8ELb1ELb0ELb0EEEvllPKT_S7_PKT0_SA_PS5_SB_,comdat
.Lfunc_end109:
	.size	_ZN2at6native12_GLOBAL__N_135GammaBetaBackwardCUDAKernelTemplateIN3c108BFloat16EfLj32ELj1ELj8ELb1ELb0ELb0EEEvllPKT_S7_PKT0_SA_PS5_SB_, .Lfunc_end109-_ZN2at6native12_GLOBAL__N_135GammaBetaBackwardCUDAKernelTemplateIN3c108BFloat16EfLj32ELj1ELj8ELb1ELb0ELb0EEEvllPKT_S7_PKT0_SA_PS5_SB_
                                        ; -- End function
	.set _ZN2at6native12_GLOBAL__N_135GammaBetaBackwardCUDAKernelTemplateIN3c108BFloat16EfLj32ELj1ELj8ELb1ELb0ELb0EEEvllPKT_S7_PKT0_SA_PS5_SB_.num_vgpr, 101
	.set _ZN2at6native12_GLOBAL__N_135GammaBetaBackwardCUDAKernelTemplateIN3c108BFloat16EfLj32ELj1ELj8ELb1ELb0ELb0EEEvllPKT_S7_PKT0_SA_PS5_SB_.num_agpr, 0
	.set _ZN2at6native12_GLOBAL__N_135GammaBetaBackwardCUDAKernelTemplateIN3c108BFloat16EfLj32ELj1ELj8ELb1ELb0ELb0EEEvllPKT_S7_PKT0_SA_PS5_SB_.numbered_sgpr, 36
	.set _ZN2at6native12_GLOBAL__N_135GammaBetaBackwardCUDAKernelTemplateIN3c108BFloat16EfLj32ELj1ELj8ELb1ELb0ELb0EEEvllPKT_S7_PKT0_SA_PS5_SB_.num_named_barrier, 0
	.set _ZN2at6native12_GLOBAL__N_135GammaBetaBackwardCUDAKernelTemplateIN3c108BFloat16EfLj32ELj1ELj8ELb1ELb0ELb0EEEvllPKT_S7_PKT0_SA_PS5_SB_.private_seg_size, 0
	.set _ZN2at6native12_GLOBAL__N_135GammaBetaBackwardCUDAKernelTemplateIN3c108BFloat16EfLj32ELj1ELj8ELb1ELb0ELb0EEEvllPKT_S7_PKT0_SA_PS5_SB_.uses_vcc, 1
	.set _ZN2at6native12_GLOBAL__N_135GammaBetaBackwardCUDAKernelTemplateIN3c108BFloat16EfLj32ELj1ELj8ELb1ELb0ELb0EEEvllPKT_S7_PKT0_SA_PS5_SB_.uses_flat_scratch, 0
	.set _ZN2at6native12_GLOBAL__N_135GammaBetaBackwardCUDAKernelTemplateIN3c108BFloat16EfLj32ELj1ELj8ELb1ELb0ELb0EEEvllPKT_S7_PKT0_SA_PS5_SB_.has_dyn_sized_stack, 0
	.set _ZN2at6native12_GLOBAL__N_135GammaBetaBackwardCUDAKernelTemplateIN3c108BFloat16EfLj32ELj1ELj8ELb1ELb0ELb0EEEvllPKT_S7_PKT0_SA_PS5_SB_.has_recursion, 0
	.set _ZN2at6native12_GLOBAL__N_135GammaBetaBackwardCUDAKernelTemplateIN3c108BFloat16EfLj32ELj1ELj8ELb1ELb0ELb0EEEvllPKT_S7_PKT0_SA_PS5_SB_.has_indirect_call, 0
	.section	.AMDGPU.csdata,"",@progbits
; Kernel info:
; codeLenInByte = 10052
; TotalNumSgprs: 38
; NumVgprs: 101
; ScratchSize: 0
; MemoryBound: 0
; FloatMode: 240
; IeeeMode: 1
; LDSByteSize: 0 bytes/workgroup (compile time only)
; SGPRBlocks: 0
; VGPRBlocks: 12
; NumSGPRsForWavesPerEU: 38
; NumVGPRsForWavesPerEU: 101
; Occupancy: 12
; WaveLimiterHint : 0
; COMPUTE_PGM_RSRC2:SCRATCH_EN: 0
; COMPUTE_PGM_RSRC2:USER_SGPR: 2
; COMPUTE_PGM_RSRC2:TRAP_HANDLER: 0
; COMPUTE_PGM_RSRC2:TGID_X_EN: 1
; COMPUTE_PGM_RSRC2:TGID_Y_EN: 1
; COMPUTE_PGM_RSRC2:TGID_Z_EN: 0
; COMPUTE_PGM_RSRC2:TIDIG_COMP_CNT: 1
	.section	.text._ZN2at6native12_GLOBAL__N_135GammaBetaBackwardCUDAKernelTemplateIN3c108BFloat16EfLj32ELj8ELj64ELb0ELb1ELb0EEEvllPKT_S7_PKT0_SA_PS5_SB_,"axG",@progbits,_ZN2at6native12_GLOBAL__N_135GammaBetaBackwardCUDAKernelTemplateIN3c108BFloat16EfLj32ELj8ELj64ELb0ELb1ELb0EEEvllPKT_S7_PKT0_SA_PS5_SB_,comdat
	.globl	_ZN2at6native12_GLOBAL__N_135GammaBetaBackwardCUDAKernelTemplateIN3c108BFloat16EfLj32ELj8ELj64ELb0ELb1ELb0EEEvllPKT_S7_PKT0_SA_PS5_SB_ ; -- Begin function _ZN2at6native12_GLOBAL__N_135GammaBetaBackwardCUDAKernelTemplateIN3c108BFloat16EfLj32ELj8ELj64ELb0ELb1ELb0EEEvllPKT_S7_PKT0_SA_PS5_SB_
	.p2align	8
	.type	_ZN2at6native12_GLOBAL__N_135GammaBetaBackwardCUDAKernelTemplateIN3c108BFloat16EfLj32ELj8ELj64ELb0ELb1ELb0EEEvllPKT_S7_PKT0_SA_PS5_SB_,@function
_ZN2at6native12_GLOBAL__N_135GammaBetaBackwardCUDAKernelTemplateIN3c108BFloat16EfLj32ELj8ELj64ELb0ELb1ELb0EEEvllPKT_S7_PKT0_SA_PS5_SB_: ; @_ZN2at6native12_GLOBAL__N_135GammaBetaBackwardCUDAKernelTemplateIN3c108BFloat16EfLj32ELj8ELj64ELb0ELb1ELb0EEEvllPKT_S7_PKT0_SA_PS5_SB_
; %bb.0:
	s_load_b128 s[16:19], s[0:1], 0x0
	s_lshl_b32 s2, ttmp7, 6
	s_mov_b32 s3, 0
	v_bfe_u32 v7, v0, 10, 10
	s_wait_kmcnt 0x0
	v_cmp_gt_i64_e64 s4, s[16:17], s[2:3]
	s_and_b32 vcc_lo, exec_lo, s4
	s_cbranch_vccnz .LBB110_2
; %bb.1:
	v_bfe_u32 v1, v0, 10, 10
	s_mov_b32 s4, s3
	s_branch .LBB110_3
.LBB110_2:
	s_mov_b32 s4, -1
                                        ; implicit-def: $vgpr1
.LBB110_3:
	s_load_b128 s[12:15], s[0:1], 0x30
	v_dual_mov_b32 v17, 0 :: v_dual_and_b32 v6, 0x3ff, v0
	v_mov_b32_e32 v0, 0
	s_and_not1_b32 vcc_lo, exec_lo, s4
	s_cbranch_vccnz .LBB110_11
; %bb.4:
	s_load_b32 s20, s[0:1], 0x4c
	v_dual_mov_b32 v1, 0 :: v_dual_lshlrev_b32 v0, 3, v7
	s_clause 0x1
	s_load_b32 s22, s[0:1], 0x44
	s_load_b256 s[4:11], s[0:1], 0x10
	s_mov_b32 s21, 0
	v_dual_mov_b32 v8, 8 :: v_dual_mov_b32 v9, 4
	v_add_co_u32 v2, s0, v0, s2
	s_delay_alu instid0(VALU_DEP_1) | instskip(SKIP_1) | instid1(VALU_DEP_3)
	v_add_co_ci_u32_e64 v3, null, 0, 0, s0
	v_lshl_add_u32 v0, ttmp9, 5, v6
	v_mul_lo_u32 v14, s19, v2
	v_mad_co_u64_u32 v[4:5], null, s18, v2, 0
	s_delay_alu instid0(VALU_DEP_4) | instskip(NEXT) | instid1(VALU_DEP_4)
	v_mul_lo_u32 v17, s18, v3
	v_lshlrev_b64_e32 v[15:16], 1, v[0:1]
	v_dual_mov_b32 v10, 12 :: v_dual_mov_b32 v11, 16
	v_mov_b32_e32 v0, 0
	s_wait_kmcnt 0x0
	s_and_b32 s0, s20, 0xffff
	s_wait_alu 0xfffe
	v_mad_u32_u24 v13, v7, s0, v6
	v_mov_b32_e32 v12, 20
	v_add3_u32 v5, v5, v17, v14
	s_lshl_b32 s20, s22, 6
	s_delay_alu instid0(VALU_DEP_3) | instskip(SKIP_1) | instid1(VALU_DEP_3)
	v_dual_mov_b32 v14, 28 :: v_dual_and_b32 v19, 31, v13
	v_mov_b32_e32 v13, 24
	v_lshlrev_b64_e32 v[17:18], 1, v[4:5]
	s_mul_u64 s[24:25], s[18:19], s[20:21]
	s_lshl_b64 s[22:23], s[20:21], 2
	v_add_co_u32 v2, vcc_lo, v2, v19
	s_delay_alu instid0(VALU_DEP_1) | instskip(NEXT) | instid1(VALU_DEP_3)
	v_add_co_ci_u32_e64 v3, null, 0, v3, vcc_lo
	v_add_co_u32 v15, vcc_lo, v17, v15
	v_cmp_gt_u32_e64 s0, 8, v19
	s_delay_alu instid0(VALU_DEP_3)
	v_lshlrev_b64_e32 v[4:5], 2, v[2:3]
	s_wait_alu 0xfffd
	v_add_co_ci_u32_e64 v16, null, v18, v16, vcc_lo
	v_mov_b32_e32 v17, 0
	s_lshl_b64 s[24:25], s[24:25], 1
	s_lshl_b64 s[18:19], s[18:19], 1
	s_branch .LBB110_7
.LBB110_5:                              ;   in Loop: Header=BB110_7 Depth=1
	s_or_b32 exec_lo, exec_lo, s26
.LBB110_6:                              ;   in Loop: Header=BB110_7 Depth=1
	s_wait_alu 0xfffe
	s_or_b32 exec_lo, exec_lo, s1
	v_add_co_u32 v20, vcc_lo, s4, v15
	s_wait_alu 0xfffd
	v_add_co_ci_u32_e64 v21, null, s5, v16, vcc_lo
	v_add_co_u32 v22, vcc_lo, s6, v15
	s_wait_alu 0xfffd
	v_add_co_ci_u32_e64 v23, null, s7, v16, vcc_lo
	;; [unrolled: 3-line block ×5, first 2 shown]
	global_load_u16 v30, v[20:21], off
	global_load_u16 v31, v[22:23], off
	;; [unrolled: 1-line block ×5, first 2 shown]
	v_add_co_u32 v20, vcc_lo, v26, s18
	s_wait_alu 0xfffd
	v_add_co_ci_u32_e64 v21, null, s19, v27, vcc_lo
	v_add_co_u32 v22, vcc_lo, v28, s18
	s_wait_alu 0xfffd
	v_add_co_ci_u32_e64 v23, null, s19, v29, vcc_lo
	v_add_co_u32 v24, vcc_lo, v20, s18
	s_wait_alu 0xfffd
	v_add_co_ci_u32_e64 v25, null, s19, v21, vcc_lo
	v_add_co_u32 v26, vcc_lo, v22, s18
	s_wait_alu 0xfffd
	v_add_co_ci_u32_e64 v27, null, s19, v23, vcc_lo
	v_add_co_u32 v28, vcc_lo, v24, s18
	s_wait_alu 0xfffd
	v_add_co_ci_u32_e64 v29, null, s19, v25, vcc_lo
	global_load_u16 v35, v[20:21], off
	global_load_u16 v36, v[22:23], off
	;; [unrolled: 1-line block ×5, first 2 shown]
	v_add_co_u32 v20, vcc_lo, v26, s18
	s_wait_alu 0xfffd
	v_add_co_ci_u32_e64 v21, null, s19, v27, vcc_lo
	v_add_co_u32 v22, vcc_lo, v28, s18
	s_wait_alu 0xfffd
	v_add_co_ci_u32_e64 v23, null, s19, v29, vcc_lo
	v_add_co_u32 v24, vcc_lo, v20, s18
	s_wait_alu 0xfffd
	v_add_co_ci_u32_e64 v25, null, s19, v21, vcc_lo
	v_add_co_u32 v26, vcc_lo, v22, s18
	s_wait_alu 0xfffd
	v_add_co_ci_u32_e64 v27, null, s19, v23, vcc_lo
	global_load_u16 v28, v[20:21], off
	global_load_u16 v29, v[22:23], off
	global_load_u16 v40, v[24:25], off
	global_load_u16 v41, v[26:27], off
	v_add_co_u32 v20, vcc_lo, v26, s18
	s_wait_alu 0xfffd
	v_add_co_ci_u32_e64 v21, null, s19, v27, vcc_lo
	v_add_co_u32 v22, vcc_lo, v24, s18
	s_wait_alu 0xfffd
	v_add_co_ci_u32_e64 v23, null, s19, v25, vcc_lo
	global_load_u16 v20, v[20:21], off
	global_load_u16 v21, v[22:23], off
	s_wait_loadcnt 0x11
	ds_bpermute_b32 v25, v9, v18
	ds_bpermute_b32 v22, v1, v18
	s_wait_loadcnt 0x10
	ds_bpermute_b32 v23, v1, v19
	ds_bpermute_b32 v27, v8, v18
	;; [unrolled: 1-line block ×14, first 2 shown]
	v_add_co_u32 v4, vcc_lo, v4, s22
	s_add_nc_u64 s[2:3], s[2:3], s[20:21]
	s_wait_alu 0xfffd
	v_add_co_ci_u32_e64 v5, null, s23, v5, vcc_lo
	v_add_co_u32 v2, vcc_lo, v2, s20
	s_wait_alu 0xfffe
	v_cmp_lt_i64_e64 s1, s[2:3], s[16:17]
	s_wait_alu 0xfffd
	v_add_co_ci_u32_e64 v3, null, 0, v3, vcc_lo
	v_add_co_u32 v15, vcc_lo, v15, s24
	s_wait_alu 0xfffd
	v_add_co_ci_u32_e64 v16, null, s25, v16, vcc_lo
	s_and_b32 vcc_lo, exec_lo, s1
	s_wait_loadcnt 0xc
	v_lshlrev_b32_e32 v33, 16, v33
	s_wait_dscnt 0xf
	s_delay_alu instid0(VALU_DEP_1) | instskip(SKIP_1) | instid1(VALU_DEP_2)
	v_dual_sub_f32 v25, v33, v25 :: v_dual_lshlrev_b32 v30, 16, v30
	v_lshlrev_b32_e32 v31, 16, v31
	v_add_f32_e32 v17, v17, v30
	s_wait_dscnt 0xe
	s_delay_alu instid0(VALU_DEP_2) | instskip(NEXT) | instid1(VALU_DEP_1)
	v_sub_f32_e32 v22, v31, v22
	v_dual_mul_f32 v22, v22, v30 :: v_dual_lshlrev_b32 v31, 16, v32
	s_wait_loadcnt 0xa
	v_lshlrev_b32_e32 v32, 16, v35
	v_lshlrev_b32_e32 v30, 16, v34
	s_wait_dscnt 0xd
	v_fmac_f32_e32 v0, v22, v23
	s_wait_loadcnt 0x8
	v_dual_mul_f32 v22, v25, v31 :: v_dual_lshlrev_b32 v25, 16, v37
	s_wait_dscnt 0xc
	v_sub_f32_e32 v23, v32, v27
	v_add_f32_e32 v17, v17, v31
	v_lshlrev_b32_e32 v27, 16, v36
	s_wait_dscnt 0xb
	v_fmac_f32_e32 v0, v22, v24
	s_wait_loadcnt 0x6
	v_lshlrev_b32_e32 v24, 16, v39
	s_wait_dscnt 0xa
	v_dual_mul_f32 v22, v23, v30 :: v_dual_sub_f32 v23, v25, v43
	v_add_f32_e32 v17, v17, v30
	v_lshlrev_b32_e32 v25, 16, v38
	s_wait_dscnt 0x9
	s_delay_alu instid0(VALU_DEP_3)
	v_fmac_f32_e32 v0, v22, v26
	s_wait_dscnt 0x8
	v_dual_mul_f32 v22, v23, v27 :: v_dual_sub_f32 v23, v24, v45
	s_wait_loadcnt 0x5
	v_lshlrev_b32_e32 v26, 16, v28
	s_wait_loadcnt 0x4
	v_dual_add_f32 v17, v17, v27 :: v_dual_lshlrev_b32 v24, 16, v29
	s_wait_dscnt 0x7
	v_fmac_f32_e32 v0, v22, v42
	s_wait_dscnt 0x5
	s_delay_alu instid0(VALU_DEP_2) | instskip(SKIP_3) | instid1(VALU_DEP_3)
	v_dual_mul_f32 v22, v23, v25 :: v_dual_sub_f32 v23, v24, v47
	v_add_f32_e32 v17, v17, v25
	s_wait_loadcnt 0x3
	v_lshlrev_b32_e32 v25, 16, v40
	v_fmac_f32_e32 v0, v22, v44
	s_wait_loadcnt 0x2
	v_dual_add_f32 v17, v17, v26 :: v_dual_lshlrev_b32 v24, 16, v41
	v_mul_f32_e32 v22, v23, v26
	s_wait_loadcnt_dscnt 0x104
	s_delay_alu instid0(VALU_DEP_2)
	v_dual_sub_f32 v23, v24, v49 :: v_dual_lshlrev_b32 v20, 16, v20
	s_wait_loadcnt 0x0
	v_lshlrev_b32_e32 v21, 16, v21
	s_wait_dscnt 0x3
	v_dual_add_f32 v17, v17, v25 :: v_dual_fmac_f32 v0, v22, v46
	s_wait_dscnt 0x2
	v_sub_f32_e32 v18, v20, v18
	v_mul_f32_e32 v22, v23, v25
	s_delay_alu instid0(VALU_DEP_3) | instskip(NEXT) | instid1(VALU_DEP_3)
	v_add_f32_e32 v17, v17, v21
	v_mul_f32_e32 v18, v18, v21
	s_wait_dscnt 0x1
	s_delay_alu instid0(VALU_DEP_3) | instskip(SKIP_1) | instid1(VALU_DEP_1)
	v_fmac_f32_e32 v0, v22, v48
	s_wait_dscnt 0x0
	v_fmac_f32_e32 v0, v18, v19
	s_wait_alu 0xfffe
	s_cbranch_vccz .LBB110_10
.LBB110_7:                              ; =>This Inner Loop Header: Depth=1
	v_dual_mov_b32 v19, 0 :: v_dual_mov_b32 v18, 0
	s_and_saveexec_b32 s1, s0
	s_cbranch_execz .LBB110_6
; %bb.8:                                ;   in Loop: Header=BB110_7 Depth=1
	v_dual_mov_b32 v18, 0 :: v_dual_mov_b32 v19, 0
	s_mov_b32 s26, exec_lo
	v_cmpx_gt_i64_e64 s[16:17], v[2:3]
	s_cbranch_execz .LBB110_5
; %bb.9:                                ;   in Loop: Header=BB110_7 Depth=1
	v_add_co_u32 v18, vcc_lo, s8, v4
	s_wait_alu 0xfffd
	v_add_co_ci_u32_e64 v19, null, s9, v5, vcc_lo
	v_add_co_u32 v20, vcc_lo, s10, v4
	s_wait_alu 0xfffd
	v_add_co_ci_u32_e64 v21, null, s11, v5, vcc_lo
	global_load_b32 v18, v[18:19], off
	global_load_b32 v19, v[20:21], off
	s_branch .LBB110_5
.LBB110_10:
	v_mov_b32_e32 v1, v7
.LBB110_11:
	s_delay_alu instid0(VALU_DEP_1) | instskip(SKIP_2) | instid1(VALU_DEP_2)
	v_mad_u32_u24 v2, v1, 33, v6
	v_lshrrev_b32_e32 v3, 5, v6
	s_mov_b32 s0, exec_lo
	v_lshl_add_u32 v4, v2, 2, 0
	s_delay_alu instid0(VALU_DEP_2)
	v_add_nc_u32_e32 v2, v3, v1
	ds_store_b32 v4, v0
	ds_store_b32 v4, v17 offset:1056
	s_wait_dscnt 0x0
	s_barrier_signal -1
	s_barrier_wait -1
	global_inv scope:SCOPE_SE
	v_cmpx_gt_u32_e32 32, v2
	s_cbranch_execz .LBB110_43
; %bb.12:
	v_and_b32_e32 v0, 31, v6
                                        ; implicit-def: $vgpr1
	s_delay_alu instid0(VALU_DEP_1)
	v_cmp_gt_u32_e64 s0, 8, v0
	v_mul_u32_u24_e32 v3, 33, v0
                                        ; implicit-def: $vgpr0
	s_wait_alu 0xfffe
	s_and_saveexec_b32 s1, s0
	s_cbranch_execz .LBB110_14
; %bb.13:
	s_delay_alu instid0(VALU_DEP_1) | instskip(NEXT) | instid1(VALU_DEP_1)
	v_add_nc_u32_e32 v0, v2, v3
	v_lshl_add_u32 v0, v0, 2, 0
	ds_load_b32 v1, v0
	ds_load_b32 v0, v0 offset:1056
.LBB110_14:
	s_wait_alu 0xfffe
	s_or_b32 exec_lo, exec_lo, s1
	v_mbcnt_lo_u32_b32 v7, -1, 0
	s_mov_b32 s2, ttmp9
	s_mov_b32 s3, 0
	v_cmp_eq_u32_e64 s1, 0, v6
	s_wait_alu 0xfffe
	s_lshl_b64 s[2:3], s[2:3], 5
	v_xor_b32_e32 v4, 4, v7
	v_xor_b32_e32 v5, 2, v7
	;; [unrolled: 1-line block ×3, first 2 shown]
	s_wait_kmcnt 0x0
	s_cmp_lg_u64 s[12:13], 0
	s_cselect_b32 s5, -1, 0
	v_cmp_gt_i32_e32 vcc_lo, 32, v4
	s_cmp_lg_u64 s[14:15], 0
	s_cselect_b32 s4, -1, 0
	s_wait_alu 0xfffd
	v_cndmask_b32_e32 v4, v7, v4, vcc_lo
	v_cmp_gt_i32_e32 vcc_lo, 32, v5
	s_wait_alu 0xfffd
	v_cndmask_b32_e32 v5, v7, v5, vcc_lo
	v_cmp_gt_i32_e32 vcc_lo, 32, v10
	s_delay_alu instid0(VALU_DEP_2)
	v_lshlrev_b32_e32 v5, 2, v5
	s_wait_alu 0xfffd
	v_dual_cndmask_b32 v7, v7, v10 :: v_dual_lshlrev_b32 v4, 2, v4
	s_wait_dscnt 0x1
	ds_bpermute_b32 v8, v4, v1
	s_wait_dscnt 0x1
	ds_bpermute_b32 v9, v4, v0
	s_wait_dscnt 0x0
	v_dual_add_f32 v1, v1, v8 :: v_dual_add_f32 v0, v0, v9
	ds_bpermute_b32 v8, v5, v1
	ds_bpermute_b32 v9, v5, v0
	s_wait_dscnt 0x0
	v_dual_add_f32 v0, v0, v9 :: v_dual_lshlrev_b32 v7, 2, v7
	ds_bpermute_b32 v9, v7, v0
	v_add_f32_e32 v1, v1, v8
	ds_bpermute_b32 v8, v7, v1
	s_wait_dscnt 0x0
	v_add_f32_e32 v6, v1, v8
	v_add_f32_e32 v8, v0, v9
	s_and_saveexec_b32 s6, s1
	s_cbranch_execz .LBB110_19
; %bb.15:
	s_wait_alu 0xfffe
	v_mov_b32_e32 v1, s3
	v_or_b32_e32 v0, s2, v2
	s_and_not1_b32 vcc_lo, exec_lo, s5
	s_delay_alu instid0(VALU_DEP_1)
	v_lshlrev_b64_e32 v[0:1], 1, v[0:1]
	s_wait_alu 0xfffe
	s_cbranch_vccnz .LBB110_17
; %bb.16:
	v_bfe_u32 v9, v6, 16, 1
	v_cmp_o_f32_e32 vcc_lo, v6, v6
	s_delay_alu instid0(VALU_DEP_2) | instskip(NEXT) | instid1(VALU_DEP_1)
	v_add3_u32 v9, v6, v9, 0x7fff
	v_lshrrev_b32_e32 v9, 16, v9
	s_wait_alu 0xfffd
	s_delay_alu instid0(VALU_DEP_1)
	v_cndmask_b32_e32 v11, 0x7fc0, v9, vcc_lo
	v_add_co_u32 v9, vcc_lo, s12, v0
	s_wait_alu 0xfffd
	v_add_co_ci_u32_e64 v10, null, s13, v1, vcc_lo
	global_store_b16 v[9:10], v11, off
.LBB110_17:
	s_and_not1_b32 vcc_lo, exec_lo, s4
	s_wait_alu 0xfffe
	s_cbranch_vccnz .LBB110_19
; %bb.18:
	v_bfe_u32 v9, v8, 16, 1
	v_cmp_o_f32_e32 vcc_lo, v8, v8
	s_delay_alu instid0(VALU_DEP_2) | instskip(NEXT) | instid1(VALU_DEP_1)
	v_add3_u32 v9, v8, v9, 0x7fff
	v_lshrrev_b32_e32 v9, 16, v9
	s_wait_alu 0xfffd
	s_delay_alu instid0(VALU_DEP_1)
	v_cndmask_b32_e32 v9, 0x7fc0, v9, vcc_lo
	v_add_co_u32 v0, vcc_lo, s14, v0
	s_wait_alu 0xfffd
	v_add_co_ci_u32_e64 v1, null, s15, v1, vcc_lo
	global_store_b16 v[0:1], v9, off
.LBB110_19:
	s_wait_alu 0xfffe
	s_or_b32 exec_lo, exec_lo, s6
	v_cmp_gt_u32_e32 vcc_lo, 24, v2
	s_and_b32 exec_lo, exec_lo, vcc_lo
	s_cbranch_execz .LBB110_43
; %bb.20:
	s_and_saveexec_b32 s6, s0
	s_cbranch_execz .LBB110_22
; %bb.21:
	v_add_nc_u32_e32 v0, v2, v3
	s_delay_alu instid0(VALU_DEP_1)
	v_lshl_add_u32 v0, v0, 2, 0
	ds_load_b32 v6, v0 offset:32
	ds_load_b32 v8, v0 offset:1088
.LBB110_22:
	s_wait_alu 0xfffe
	s_or_b32 exec_lo, exec_lo, s6
	s_wait_dscnt 0x1
	ds_bpermute_b32 v0, v4, v6
	s_wait_dscnt 0x1
	ds_bpermute_b32 v1, v4, v8
	s_wait_dscnt 0x0
	v_dual_add_f32 v0, v6, v0 :: v_dual_add_f32 v1, v8, v1
	ds_bpermute_b32 v6, v5, v0
	ds_bpermute_b32 v8, v5, v1
	s_wait_dscnt 0x0
	v_dual_add_f32 v0, v0, v6 :: v_dual_add_f32 v1, v1, v8
	ds_bpermute_b32 v6, v7, v0
	ds_bpermute_b32 v8, v7, v1
	s_wait_dscnt 0x0
	v_dual_add_f32 v0, v0, v6 :: v_dual_add_f32 v1, v1, v8
	s_and_saveexec_b32 s6, s1
	s_cbranch_execz .LBB110_27
; %bb.23:
	s_and_not1_b32 vcc_lo, exec_lo, s5
	s_wait_alu 0xfffe
	s_cbranch_vccnz .LBB110_25
; %bb.24:
	v_bfe_u32 v6, v0, 16, 1
	v_add_co_u32 v8, s7, s2, v2
	s_wait_alu 0xf1ff
	v_add_co_ci_u32_e64 v9, null, s3, 0, s7
	s_delay_alu instid0(VALU_DEP_3) | instskip(SKIP_1) | instid1(VALU_DEP_3)
	v_add3_u32 v6, v0, v6, 0x7fff
	v_cmp_o_f32_e32 vcc_lo, v0, v0
	v_lshlrev_b64_e32 v[8:9], 1, v[8:9]
	s_delay_alu instid0(VALU_DEP_3) | instskip(SKIP_1) | instid1(VALU_DEP_1)
	v_lshrrev_b32_e32 v6, 16, v6
	s_wait_alu 0xfffd
	v_cndmask_b32_e32 v6, 0x7fc0, v6, vcc_lo
	s_delay_alu instid0(VALU_DEP_3)
	v_add_co_u32 v8, vcc_lo, s12, v8
	s_wait_alu 0xfffd
	v_add_co_ci_u32_e64 v9, null, s13, v9, vcc_lo
	global_store_b16 v[8:9], v6, off offset:16
.LBB110_25:
	s_and_not1_b32 vcc_lo, exec_lo, s4
	s_wait_alu 0xfffe
	s_cbranch_vccnz .LBB110_27
; %bb.26:
	v_bfe_u32 v6, v1, 16, 1
	v_add_co_u32 v8, s7, s2, v2
	s_wait_alu 0xf1ff
	v_add_co_ci_u32_e64 v9, null, s3, 0, s7
	s_delay_alu instid0(VALU_DEP_3) | instskip(SKIP_1) | instid1(VALU_DEP_3)
	v_add3_u32 v6, v1, v6, 0x7fff
	v_cmp_o_f32_e32 vcc_lo, v1, v1
	v_lshlrev_b64_e32 v[8:9], 1, v[8:9]
	s_delay_alu instid0(VALU_DEP_3) | instskip(SKIP_1) | instid1(VALU_DEP_1)
	v_lshrrev_b32_e32 v6, 16, v6
	s_wait_alu 0xfffd
	v_cndmask_b32_e32 v6, 0x7fc0, v6, vcc_lo
	s_delay_alu instid0(VALU_DEP_3)
	v_add_co_u32 v8, vcc_lo, s14, v8
	s_wait_alu 0xfffd
	v_add_co_ci_u32_e64 v9, null, s15, v9, vcc_lo
	global_store_b16 v[8:9], v6, off offset:16
.LBB110_27:
	s_wait_alu 0xfffe
	s_or_b32 exec_lo, exec_lo, s6
	v_cmp_gt_u32_e32 vcc_lo, 16, v2
	s_and_b32 exec_lo, exec_lo, vcc_lo
	s_cbranch_execz .LBB110_43
; %bb.28:
	s_and_saveexec_b32 s6, s0
	s_cbranch_execz .LBB110_30
; %bb.29:
	v_add_nc_u32_e32 v0, v2, v3
	s_delay_alu instid0(VALU_DEP_1)
	v_lshl_add_u32 v1, v0, 2, 0
	ds_load_b32 v0, v1 offset:64
	ds_load_b32 v1, v1 offset:1120
.LBB110_30:
	s_wait_alu 0xfffe
	s_or_b32 exec_lo, exec_lo, s6
	s_wait_dscnt 0x1
	ds_bpermute_b32 v6, v4, v0
	s_wait_dscnt 0x1
	ds_bpermute_b32 v8, v4, v1
	s_wait_dscnt 0x0
	v_dual_add_f32 v0, v0, v6 :: v_dual_add_f32 v1, v1, v8
	ds_bpermute_b32 v6, v5, v0
	ds_bpermute_b32 v8, v5, v1
	s_wait_dscnt 0x0
	v_dual_add_f32 v0, v0, v6 :: v_dual_add_f32 v1, v1, v8
	ds_bpermute_b32 v6, v7, v0
	ds_bpermute_b32 v8, v7, v1
	s_wait_dscnt 0x0
	v_dual_add_f32 v0, v0, v6 :: v_dual_add_f32 v1, v1, v8
	s_and_saveexec_b32 s6, s1
	s_cbranch_execz .LBB110_35
; %bb.31:
	s_and_not1_b32 vcc_lo, exec_lo, s5
	s_wait_alu 0xfffe
	s_cbranch_vccnz .LBB110_33
; %bb.32:
	v_bfe_u32 v6, v0, 16, 1
	v_add_co_u32 v8, s7, s2, v2
	s_wait_alu 0xf1ff
	v_add_co_ci_u32_e64 v9, null, s3, 0, s7
	s_delay_alu instid0(VALU_DEP_3) | instskip(SKIP_1) | instid1(VALU_DEP_3)
	v_add3_u32 v6, v0, v6, 0x7fff
	v_cmp_o_f32_e32 vcc_lo, v0, v0
	v_lshlrev_b64_e32 v[8:9], 1, v[8:9]
	s_delay_alu instid0(VALU_DEP_3) | instskip(SKIP_1) | instid1(VALU_DEP_1)
	v_lshrrev_b32_e32 v6, 16, v6
	s_wait_alu 0xfffd
	v_cndmask_b32_e32 v6, 0x7fc0, v6, vcc_lo
	s_delay_alu instid0(VALU_DEP_3)
	v_add_co_u32 v8, vcc_lo, s12, v8
	s_wait_alu 0xfffd
	v_add_co_ci_u32_e64 v9, null, s13, v9, vcc_lo
	global_store_b16 v[8:9], v6, off offset:32
.LBB110_33:
	s_and_not1_b32 vcc_lo, exec_lo, s4
	s_wait_alu 0xfffe
	s_cbranch_vccnz .LBB110_35
; %bb.34:
	v_bfe_u32 v6, v1, 16, 1
	v_add_co_u32 v8, s7, s2, v2
	s_wait_alu 0xf1ff
	v_add_co_ci_u32_e64 v9, null, s3, 0, s7
	s_delay_alu instid0(VALU_DEP_3) | instskip(SKIP_1) | instid1(VALU_DEP_3)
	v_add3_u32 v6, v1, v6, 0x7fff
	v_cmp_o_f32_e32 vcc_lo, v1, v1
	v_lshlrev_b64_e32 v[8:9], 1, v[8:9]
	s_delay_alu instid0(VALU_DEP_3) | instskip(SKIP_1) | instid1(VALU_DEP_1)
	v_lshrrev_b32_e32 v6, 16, v6
	s_wait_alu 0xfffd
	v_cndmask_b32_e32 v6, 0x7fc0, v6, vcc_lo
	s_delay_alu instid0(VALU_DEP_3)
	v_add_co_u32 v8, vcc_lo, s14, v8
	s_wait_alu 0xfffd
	v_add_co_ci_u32_e64 v9, null, s15, v9, vcc_lo
	global_store_b16 v[8:9], v6, off offset:32
.LBB110_35:
	s_wait_alu 0xfffe
	s_or_b32 exec_lo, exec_lo, s6
	v_cmp_gt_u32_e32 vcc_lo, 8, v2
	s_and_b32 exec_lo, exec_lo, vcc_lo
	s_cbranch_execz .LBB110_43
; %bb.36:
	s_and_saveexec_b32 s6, s0
	s_cbranch_execz .LBB110_38
; %bb.37:
	v_add_nc_u32_e32 v0, v2, v3
	s_delay_alu instid0(VALU_DEP_1)
	v_lshl_add_u32 v1, v0, 2, 0
	ds_load_b32 v0, v1 offset:96
	ds_load_b32 v1, v1 offset:1152
.LBB110_38:
	s_wait_alu 0xfffe
	s_or_b32 exec_lo, exec_lo, s6
	s_wait_dscnt 0x1
	ds_bpermute_b32 v3, v4, v0
	s_wait_dscnt 0x1
	ds_bpermute_b32 v4, v4, v1
	s_wait_dscnt 0x0
	v_dual_add_f32 v0, v0, v3 :: v_dual_add_f32 v1, v1, v4
	ds_bpermute_b32 v3, v5, v0
	ds_bpermute_b32 v4, v5, v1
	s_wait_dscnt 0x0
	v_dual_add_f32 v3, v0, v3 :: v_dual_add_f32 v0, v1, v4
	ds_bpermute_b32 v4, v7, v3
	ds_bpermute_b32 v1, v7, v0
	s_and_b32 exec_lo, exec_lo, s1
	s_cbranch_execz .LBB110_43
; %bb.39:
	s_and_not1_b32 vcc_lo, exec_lo, s5
	s_wait_alu 0xfffe
	s_cbranch_vccnz .LBB110_41
; %bb.40:
	s_wait_dscnt 0x1
	v_add_f32_e32 v5, v3, v4
	s_delay_alu instid0(VALU_DEP_1) | instskip(SKIP_1) | instid1(VALU_DEP_2)
	v_bfe_u32 v3, v5, 16, 1
	v_cmp_o_f32_e32 vcc_lo, v5, v5
	v_add3_u32 v6, v5, v3, 0x7fff
	v_add_co_u32 v3, s0, s2, v2
	s_wait_alu 0xf1ff
	v_add_co_ci_u32_e64 v4, null, s3, 0, s0
	s_delay_alu instid0(VALU_DEP_3) | instskip(NEXT) | instid1(VALU_DEP_2)
	v_lshrrev_b32_e32 v6, 16, v6
	v_lshlrev_b64_e32 v[3:4], 1, v[3:4]
	s_wait_alu 0xfffd
	s_delay_alu instid0(VALU_DEP_2) | instskip(NEXT) | instid1(VALU_DEP_2)
	v_cndmask_b32_e32 v5, 0x7fc0, v6, vcc_lo
	v_add_co_u32 v3, vcc_lo, s12, v3
	s_wait_alu 0xfffd
	s_delay_alu instid0(VALU_DEP_3)
	v_add_co_ci_u32_e64 v4, null, s13, v4, vcc_lo
	global_store_b16 v[3:4], v5, off offset:48
.LBB110_41:
	s_and_not1_b32 vcc_lo, exec_lo, s4
	s_wait_alu 0xfffe
	s_cbranch_vccnz .LBB110_43
; %bb.42:
	s_wait_dscnt 0x0
	v_add_f32_e32 v3, v0, v1
	s_delay_alu instid0(VALU_DEP_1) | instskip(SKIP_1) | instid1(VALU_DEP_2)
	v_bfe_u32 v0, v3, 16, 1
	v_cmp_o_f32_e32 vcc_lo, v3, v3
	v_add3_u32 v4, v3, v0, 0x7fff
	v_add_co_u32 v0, s0, s2, v2
	s_wait_alu 0xf1ff
	v_add_co_ci_u32_e64 v1, null, s3, 0, s0
	s_delay_alu instid0(VALU_DEP_3) | instskip(NEXT) | instid1(VALU_DEP_2)
	v_lshrrev_b32_e32 v2, 16, v4
	v_lshlrev_b64_e32 v[0:1], 1, v[0:1]
	s_wait_alu 0xfffd
	s_delay_alu instid0(VALU_DEP_2) | instskip(NEXT) | instid1(VALU_DEP_2)
	v_cndmask_b32_e32 v2, 0x7fc0, v2, vcc_lo
	v_add_co_u32 v0, vcc_lo, s14, v0
	s_wait_alu 0xfffd
	s_delay_alu instid0(VALU_DEP_3)
	v_add_co_ci_u32_e64 v1, null, s15, v1, vcc_lo
	global_store_b16 v[0:1], v2, off offset:48
.LBB110_43:
	s_endpgm
	.section	.rodata,"a",@progbits
	.p2align	6, 0x0
	.amdhsa_kernel _ZN2at6native12_GLOBAL__N_135GammaBetaBackwardCUDAKernelTemplateIN3c108BFloat16EfLj32ELj8ELj64ELb0ELb1ELb0EEEvllPKT_S7_PKT0_SA_PS5_SB_
		.amdhsa_group_segment_fixed_size 0
		.amdhsa_private_segment_fixed_size 0
		.amdhsa_kernarg_size 320
		.amdhsa_user_sgpr_count 2
		.amdhsa_user_sgpr_dispatch_ptr 0
		.amdhsa_user_sgpr_queue_ptr 0
		.amdhsa_user_sgpr_kernarg_segment_ptr 1
		.amdhsa_user_sgpr_dispatch_id 0
		.amdhsa_user_sgpr_private_segment_size 0
		.amdhsa_wavefront_size32 1
		.amdhsa_uses_dynamic_stack 0
		.amdhsa_enable_private_segment 0
		.amdhsa_system_sgpr_workgroup_id_x 1
		.amdhsa_system_sgpr_workgroup_id_y 1
		.amdhsa_system_sgpr_workgroup_id_z 0
		.amdhsa_system_sgpr_workgroup_info 0
		.amdhsa_system_vgpr_workitem_id 1
		.amdhsa_next_free_vgpr 50
		.amdhsa_next_free_sgpr 27
		.amdhsa_reserve_vcc 1
		.amdhsa_float_round_mode_32 0
		.amdhsa_float_round_mode_16_64 0
		.amdhsa_float_denorm_mode_32 3
		.amdhsa_float_denorm_mode_16_64 3
		.amdhsa_fp16_overflow 0
		.amdhsa_workgroup_processor_mode 1
		.amdhsa_memory_ordered 1
		.amdhsa_forward_progress 1
		.amdhsa_inst_pref_size 27
		.amdhsa_round_robin_scheduling 0
		.amdhsa_exception_fp_ieee_invalid_op 0
		.amdhsa_exception_fp_denorm_src 0
		.amdhsa_exception_fp_ieee_div_zero 0
		.amdhsa_exception_fp_ieee_overflow 0
		.amdhsa_exception_fp_ieee_underflow 0
		.amdhsa_exception_fp_ieee_inexact 0
		.amdhsa_exception_int_div_zero 0
	.end_amdhsa_kernel
	.section	.text._ZN2at6native12_GLOBAL__N_135GammaBetaBackwardCUDAKernelTemplateIN3c108BFloat16EfLj32ELj8ELj64ELb0ELb1ELb0EEEvllPKT_S7_PKT0_SA_PS5_SB_,"axG",@progbits,_ZN2at6native12_GLOBAL__N_135GammaBetaBackwardCUDAKernelTemplateIN3c108BFloat16EfLj32ELj8ELj64ELb0ELb1ELb0EEEvllPKT_S7_PKT0_SA_PS5_SB_,comdat
.Lfunc_end110:
	.size	_ZN2at6native12_GLOBAL__N_135GammaBetaBackwardCUDAKernelTemplateIN3c108BFloat16EfLj32ELj8ELj64ELb0ELb1ELb0EEEvllPKT_S7_PKT0_SA_PS5_SB_, .Lfunc_end110-_ZN2at6native12_GLOBAL__N_135GammaBetaBackwardCUDAKernelTemplateIN3c108BFloat16EfLj32ELj8ELj64ELb0ELb1ELb0EEEvllPKT_S7_PKT0_SA_PS5_SB_
                                        ; -- End function
	.set _ZN2at6native12_GLOBAL__N_135GammaBetaBackwardCUDAKernelTemplateIN3c108BFloat16EfLj32ELj8ELj64ELb0ELb1ELb0EEEvllPKT_S7_PKT0_SA_PS5_SB_.num_vgpr, 50
	.set _ZN2at6native12_GLOBAL__N_135GammaBetaBackwardCUDAKernelTemplateIN3c108BFloat16EfLj32ELj8ELj64ELb0ELb1ELb0EEEvllPKT_S7_PKT0_SA_PS5_SB_.num_agpr, 0
	.set _ZN2at6native12_GLOBAL__N_135GammaBetaBackwardCUDAKernelTemplateIN3c108BFloat16EfLj32ELj8ELj64ELb0ELb1ELb0EEEvllPKT_S7_PKT0_SA_PS5_SB_.numbered_sgpr, 27
	.set _ZN2at6native12_GLOBAL__N_135GammaBetaBackwardCUDAKernelTemplateIN3c108BFloat16EfLj32ELj8ELj64ELb0ELb1ELb0EEEvllPKT_S7_PKT0_SA_PS5_SB_.num_named_barrier, 0
	.set _ZN2at6native12_GLOBAL__N_135GammaBetaBackwardCUDAKernelTemplateIN3c108BFloat16EfLj32ELj8ELj64ELb0ELb1ELb0EEEvllPKT_S7_PKT0_SA_PS5_SB_.private_seg_size, 0
	.set _ZN2at6native12_GLOBAL__N_135GammaBetaBackwardCUDAKernelTemplateIN3c108BFloat16EfLj32ELj8ELj64ELb0ELb1ELb0EEEvllPKT_S7_PKT0_SA_PS5_SB_.uses_vcc, 1
	.set _ZN2at6native12_GLOBAL__N_135GammaBetaBackwardCUDAKernelTemplateIN3c108BFloat16EfLj32ELj8ELj64ELb0ELb1ELb0EEEvllPKT_S7_PKT0_SA_PS5_SB_.uses_flat_scratch, 0
	.set _ZN2at6native12_GLOBAL__N_135GammaBetaBackwardCUDAKernelTemplateIN3c108BFloat16EfLj32ELj8ELj64ELb0ELb1ELb0EEEvllPKT_S7_PKT0_SA_PS5_SB_.has_dyn_sized_stack, 0
	.set _ZN2at6native12_GLOBAL__N_135GammaBetaBackwardCUDAKernelTemplateIN3c108BFloat16EfLj32ELj8ELj64ELb0ELb1ELb0EEEvllPKT_S7_PKT0_SA_PS5_SB_.has_recursion, 0
	.set _ZN2at6native12_GLOBAL__N_135GammaBetaBackwardCUDAKernelTemplateIN3c108BFloat16EfLj32ELj8ELj64ELb0ELb1ELb0EEEvllPKT_S7_PKT0_SA_PS5_SB_.has_indirect_call, 0
	.section	.AMDGPU.csdata,"",@progbits
; Kernel info:
; codeLenInByte = 3348
; TotalNumSgprs: 29
; NumVgprs: 50
; ScratchSize: 0
; MemoryBound: 0
; FloatMode: 240
; IeeeMode: 1
; LDSByteSize: 0 bytes/workgroup (compile time only)
; SGPRBlocks: 0
; VGPRBlocks: 6
; NumSGPRsForWavesPerEU: 29
; NumVGPRsForWavesPerEU: 50
; Occupancy: 16
; WaveLimiterHint : 0
; COMPUTE_PGM_RSRC2:SCRATCH_EN: 0
; COMPUTE_PGM_RSRC2:USER_SGPR: 2
; COMPUTE_PGM_RSRC2:TRAP_HANDLER: 0
; COMPUTE_PGM_RSRC2:TGID_X_EN: 1
; COMPUTE_PGM_RSRC2:TGID_Y_EN: 1
; COMPUTE_PGM_RSRC2:TGID_Z_EN: 0
; COMPUTE_PGM_RSRC2:TIDIG_COMP_CNT: 1
	.section	.text._ZN2at6native12_GLOBAL__N_135GammaBetaBackwardCUDAKernelTemplateIN3c108BFloat16EfLj32ELj8ELj64ELb0ELb0ELb0EEEvllPKT_S7_PKT0_SA_PS5_SB_,"axG",@progbits,_ZN2at6native12_GLOBAL__N_135GammaBetaBackwardCUDAKernelTemplateIN3c108BFloat16EfLj32ELj8ELj64ELb0ELb0ELb0EEEvllPKT_S7_PKT0_SA_PS5_SB_,comdat
	.globl	_ZN2at6native12_GLOBAL__N_135GammaBetaBackwardCUDAKernelTemplateIN3c108BFloat16EfLj32ELj8ELj64ELb0ELb0ELb0EEEvllPKT_S7_PKT0_SA_PS5_SB_ ; -- Begin function _ZN2at6native12_GLOBAL__N_135GammaBetaBackwardCUDAKernelTemplateIN3c108BFloat16EfLj32ELj8ELj64ELb0ELb0ELb0EEEvllPKT_S7_PKT0_SA_PS5_SB_
	.p2align	8
	.type	_ZN2at6native12_GLOBAL__N_135GammaBetaBackwardCUDAKernelTemplateIN3c108BFloat16EfLj32ELj8ELj64ELb0ELb0ELb0EEEvllPKT_S7_PKT0_SA_PS5_SB_,@function
_ZN2at6native12_GLOBAL__N_135GammaBetaBackwardCUDAKernelTemplateIN3c108BFloat16EfLj32ELj8ELj64ELb0ELb0ELb0EEEvllPKT_S7_PKT0_SA_PS5_SB_: ; @_ZN2at6native12_GLOBAL__N_135GammaBetaBackwardCUDAKernelTemplateIN3c108BFloat16EfLj32ELj8ELj64ELb0ELb0ELb0EEEvllPKT_S7_PKT0_SA_PS5_SB_
; %bb.0:
	s_clause 0x1
	s_load_b256 s[4:11], s[0:1], 0x0
	s_load_b128 s[12:15], s[0:1], 0x20
	s_lshl_b32 s30, ttmp9, 5
	s_mov_b32 s17, 0
	s_or_b32 s16, s30, 31
	s_wait_kmcnt 0x0
	v_cmp_le_i64_e64 s2, s[6:7], s[16:17]
	s_lshl_b32 s16, ttmp7, 6
	s_wait_alu 0xfffe
	v_cmp_gt_i64_e64 s31, s[4:5], s[16:17]
	s_and_b32 vcc_lo, exec_lo, s2
	v_cndmask_b32_e64 v1, 0, 1, s31
	s_delay_alu instid0(VALU_DEP_1)
	v_cmp_ne_u32_e64 s2, 1, v1
	s_cbranch_vccz .LBB111_49
; %bb.1:
	v_dual_mov_b32 v10, 0 :: v_dual_mov_b32 v55, 0
	s_and_b32 vcc_lo, exec_lo, s2
	s_cbranch_vccnz .LBB111_50
; %bb.2:
	v_bfe_u32 v20, v0, 10, 10
	v_dual_mov_b32 v1, 0 :: v_dual_and_b32 v22, 0x3ff, v0
	s_load_b32 s3, s[0:1], 0x44
	s_mov_b32 s19, 0
	s_delay_alu instid0(VALU_DEP_2) | instskip(NEXT) | instid1(VALU_DEP_2)
	v_dual_mov_b32 v56, 0 :: v_dual_lshlrev_b32 v21, 3, v20
	v_dual_mov_b32 v3, v1 :: v_dual_add_nc_u32 v2, s30, v22
	s_mov_b32 s23, s19
	s_delay_alu instid0(VALU_DEP_2) | instskip(NEXT) | instid1(VALU_DEP_1)
	v_add_co_u32 v10, s2, v21, s16
	v_add_co_ci_u32_e64 v11, null, 0, 0, s2
	s_delay_alu instid0(VALU_DEP_3) | instskip(NEXT) | instid1(VALU_DEP_3)
	v_cmp_gt_i64_e64 s2, s[6:7], v[2:3]
	v_mul_lo_u32 v6, s7, v10
	v_mad_co_u64_u32 v[4:5], null, s6, v10, 0
	s_delay_alu instid0(VALU_DEP_4) | instskip(SKIP_1) | instid1(VALU_DEP_1)
	v_mul_lo_u32 v7, s6, v11
	v_add_co_u32 v8, vcc_lo, v10, 7
	v_add_co_ci_u32_e64 v9, null, 0, v11, vcc_lo
	v_lshlrev_b64_e32 v[18:19], 1, v[2:3]
	s_delay_alu instid0(VALU_DEP_3)
	v_mul_lo_u32 v12, s7, v8
	s_wait_kmcnt 0x0
	s_lshl_b32 s22, s3, 6
	v_add3_u32 v5, v5, v7, v6
	v_mad_co_u64_u32 v[6:7], null, s6, v8, 0
	v_add_co_u32 v8, vcc_lo, v10, 6
	v_mul_lo_u32 v13, s6, v9
	s_wait_alu 0xfffd
	v_add_co_ci_u32_e64 v9, null, 0, v11, vcc_lo
	v_lshlrev_b64_e32 v[2:3], 1, v[4:5]
	v_mul_lo_u32 v14, s7, v8
	v_mov_b32_e32 v55, 0
	s_delay_alu instid0(VALU_DEP_4)
	v_mul_lo_u32 v15, s6, v9
	v_mad_co_u64_u32 v[8:9], null, s6, v8, 0
	v_add_co_u32 v23, vcc_lo, s8, v2
	s_wait_alu 0xfffd
	v_add_co_ci_u32_e64 v24, null, s9, v3, vcc_lo
	v_add_co_u32 v25, vcc_lo, s10, v2
	v_add3_u32 v7, v7, v13, v12
	s_wait_alu 0xfffd
	v_add_co_ci_u32_e64 v26, null, s11, v3, vcc_lo
	v_add_co_u32 v12, vcc_lo, v10, 5
	v_add3_u32 v9, v9, v15, v14
	s_wait_alu 0xfffd
	v_add_co_ci_u32_e64 v13, null, 0, v11, vcc_lo
	v_lshlrev_b64_e32 v[2:3], 1, v[6:7]
	v_mul_lo_u32 v14, s7, v12
	v_lshlrev_b64_e32 v[6:7], 1, v[8:9]
	s_delay_alu instid0(VALU_DEP_4)
	v_mul_lo_u32 v13, s6, v13
	v_mad_co_u64_u32 v[8:9], null, s6, v12, 0
	v_add_co_u32 v27, vcc_lo, s8, v2
	s_wait_alu 0xfffd
	v_add_co_ci_u32_e64 v28, null, s9, v3, vcc_lo
	v_add_co_u32 v29, vcc_lo, s10, v2
	s_wait_alu 0xfffd
	v_add_co_ci_u32_e64 v30, null, s11, v3, vcc_lo
	v_add_co_u32 v31, vcc_lo, s8, v6
	v_add3_u32 v9, v9, v13, v14
	s_wait_alu 0xfffd
	v_add_co_ci_u32_e64 v32, null, s9, v7, vcc_lo
	v_add_co_u32 v12, vcc_lo, v10, 4
	v_add_co_u32 v33, s3, s10, v6
	s_wait_alu 0xfffd
	v_add_co_ci_u32_e64 v6, null, 0, v11, vcc_lo
	v_lshlrev_b64_e32 v[2:3], 1, v[8:9]
	v_add_co_u32 v8, vcc_lo, v10, 3
	s_wait_alu 0xfffd
	v_add_co_ci_u32_e64 v9, null, 0, v11, vcc_lo
	s_wait_alu 0xf1ff
	v_add_co_ci_u32_e64 v34, null, s11, v7, s3
	v_mul_lo_u32 v13, s7, v12
	v_mul_lo_u32 v14, s6, v6
	v_mad_co_u64_u32 v[6:7], null, s6, v12, 0
	v_mul_lo_u32 v12, s7, v8
	v_mul_lo_u32 v15, s6, v9
	v_mad_co_u64_u32 v[8:9], null, s6, v8, 0
	v_add_co_u32 v35, vcc_lo, s8, v2
	s_wait_alu 0xfffd
	v_add_co_ci_u32_e64 v36, null, s9, v3, vcc_lo
	v_add3_u32 v7, v7, v14, v13
	v_add_co_u32 v37, vcc_lo, s10, v2
	s_wait_alu 0xfffd
	v_add_co_ci_u32_e64 v38, null, s11, v3, vcc_lo
	v_add_co_u32 v10, vcc_lo, v10, 2
	v_add3_u32 v9, v9, v15, v12
	s_wait_alu 0xfffd
	v_add_co_ci_u32_e64 v11, null, 0, v11, vcc_lo
	v_lshlrev_b64_e32 v[2:3], 1, v[6:7]
	v_mul_lo_u32 v12, s7, v10
	v_lshlrev_b64_e32 v[6:7], 1, v[8:9]
	s_delay_alu instid0(VALU_DEP_4)
	v_mul_lo_u32 v11, s6, v11
	v_mad_co_u64_u32 v[8:9], null, s6, v10, 0
	v_add_co_u32 v39, vcc_lo, s8, v2
	s_wait_alu 0xfffd
	v_add_co_ci_u32_e64 v40, null, s9, v3, vcc_lo
	v_add_co_u32 v41, vcc_lo, s10, v2
	s_wait_alu 0xfffd
	v_add_co_ci_u32_e64 v42, null, s11, v3, vcc_lo
	;; [unrolled: 3-line block ×3, first 2 shown]
	v_add3_u32 v9, v9, v11, v12
	v_add_co_u32 v45, vcc_lo, s10, v6
	s_wait_alu 0xfffd
	v_add_co_ci_u32_e64 v46, null, s11, v7, vcc_lo
	v_add_co_u32 v4, vcc_lo, v4, s6
	s_wait_alu 0xfffd
	v_add_co_ci_u32_e64 v5, null, s7, v5, vcc_lo
	v_lshlrev_b64_e32 v[2:3], 1, v[8:9]
	s_mul_u64 s[24:25], s[6:7], s[22:23]
	s_add_nc_u64 s[20:21], s[0:1], 64
	s_delay_alu instid0(VALU_DEP_2)
	v_lshlrev_b64_e32 v[4:5], 1, v[4:5]
	s_lshl_b64 s[24:25], s[24:25], 1
	s_add_nc_u64 s[26:27], s[16:17], 63
	v_add_co_u32 v47, vcc_lo, s8, v2
	s_wait_alu 0xfffd
	v_add_co_ci_u32_e64 v48, null, s9, v3, vcc_lo
	v_add_co_u32 v49, vcc_lo, s10, v2
	s_wait_alu 0xfffd
	v_add_co_ci_u32_e64 v50, null, s11, v3, vcc_lo
	;; [unrolled: 3-line block ×4, first 2 shown]
	s_mov_b64 s[28:29], s[16:17]
.LBB111_3:                              ; =>This Inner Loop Header: Depth=1
	v_cmp_ge_i64_e64 s3, s[26:27], s[4:5]
	v_add_co_u32 v57, s18, v21, s26
	s_wait_alu 0xf1ff
	v_add_co_ci_u32_e64 v58, null, 0, s27, s18
                                        ; implicit-def: $vgpr10_vgpr11_vgpr12_vgpr13_vgpr14_vgpr15_vgpr16_vgpr17
                                        ; implicit-def: $vgpr2_vgpr3_vgpr4_vgpr5_vgpr6_vgpr7_vgpr8_vgpr9
                                        ; implicit-def: $vgpr60
                                        ; implicit-def: $vgpr2
	s_and_b32 vcc_lo, exec_lo, s3
	s_mov_b32 s3, -1
                                        ; implicit-def: $vgpr10
                                        ; implicit-def: $vgpr3
	s_wait_alu 0xfffe
	s_cbranch_vccz .LBB111_25
; %bb.4:                                ;   in Loop: Header=BB111_3 Depth=1
	s_load_b32 s3, s[20:21], 0xc
	v_dual_mov_b32 v60, 0 :: v_dual_mov_b32 v59, 0
	s_wait_kmcnt 0x0
	s_and_b32 s3, s3, 0xffff
	s_wait_alu 0xfffe
	v_mad_u32_u24 v2, v20, s3, v22
	s_mov_b32 s3, exec_lo
	s_delay_alu instid0(VALU_DEP_1) | instskip(NEXT) | instid1(VALU_DEP_1)
	v_and_b32_e32 v2, 31, v2
	v_cmpx_gt_u32_e32 8, v2
	s_cbranch_execz .LBB111_8
; %bb.5:                                ;   in Loop: Header=BB111_3 Depth=1
	v_add_co_u32 v2, vcc_lo, v57, v2
	s_wait_alu 0xfffd
	v_add_co_ci_u32_e64 v3, null, 0, v58, vcc_lo
	v_dual_mov_b32 v59, 0 :: v_dual_mov_b32 v60, 0
	s_delay_alu instid0(VALU_DEP_3) | instskip(SKIP_1) | instid1(VALU_DEP_3)
	v_add_co_u32 v2, vcc_lo, 0xffffffc1, v2
	s_wait_alu 0xfffd
	v_add_co_ci_u32_e64 v3, null, -1, v3, vcc_lo
	s_mov_b32 s18, exec_lo
	v_cmpx_gt_i64_e64 s[4:5], v[2:3]
	s_cbranch_execz .LBB111_7
; %bb.6:                                ;   in Loop: Header=BB111_3 Depth=1
	v_lshlrev_b64_e32 v[2:3], 2, v[2:3]
	s_delay_alu instid0(VALU_DEP_1) | instskip(SKIP_1) | instid1(VALU_DEP_2)
	v_add_co_u32 v4, vcc_lo, s12, v2
	s_wait_alu 0xfffd
	v_add_co_ci_u32_e64 v5, null, s13, v3, vcc_lo
	v_add_co_u32 v2, vcc_lo, s14, v2
	s_wait_alu 0xfffd
	v_add_co_ci_u32_e64 v3, null, s15, v3, vcc_lo
	global_load_b32 v59, v[4:5], off
	global_load_b32 v60, v[2:3], off
.LBB111_7:                              ;   in Loop: Header=BB111_3 Depth=1
	s_wait_alu 0xfffe
	s_or_b32 exec_lo, exec_lo, s18
.LBB111_8:                              ;   in Loop: Header=BB111_3 Depth=1
	s_wait_alu 0xfffe
	s_or_b32 exec_lo, exec_lo, s3
	v_add_co_u32 v9, vcc_lo, 0xffffffc1, v57
	s_wait_alu 0xfffd
	v_add_co_ci_u32_e64 v10, null, -1, v58, vcc_lo
	v_mov_b32_e32 v8, v1
	v_dual_mov_b32 v2, v1 :: v_dual_mov_b32 v3, v1
	v_dual_mov_b32 v4, v1 :: v_dual_mov_b32 v5, v1
	;; [unrolled: 1-line block ×3, first 2 shown]
	v_cmp_gt_i64_e32 vcc_lo, s[4:5], v[9:10]
	s_delay_alu instid0(VALU_DEP_3) | instskip(NEXT) | instid1(VALU_DEP_3)
	v_dual_mov_b32 v17, v8 :: v_dual_mov_b32 v14, v5
	v_dual_mov_b32 v15, v6 :: v_dual_mov_b32 v16, v7
	;; [unrolled: 1-line block ×4, first 2 shown]
	v_mov_b32_e32 v9, v8
	v_mov_b32_e32 v8, v7
	;; [unrolled: 1-line block ×8, first 2 shown]
	s_and_b32 s18, s2, vcc_lo
	s_wait_alu 0xfffe
	s_and_saveexec_b32 s3, s18
	s_cbranch_execz .LBB111_10
; %bb.9:                                ;   in Loop: Header=BB111_3 Depth=1
	v_add_co_u32 v2, vcc_lo, v23, v18
	s_wait_alu 0xfffd
	v_add_co_ci_u32_e64 v3, null, v24, v19, vcc_lo
	v_add_co_u32 v4, vcc_lo, v25, v18
	s_wait_alu 0xfffd
	v_add_co_ci_u32_e64 v5, null, v26, v19, vcc_lo
	global_load_u16 v2, v[2:3], off
	global_load_u16 v10, v[4:5], off
	v_dual_mov_b32 v3, v1 :: v_dual_mov_b32 v4, v1
	v_dual_mov_b32 v5, v1 :: v_dual_mov_b32 v6, v1
	;; [unrolled: 1-line block ×6, first 2 shown]
	v_mov_b32_e32 v15, v1
	s_wait_loadcnt 0x1
	v_dual_mov_b32 v17, v1 :: v_dual_lshlrev_b32 v2, 16, v2
	s_wait_loadcnt 0x0
	v_lshlrev_b32_e32 v10, 16, v10
.LBB111_10:                             ;   in Loop: Header=BB111_3 Depth=1
	s_wait_alu 0xfffe
	s_or_b32 exec_lo, exec_lo, s3
	v_add_co_u32 v61, vcc_lo, 0xffffffc2, v57
	s_wait_alu 0xfffd
	v_add_co_ci_u32_e64 v62, null, -1, v58, vcc_lo
	s_delay_alu instid0(VALU_DEP_1)
	v_cmp_gt_i64_e32 vcc_lo, s[4:5], v[61:62]
	s_and_b32 s18, s2, vcc_lo
	s_wait_alu 0xfffe
	s_and_saveexec_b32 s3, s18
	s_cbranch_execz .LBB111_12
; %bb.11:                               ;   in Loop: Header=BB111_3 Depth=1
	v_add_co_u32 v61, vcc_lo, v51, v18
	s_wait_alu 0xfffd
	v_add_co_ci_u32_e64 v62, null, v52, v19, vcc_lo
	v_add_co_u32 v63, vcc_lo, v53, v18
	s_wait_alu 0xfffd
	v_add_co_ci_u32_e64 v64, null, v54, v19, vcc_lo
	global_load_u16 v3, v[61:62], off
	global_load_u16 v11, v[63:64], off
	s_wait_loadcnt 0x1
	v_lshlrev_b32_e32 v3, 16, v3
	s_wait_loadcnt 0x0
	v_lshlrev_b32_e32 v11, 16, v11
.LBB111_12:                             ;   in Loop: Header=BB111_3 Depth=1
	s_wait_alu 0xfffe
	s_or_b32 exec_lo, exec_lo, s3
	v_add_co_u32 v61, vcc_lo, 0xffffffc3, v57
	s_wait_alu 0xfffd
	v_add_co_ci_u32_e64 v62, null, -1, v58, vcc_lo
	s_delay_alu instid0(VALU_DEP_1)
	v_cmp_gt_i64_e32 vcc_lo, s[4:5], v[61:62]
	s_and_b32 s18, s2, vcc_lo
	s_wait_alu 0xfffe
	s_and_saveexec_b32 s3, s18
	s_cbranch_execz .LBB111_14
; %bb.13:                               ;   in Loop: Header=BB111_3 Depth=1
	v_add_co_u32 v61, vcc_lo, v47, v18
	s_wait_alu 0xfffd
	v_add_co_ci_u32_e64 v62, null, v48, v19, vcc_lo
	v_add_co_u32 v63, vcc_lo, v49, v18
	s_wait_alu 0xfffd
	v_add_co_ci_u32_e64 v64, null, v50, v19, vcc_lo
	global_load_u16 v4, v[61:62], off
	global_load_u16 v12, v[63:64], off
	s_wait_loadcnt 0x1
	v_lshlrev_b32_e32 v4, 16, v4
	s_wait_loadcnt 0x0
	v_lshlrev_b32_e32 v12, 16, v12
.LBB111_14:                             ;   in Loop: Header=BB111_3 Depth=1
	;; [unrolled: 25-line block ×7, first 2 shown]
	s_wait_alu 0xfffe
	s_or_b32 exec_lo, exec_lo, s3
	s_wait_loadcnt 0x1
	ds_bpermute_b32 v61, v1, v59
	ds_bpermute_b32 v62, v1, v59 offset:4
	ds_bpermute_b32 v63, v1, v59 offset:8
	s_wait_loadcnt 0x0
	ds_bpermute_b32 v64, v1, v60
	ds_bpermute_b32 v65, v1, v59 offset:12
	ds_bpermute_b32 v66, v1, v60 offset:4
	;; [unrolled: 1-line block ×7, first 2 shown]
	s_mov_b32 s3, 0
	s_wait_dscnt 0xa
	v_dual_sub_f32 v10, v10, v61 :: v_dual_add_f32 v61, v55, v2
	s_wait_dscnt 0x8
	v_dual_sub_f32 v11, v11, v62 :: v_dual_sub_f32 v12, v12, v63
	ds_bpermute_b32 v62, v1, v60 offset:16
	v_mul_f32_e32 v2, v2, v10
	ds_bpermute_b32 v63, v1, v60 offset:20
	v_dual_mul_f32 v11, v3, v11 :: v_dual_mul_f32 v12, v4, v12
	v_add_f32_e32 v3, v3, v61
	s_wait_dscnt 0x9
	v_fma_f32 v10, v2, v64, v56
	s_wait_dscnt 0x8
	v_sub_f32_e32 v2, v13, v65
	ds_bpermute_b32 v64, v1, v60 offset:24
	ds_bpermute_b32 v60, v1, v60 offset:28
	s_wait_dscnt 0x9
	v_dual_add_f32 v3, v4, v3 :: v_dual_fmac_f32 v10, v11, v66
	s_wait_dscnt 0x8
	v_sub_f32_e32 v11, v14, v67
	v_mul_f32_e32 v13, v5, v2
	ds_bpermute_b32 v2, v1, v59 offset:28
	s_wait_dscnt 0x6
	v_sub_f32_e32 v4, v15, v70
	v_dual_fmac_f32 v10, v12, v68 :: v_dual_mul_f32 v11, v6, v11
	v_add_f32_e32 v3, v5, v3
	s_wait_dscnt 0x5
	s_delay_alu instid0(VALU_DEP_3) | instskip(NEXT) | instid1(VALU_DEP_2)
	v_dual_sub_f32 v5, v16, v71 :: v_dual_mul_f32 v4, v7, v4
	v_dual_fmac_f32 v10, v13, v69 :: v_dual_add_f32 v3, v6, v3
	s_wait_dscnt 0x4
	s_delay_alu instid0(VALU_DEP_1) | instskip(SKIP_1) | instid1(VALU_DEP_1)
	v_dual_mul_f32 v5, v8, v5 :: v_dual_fmac_f32 v10, v11, v62
	s_wait_dscnt 0x3
	v_fmac_f32_e32 v10, v4, v63
	s_wait_dscnt 0x2
	s_delay_alu instid0(VALU_DEP_1) | instskip(NEXT) | instid1(VALU_DEP_1)
	v_dual_add_f32 v3, v7, v3 :: v_dual_fmac_f32 v10, v5, v64
	v_add_f32_e32 v3, v8, v3
.LBB111_25:                             ;   in Loop: Header=BB111_3 Depth=1
	s_wait_alu 0xfffe
	s_and_b32 vcc_lo, exec_lo, s3
	s_wait_alu 0xfffe
	s_cbranch_vccz .LBB111_40
; %bb.26:                               ;   in Loop: Header=BB111_3 Depth=1
	s_load_b32 s3, s[20:21], 0x0
	s_wait_dscnt 0x1
	v_dual_mov_b32 v60, 0 :: v_dual_mov_b32 v59, 0
	s_wait_kmcnt 0x0
	s_cmp_lt_u32 ttmp9, s3
	s_cselect_b32 s18, 12, 18
	s_wait_alu 0xfffe
	s_add_nc_u64 s[34:35], s[20:21], s[18:19]
	s_load_u16 s3, s[34:35], 0x0
	s_wait_dscnt 0x0
	s_wait_kmcnt 0x0
	v_mad_u32_u24 v2, v20, s3, v22
	s_mov_b32 s3, exec_lo
	s_delay_alu instid0(VALU_DEP_1) | instskip(NEXT) | instid1(VALU_DEP_1)
	v_and_b32_e32 v2, 31, v2
	v_cmpx_gt_u32_e32 8, v2
	s_cbranch_execz .LBB111_30
; %bb.27:                               ;   in Loop: Header=BB111_3 Depth=1
	v_add_co_u32 v2, vcc_lo, v57, v2
	s_wait_alu 0xfffd
	v_add_co_ci_u32_e64 v3, null, 0, v58, vcc_lo
	v_dual_mov_b32 v59, 0 :: v_dual_mov_b32 v60, 0
	s_delay_alu instid0(VALU_DEP_3) | instskip(SKIP_1) | instid1(VALU_DEP_3)
	v_add_co_u32 v2, vcc_lo, 0xffffffc1, v2
	s_wait_alu 0xfffd
	v_add_co_ci_u32_e64 v3, null, -1, v3, vcc_lo
	s_mov_b32 s18, exec_lo
	v_cmpx_gt_i64_e64 s[4:5], v[2:3]
	s_cbranch_execz .LBB111_29
; %bb.28:                               ;   in Loop: Header=BB111_3 Depth=1
	v_lshlrev_b64_e32 v[2:3], 2, v[2:3]
	s_delay_alu instid0(VALU_DEP_1) | instskip(SKIP_1) | instid1(VALU_DEP_2)
	v_add_co_u32 v4, vcc_lo, s12, v2
	s_wait_alu 0xfffd
	v_add_co_ci_u32_e64 v5, null, s13, v3, vcc_lo
	v_add_co_u32 v2, vcc_lo, s14, v2
	s_wait_alu 0xfffd
	v_add_co_ci_u32_e64 v3, null, s15, v3, vcc_lo
	global_load_b32 v59, v[4:5], off
	global_load_b32 v60, v[2:3], off
.LBB111_29:                             ;   in Loop: Header=BB111_3 Depth=1
	s_wait_alu 0xfffe
	s_or_b32 exec_lo, exec_lo, s18
.LBB111_30:                             ;   in Loop: Header=BB111_3 Depth=1
	s_wait_alu 0xfffe
	s_or_b32 exec_lo, exec_lo, s3
	v_mov_b32_e32 v8, v1
	v_dual_mov_b32 v2, v1 :: v_dual_mov_b32 v3, v1
	v_dual_mov_b32 v4, v1 :: v_dual_mov_b32 v5, v1
	;; [unrolled: 1-line block ×3, first 2 shown]
	s_delay_alu instid0(VALU_DEP_4) | instskip(NEXT) | instid1(VALU_DEP_3)
	v_mov_b32_e32 v17, v8
	v_dual_mov_b32 v13, v4 :: v_dual_mov_b32 v12, v3
	s_delay_alu instid0(VALU_DEP_3) | instskip(NEXT) | instid1(VALU_DEP_4)
	v_dual_mov_b32 v15, v6 :: v_dual_mov_b32 v14, v5
	v_dual_mov_b32 v16, v7 :: v_dual_mov_b32 v11, v2
	;; [unrolled: 1-line block ×3, first 2 shown]
	v_mov_b32_e32 v8, v7
	v_mov_b32_e32 v7, v6
	;; [unrolled: 1-line block ×7, first 2 shown]
	s_and_saveexec_b32 s3, s2
	s_cbranch_execnz .LBB111_42
; %bb.31:                               ;   in Loop: Header=BB111_3 Depth=1
	s_wait_alu 0xfffe
	s_or_b32 exec_lo, exec_lo, s3
	s_and_saveexec_b32 s3, s2
	s_cbranch_execnz .LBB111_43
.LBB111_32:                             ;   in Loop: Header=BB111_3 Depth=1
	s_wait_alu 0xfffe
	s_or_b32 exec_lo, exec_lo, s3
	s_and_saveexec_b32 s3, s2
	s_cbranch_execnz .LBB111_44
.LBB111_33:                             ;   in Loop: Header=BB111_3 Depth=1
	s_wait_alu 0xfffe
	s_or_b32 exec_lo, exec_lo, s3
	s_and_saveexec_b32 s3, s2
	s_cbranch_execnz .LBB111_45
.LBB111_34:                             ;   in Loop: Header=BB111_3 Depth=1
	s_wait_alu 0xfffe
	s_or_b32 exec_lo, exec_lo, s3
	s_and_saveexec_b32 s3, s2
	s_cbranch_execnz .LBB111_46
.LBB111_35:                             ;   in Loop: Header=BB111_3 Depth=1
	s_wait_alu 0xfffe
	s_or_b32 exec_lo, exec_lo, s3
	s_and_saveexec_b32 s3, s2
	s_cbranch_execnz .LBB111_47
.LBB111_36:                             ;   in Loop: Header=BB111_3 Depth=1
	s_wait_alu 0xfffe
	s_or_b32 exec_lo, exec_lo, s3
	s_and_saveexec_b32 s3, s2
	s_cbranch_execnz .LBB111_48
.LBB111_37:                             ;   in Loop: Header=BB111_3 Depth=1
	s_wait_alu 0xfffe
	s_or_b32 exec_lo, exec_lo, s3
	s_and_saveexec_b32 s3, s2
	s_cbranch_execz .LBB111_39
.LBB111_38:                             ;   in Loop: Header=BB111_3 Depth=1
	v_add_co_u32 v57, vcc_lo, v27, v18
	s_wait_alu 0xfffd
	v_add_co_ci_u32_e64 v58, null, v28, v19, vcc_lo
	v_add_co_u32 v61, vcc_lo, v29, v18
	s_wait_alu 0xfffd
	v_add_co_ci_u32_e64 v62, null, v30, v19, vcc_lo
	global_load_u16 v9, v[57:58], off
	global_load_u16 v17, v[61:62], off
	s_wait_loadcnt 0x1
	v_lshlrev_b32_e32 v9, 16, v9
	s_wait_loadcnt 0x0
	v_lshlrev_b32_e32 v17, 16, v17
.LBB111_39:                             ;   in Loop: Header=BB111_3 Depth=1
	s_wait_alu 0xfffe
	s_or_b32 exec_lo, exec_lo, s3
	s_wait_loadcnt 0x1
	ds_bpermute_b32 v57, v1, v59
	ds_bpermute_b32 v58, v1, v59 offset:4
	ds_bpermute_b32 v61, v1, v59 offset:8
	s_wait_loadcnt 0x0
	ds_bpermute_b32 v62, v1, v60
	ds_bpermute_b32 v63, v1, v59 offset:12
	ds_bpermute_b32 v64, v1, v60 offset:4
	ds_bpermute_b32 v65, v1, v59 offset:16
	ds_bpermute_b32 v67, v1, v59 offset:20
	ds_bpermute_b32 v66, v1, v60 offset:8
	s_wait_dscnt 0x7
	v_dual_sub_f32 v10, v10, v57 :: v_dual_sub_f32 v11, v11, v58
	ds_bpermute_b32 v57, v1, v60 offset:12
	s_wait_dscnt 0x7
	v_sub_f32_e32 v12, v12, v61
	ds_bpermute_b32 v58, v1, v60 offset:20
	v_dual_mul_f32 v10, v2, v10 :: v_dual_mul_f32 v11, v3, v11
	s_wait_dscnt 0x6
	v_dual_add_f32 v2, v55, v2 :: v_dual_sub_f32 v13, v13, v63
	ds_bpermute_b32 v55, v1, v60 offset:16
	v_fmac_f32_e32 v56, v10, v62
	ds_bpermute_b32 v10, v1, v59 offset:24
	s_wait_dscnt 0x6
	v_dual_add_f32 v2, v3, v2 :: v_dual_sub_f32 v3, v14, v65
	v_dual_fmac_f32 v56, v11, v64 :: v_dual_mul_f32 v11, v5, v13
	s_wait_dscnt 0x5
	v_dual_sub_f32 v13, v15, v67 :: v_dual_mul_f32 v12, v4, v12
	s_wait_dscnt 0x4
	s_delay_alu instid0(VALU_DEP_1)
	v_dual_mul_f32 v3, v6, v3 :: v_dual_fmac_f32 v56, v12, v66
	ds_bpermute_b32 v12, v1, v60 offset:24
	ds_bpermute_b32 v60, v1, v60 offset:28
	s_wait_dscnt 0x5
	v_fmac_f32_e32 v56, v11, v57
	s_wait_dscnt 0x2
	s_delay_alu instid0(VALU_DEP_1) | instskip(NEXT) | instid1(VALU_DEP_1)
	v_dual_fmac_f32 v56, v3, v55 :: v_dual_sub_f32 v3, v16, v10
	v_mul_f32_e32 v3, v8, v3
	v_add_f32_e32 v4, v4, v2
	ds_bpermute_b32 v2, v1, v59 offset:28
	v_dual_add_f32 v4, v5, v4 :: v_dual_mul_f32 v5, v7, v13
	s_delay_alu instid0(VALU_DEP_1) | instskip(NEXT) | instid1(VALU_DEP_2)
	v_add_f32_e32 v4, v6, v4
	v_fmac_f32_e32 v56, v5, v58
	s_delay_alu instid0(VALU_DEP_2) | instskip(SKIP_1) | instid1(VALU_DEP_2)
	v_add_f32_e32 v4, v7, v4
	s_wait_dscnt 0x2
	v_fmac_f32_e32 v56, v3, v12
	s_delay_alu instid0(VALU_DEP_2) | instskip(NEXT) | instid1(VALU_DEP_2)
	v_add_f32_e32 v3, v8, v4
	v_mov_b32_e32 v10, v56
.LBB111_40:                             ;   in Loop: Header=BB111_3 Depth=1
	v_add_co_u32 v23, vcc_lo, v23, s24
	s_wait_alu 0xfffd
	v_add_co_ci_u32_e64 v24, null, s25, v24, vcc_lo
	v_add_co_u32 v25, vcc_lo, v25, s24
	s_wait_alu 0xfffd
	v_add_co_ci_u32_e64 v26, null, s25, v26, vcc_lo
	;; [unrolled: 3-line block ×10, first 2 shown]
	v_add_co_u32 v43, vcc_lo, v43, s24
	s_wait_dscnt 0x0
	v_dual_sub_f32 v2, v17, v2 :: v_dual_add_f32 v55, v3, v9
	s_wait_alu 0xfffd
	v_add_co_ci_u32_e64 v44, null, s25, v44, vcc_lo
	v_add_co_u32 v45, vcc_lo, v45, s24
	s_wait_alu 0xfffd
	v_add_co_ci_u32_e64 v46, null, s25, v46, vcc_lo
	v_add_co_u32 v47, vcc_lo, v47, s24
	;; [unrolled: 3-line block ×3, first 2 shown]
	s_add_nc_u64 s[28:29], s[28:29], s[22:23]
	v_mul_f32_e32 v2, v9, v2
	s_wait_alu 0xfffd
	v_add_co_ci_u32_e64 v50, null, s25, v50, vcc_lo
	v_add_co_u32 v51, vcc_lo, v51, s24
	s_wait_alu 0xfffe
	v_cmp_lt_i64_e64 s3, s[28:29], s[4:5]
	s_wait_alu 0xfffd
	v_add_co_ci_u32_e64 v52, null, s25, v52, vcc_lo
	v_add_co_u32 v53, vcc_lo, v53, s24
	v_fmac_f32_e32 v10, v2, v60
	s_wait_alu 0xfffd
	v_add_co_ci_u32_e64 v54, null, s25, v54, vcc_lo
	s_and_b32 vcc_lo, exec_lo, s3
	s_add_nc_u64 s[26:27], s[26:27], s[22:23]
	s_wait_alu 0xfffe
	s_cbranch_vccz .LBB111_50
; %bb.41:                               ;   in Loop: Header=BB111_3 Depth=1
	v_mov_b32_e32 v56, v10
	s_branch .LBB111_3
.LBB111_42:                             ;   in Loop: Header=BB111_3 Depth=1
	v_add_co_u32 v2, vcc_lo, v23, v18
	s_wait_alu 0xfffd
	v_add_co_ci_u32_e64 v3, null, v24, v19, vcc_lo
	v_add_co_u32 v4, vcc_lo, v25, v18
	s_wait_alu 0xfffd
	v_add_co_ci_u32_e64 v5, null, v26, v19, vcc_lo
	global_load_u16 v2, v[2:3], off
	global_load_u16 v10, v[4:5], off
	v_dual_mov_b32 v3, v1 :: v_dual_mov_b32 v4, v1
	v_dual_mov_b32 v5, v1 :: v_dual_mov_b32 v6, v1
	;; [unrolled: 1-line block ×6, first 2 shown]
	v_mov_b32_e32 v15, v1
	s_wait_loadcnt 0x1
	v_dual_mov_b32 v17, v1 :: v_dual_lshlrev_b32 v2, 16, v2
	s_wait_loadcnt 0x0
	v_lshlrev_b32_e32 v10, 16, v10
	s_wait_alu 0xfffe
	s_or_b32 exec_lo, exec_lo, s3
	s_and_saveexec_b32 s3, s2
	s_cbranch_execz .LBB111_32
.LBB111_43:                             ;   in Loop: Header=BB111_3 Depth=1
	v_add_co_u32 v57, vcc_lo, v51, v18
	s_wait_alu 0xfffd
	v_add_co_ci_u32_e64 v58, null, v52, v19, vcc_lo
	v_add_co_u32 v61, vcc_lo, v53, v18
	s_wait_alu 0xfffd
	v_add_co_ci_u32_e64 v62, null, v54, v19, vcc_lo
	global_load_u16 v3, v[57:58], off
	global_load_u16 v11, v[61:62], off
	s_wait_loadcnt 0x1
	v_lshlrev_b32_e32 v3, 16, v3
	s_wait_loadcnt 0x0
	v_lshlrev_b32_e32 v11, 16, v11
	s_wait_alu 0xfffe
	s_or_b32 exec_lo, exec_lo, s3
	s_and_saveexec_b32 s3, s2
	s_cbranch_execz .LBB111_33
.LBB111_44:                             ;   in Loop: Header=BB111_3 Depth=1
	v_add_co_u32 v57, vcc_lo, v47, v18
	s_wait_alu 0xfffd
	v_add_co_ci_u32_e64 v58, null, v48, v19, vcc_lo
	v_add_co_u32 v61, vcc_lo, v49, v18
	s_wait_alu 0xfffd
	v_add_co_ci_u32_e64 v62, null, v50, v19, vcc_lo
	global_load_u16 v4, v[57:58], off
	global_load_u16 v12, v[61:62], off
	s_wait_loadcnt 0x1
	v_lshlrev_b32_e32 v4, 16, v4
	s_wait_loadcnt 0x0
	v_lshlrev_b32_e32 v12, 16, v12
	s_wait_alu 0xfffe
	s_or_b32 exec_lo, exec_lo, s3
	s_and_saveexec_b32 s3, s2
	s_cbranch_execz .LBB111_34
.LBB111_45:                             ;   in Loop: Header=BB111_3 Depth=1
	v_add_co_u32 v57, vcc_lo, v43, v18
	s_wait_alu 0xfffd
	v_add_co_ci_u32_e64 v58, null, v44, v19, vcc_lo
	v_add_co_u32 v61, vcc_lo, v45, v18
	s_wait_alu 0xfffd
	v_add_co_ci_u32_e64 v62, null, v46, v19, vcc_lo
	global_load_u16 v5, v[57:58], off
	global_load_u16 v13, v[61:62], off
	s_wait_loadcnt 0x1
	v_lshlrev_b32_e32 v5, 16, v5
	s_wait_loadcnt 0x0
	v_lshlrev_b32_e32 v13, 16, v13
	s_wait_alu 0xfffe
	s_or_b32 exec_lo, exec_lo, s3
	s_and_saveexec_b32 s3, s2
	s_cbranch_execz .LBB111_35
.LBB111_46:                             ;   in Loop: Header=BB111_3 Depth=1
	v_add_co_u32 v57, vcc_lo, v39, v18
	s_wait_alu 0xfffd
	v_add_co_ci_u32_e64 v58, null, v40, v19, vcc_lo
	v_add_co_u32 v61, vcc_lo, v41, v18
	s_wait_alu 0xfffd
	v_add_co_ci_u32_e64 v62, null, v42, v19, vcc_lo
	global_load_u16 v6, v[57:58], off
	global_load_u16 v14, v[61:62], off
	s_wait_loadcnt 0x1
	v_lshlrev_b32_e32 v6, 16, v6
	s_wait_loadcnt 0x0
	v_lshlrev_b32_e32 v14, 16, v14
	s_wait_alu 0xfffe
	s_or_b32 exec_lo, exec_lo, s3
	s_and_saveexec_b32 s3, s2
	s_cbranch_execz .LBB111_36
.LBB111_47:                             ;   in Loop: Header=BB111_3 Depth=1
	v_add_co_u32 v57, vcc_lo, v35, v18
	s_wait_alu 0xfffd
	v_add_co_ci_u32_e64 v58, null, v36, v19, vcc_lo
	v_add_co_u32 v61, vcc_lo, v37, v18
	s_wait_alu 0xfffd
	v_add_co_ci_u32_e64 v62, null, v38, v19, vcc_lo
	global_load_u16 v7, v[57:58], off
	global_load_u16 v15, v[61:62], off
	s_wait_loadcnt 0x1
	v_lshlrev_b32_e32 v7, 16, v7
	s_wait_loadcnt 0x0
	v_lshlrev_b32_e32 v15, 16, v15
	s_wait_alu 0xfffe
	s_or_b32 exec_lo, exec_lo, s3
	s_and_saveexec_b32 s3, s2
	s_cbranch_execz .LBB111_37
.LBB111_48:                             ;   in Loop: Header=BB111_3 Depth=1
	v_add_co_u32 v57, vcc_lo, v31, v18
	s_wait_alu 0xfffd
	v_add_co_ci_u32_e64 v58, null, v32, v19, vcc_lo
	v_add_co_u32 v61, vcc_lo, v33, v18
	s_wait_alu 0xfffd
	v_add_co_ci_u32_e64 v62, null, v34, v19, vcc_lo
	global_load_u16 v8, v[57:58], off
	global_load_u16 v16, v[61:62], off
	s_wait_loadcnt 0x1
	v_lshlrev_b32_e32 v8, 16, v8
	s_wait_loadcnt 0x0
	v_lshlrev_b32_e32 v16, 16, v16
	s_wait_alu 0xfffe
	s_or_b32 exec_lo, exec_lo, s3
	s_and_saveexec_b32 s3, s2
	s_cbranch_execnz .LBB111_38
	s_branch .LBB111_39
.LBB111_49:
                                        ; implicit-def: $vgpr10
                                        ; implicit-def: $vgpr55
	s_branch .LBB111_51
.LBB111_50:
	s_cbranch_execnz .LBB111_83
.LBB111_51:
	v_dual_mov_b32 v10, 0 :: v_dual_mov_b32 v55, 0
	s_and_not1_b32 vcc_lo, exec_lo, s31
	s_wait_alu 0xfffe
	s_cbranch_vccnz .LBB111_83
; %bb.52:
	v_bfe_u32 v48, v0, 10, 10
	v_dual_mov_b32 v1, 0 :: v_dual_and_b32 v50, 0x3ff, v0
	s_lshl_b64 s[20:21], s[16:17], 1
	s_mov_b32 s3, 0
	s_delay_alu instid0(VALU_DEP_2) | instskip(SKIP_2) | instid1(VALU_DEP_3)
	v_dual_mov_b32 v84, 0 :: v_dual_lshlrev_b32 v49, 3, v48
	v_dual_mov_b32 v85, 0 :: v_dual_lshlrev_b32 v8, 4, v48
	v_dual_mov_b32 v5, v1 :: v_dual_add_nc_u32 v4, s30, v50
	v_add_co_u32 v10, s2, v49, s16
	s_wait_alu 0xf1ff
	v_add_co_ci_u32_e64 v11, null, 0, 0, s2
	s_delay_alu instid0(VALU_DEP_3) | instskip(NEXT) | instid1(VALU_DEP_3)
	v_lshlrev_b64_e32 v[18:19], 1, v[4:5]
	v_mul_lo_u32 v6, s7, v10
	v_mad_co_u64_u32 v[2:3], null, s6, v10, 0
	s_delay_alu instid0(VALU_DEP_4) | instskip(SKIP_2) | instid1(VALU_DEP_1)
	v_mul_lo_u32 v7, s6, v11
	s_load_b32 s2, s[0:1], 0x44
	s_mov_b32 s19, s3
	v_add3_u32 v3, v3, v7, v6
	v_add_co_u32 v6, s18, v8, s20
	s_wait_alu 0xf1ff
	v_add_co_ci_u32_e64 v7, null, 0, s21, s18
	s_delay_alu instid0(VALU_DEP_3) | instskip(NEXT) | instid1(VALU_DEP_3)
	v_lshlrev_b64_e32 v[4:5], 1, v[2:3]
	v_add_co_u32 v8, vcc_lo, v6, 2
	s_wait_alu 0xfffd
	s_delay_alu instid0(VALU_DEP_3) | instskip(NEXT) | instid1(VALU_DEP_3)
	v_add_co_ci_u32_e64 v9, null, 0, v7, vcc_lo
	v_add_co_u32 v51, vcc_lo, s8, v4
	s_wait_alu 0xfffd
	v_add_co_ci_u32_e64 v52, null, s9, v5, vcc_lo
	v_add_co_u32 v53, vcc_lo, s10, v4
	s_wait_alu 0xfffd
	;; [unrolled: 3-line block ×5, first 2 shown]
	v_add_co_ci_u32_e64 v28, null, 0, v7, vcc_lo
	v_add_co_u32 v42, vcc_lo, v6, 10
	v_mad_co_u64_u32 v[22:23], null, s6, v4, s[8:9]
	v_mul_lo_u32 v5, s6, v5
	v_mul_lo_u32 v15, s7, v4
	v_mad_co_u64_u32 v[36:37], null, s6, v4, s[10:11]
	s_wait_alu 0xfffd
	v_add_co_ci_u32_e64 v30, null, 0, v7, vcc_lo
	v_add_co_u32 v44, vcc_lo, v6, 12
	s_wait_alu 0xfffd
	v_add_co_ci_u32_e64 v32, null, 0, v7, vcc_lo
	v_add_co_u32 v6, vcc_lo, v6, 14
	v_mad_co_u64_u32 v[20:21], null, s6, v8, s[8:9]
	v_mul_lo_u32 v9, s6, v9
	v_mul_lo_u32 v12, s7, v8
	v_mad_co_u64_u32 v[34:35], null, s6, v8, s[10:11]
	s_wait_alu 0xfffd
	v_add_co_ci_u32_e64 v7, null, 0, v7, vcc_lo
	v_add_co_u32 v4, vcc_lo, v10, 7
	v_add3_u32 v23, v15, v23, v5
	v_add3_u32 v37, v15, v37, v5
	s_wait_alu 0xfffd
	v_add_co_ci_u32_e64 v5, null, 0, v11, vcc_lo
	v_mul_lo_u32 v61, s6, v7
	v_add_co_u32 v7, vcc_lo, v10, 6
	v_add3_u32 v21, v12, v21, v9
	v_add3_u32 v35, v12, v35, v9
	s_wait_alu 0xfffd
	v_add_co_ci_u32_e64 v12, null, 0, v11, vcc_lo
	v_mul_lo_u32 v8, s7, v4
	v_mul_lo_u32 v9, s6, v5
	v_mad_co_u64_u32 v[4:5], null, s6, v4, 0
	v_mad_co_u64_u32 v[24:25], null, s6, v13, s[8:9]
	v_mul_lo_u32 v17, s7, v13
	v_mul_lo_u32 v59, s6, v32
	v_mad_co_u64_u32 v[32:33], null, s6, v6, s[8:9]
	v_mul_lo_u32 v62, s7, v6
	v_mad_co_u64_u32 v[38:39], null, s6, v13, s[10:11]
	v_mad_co_u64_u32 v[46:47], null, s6, v6, s[10:11]
	v_mul_lo_u32 v13, s7, v7
	v_mul_lo_u32 v12, s6, v12
	v_mad_co_u64_u32 v[6:7], null, s6, v7, 0
	v_add3_u32 v5, v5, v9, v8
	v_add_co_u32 v8, vcc_lo, v10, 5
	v_mad_co_u64_u32 v[26:27], null, s6, v16, s[8:9]
	v_mul_lo_u32 v55, s6, v28
	v_mul_lo_u32 v56, s7, v16
	v_mad_co_u64_u32 v[40:41], null, s6, v16, s[10:11]
	s_wait_alu 0xfffd
	v_add_co_ci_u32_e64 v9, null, 0, v11, vcc_lo
	v_add3_u32 v7, v7, v12, v13
	v_mad_co_u64_u32 v[28:29], null, s6, v42, s[8:9]
	v_mul_lo_u32 v57, s6, v30
	v_mul_lo_u32 v58, s7, v42
	v_mad_co_u64_u32 v[42:43], null, s6, v42, s[10:11]
	v_lshlrev_b64_e32 v[4:5], 1, v[4:5]
	v_mad_co_u64_u32 v[30:31], null, s6, v44, s[8:9]
	v_mul_lo_u32 v60, s7, v44
	v_mad_co_u64_u32 v[44:45], null, s6, v44, s[10:11]
	v_mul_lo_u32 v12, s7, v8
	v_mul_lo_u32 v13, s6, v9
	v_mad_co_u64_u32 v[8:9], null, s6, v8, 0
	v_lshlrev_b64_e32 v[6:7], 1, v[6:7]
	v_add3_u32 v27, v56, v27, v55
	v_add3_u32 v41, v56, v41, v55
	v_add_co_u32 v56, vcc_lo, s8, v4
	v_add3_u32 v29, v58, v29, v57
	v_add3_u32 v43, v58, v43, v57
	s_wait_alu 0xfffd
	v_add_co_ci_u32_e64 v57, null, s9, v5, vcc_lo
	v_add_co_u32 v58, vcc_lo, s10, v4
	v_add3_u32 v31, v60, v31, v59
	v_add3_u32 v45, v60, v45, v59
	s_wait_alu 0xfffd
	v_add_co_ci_u32_e64 v59, null, s11, v5, vcc_lo
	v_add_co_u32 v60, vcc_lo, s8, v6
	v_mul_lo_u32 v14, s6, v14
	v_add3_u32 v9, v9, v13, v12
	v_add3_u32 v33, v62, v33, v61
	;; [unrolled: 1-line block ×3, first 2 shown]
	s_wait_alu 0xfffd
	v_add_co_ci_u32_e64 v61, null, s9, v7, vcc_lo
	v_add_co_u32 v12, vcc_lo, v10, 4
	s_wait_kmcnt 0x0
	s_lshl_b32 s18, s2, 6
	v_add_co_u32 v62, s2, s10, v6
	s_wait_alu 0xfffd
	v_add_co_ci_u32_e64 v6, null, 0, v11, vcc_lo
	v_lshlrev_b64_e32 v[4:5], 1, v[8:9]
	v_add_co_u32 v8, vcc_lo, v10, 3
	s_wait_alu 0xfffd
	v_add_co_ci_u32_e64 v9, null, 0, v11, vcc_lo
	v_add3_u32 v25, v17, v25, v14
	v_add3_u32 v39, v17, v39, v14
	s_wait_alu 0xf1ff
	v_add_co_ci_u32_e64 v63, null, s11, v7, s2
	v_mul_lo_u32 v13, s7, v12
	v_mul_lo_u32 v14, s6, v6
	v_mad_co_u64_u32 v[6:7], null, s6, v12, 0
	v_mul_lo_u32 v12, s7, v8
	v_mul_lo_u32 v15, s6, v9
	v_mad_co_u64_u32 v[8:9], null, s6, v8, 0
	v_add_co_u32 v64, vcc_lo, s8, v4
	s_wait_alu 0xfffd
	v_add_co_ci_u32_e64 v65, null, s9, v5, vcc_lo
	v_add3_u32 v7, v7, v14, v13
	v_add_co_u32 v66, vcc_lo, s10, v4
	s_wait_alu 0xfffd
	v_add_co_ci_u32_e64 v67, null, s11, v5, vcc_lo
	v_add_co_u32 v10, vcc_lo, v10, 2
	v_add3_u32 v9, v9, v15, v12
	s_wait_alu 0xfffd
	v_add_co_ci_u32_e64 v11, null, 0, v11, vcc_lo
	v_lshlrev_b64_e32 v[4:5], 1, v[6:7]
	v_mul_lo_u32 v12, s7, v10
	v_lshlrev_b64_e32 v[6:7], 1, v[8:9]
	s_delay_alu instid0(VALU_DEP_4)
	v_mul_lo_u32 v11, s6, v11
	v_mad_co_u64_u32 v[8:9], null, s6, v10, 0
	v_add_co_u32 v68, vcc_lo, s8, v4
	s_wait_alu 0xfffd
	v_add_co_ci_u32_e64 v69, null, s9, v5, vcc_lo
	v_add_co_u32 v70, vcc_lo, s10, v4
	s_wait_alu 0xfffd
	v_add_co_ci_u32_e64 v71, null, s11, v5, vcc_lo
	;; [unrolled: 3-line block ×3, first 2 shown]
	v_add3_u32 v9, v9, v11, v12
	v_add_co_u32 v74, vcc_lo, s10, v6
	s_wait_alu 0xfffd
	v_add_co_ci_u32_e64 v75, null, s11, v7, vcc_lo
	v_add_co_u32 v2, vcc_lo, v2, s6
	s_wait_alu 0xfffd
	v_add_co_ci_u32_e64 v3, null, s7, v3, vcc_lo
	v_lshlrev_b64_e32 v[4:5], 1, v[8:9]
	s_wait_alu 0xfffe
	s_mul_u64 s[20:21], s[6:7], s[18:19]
	s_delay_alu instid0(VALU_DEP_2) | instskip(NEXT) | instid1(VALU_DEP_2)
	v_lshlrev_b64_e32 v[2:3], 1, v[2:3]
	v_add_co_u32 v76, vcc_lo, s8, v4
	s_wait_alu 0xfffd
	v_add_co_ci_u32_e64 v77, null, s9, v5, vcc_lo
	v_add_co_u32 v78, vcc_lo, s10, v4
	s_wait_alu 0xfffd
	v_add_co_ci_u32_e64 v79, null, s11, v5, vcc_lo
	;; [unrolled: 3-line block ×4, first 2 shown]
	s_add_nc_u64 s[8:9], s[0:1], 64
	s_wait_alu 0xfffe
	s_lshl_b64 s[10:11], s[20:21], 1
	s_add_nc_u64 s[20:21], s[16:17], 63
.LBB111_53:                             ; =>This Inner Loop Header: Depth=1
	s_wait_alu 0xfffe
	v_cmp_ge_i64_e64 s2, s[20:21], s[4:5]
	v_add_co_u32 v86, s22, v49, s20
	s_wait_alu 0xf1ff
	v_add_co_ci_u32_e64 v87, null, 0, s21, s22
                                        ; implicit-def: $vgpr55
                                        ; implicit-def: $vgpr10
	s_and_b32 vcc_lo, exec_lo, s2
	s_mov_b32 s2, -1
	s_wait_alu 0xfffe
	s_cbranch_vccz .LBB111_75
; %bb.54:                               ;   in Loop: Header=BB111_53 Depth=1
	s_load_b32 s2, s[8:9], 0xc
	v_dual_mov_b32 v88, 0 :: v_dual_mov_b32 v55, 0
	s_wait_kmcnt 0x0
	s_and_b32 s2, s2, 0xffff
	s_wait_alu 0xfffe
	v_mad_u32_u24 v2, v48, s2, v50
	s_mov_b32 s2, exec_lo
	s_delay_alu instid0(VALU_DEP_1) | instskip(NEXT) | instid1(VALU_DEP_1)
	v_and_b32_e32 v2, 31, v2
	v_cmpx_gt_u32_e32 8, v2
	s_cbranch_execz .LBB111_58
; %bb.55:                               ;   in Loop: Header=BB111_53 Depth=1
	v_add_co_u32 v2, vcc_lo, v86, v2
	s_wait_alu 0xfffd
	v_add_co_ci_u32_e64 v3, null, 0, v87, vcc_lo
	v_dual_mov_b32 v55, 0 :: v_dual_mov_b32 v88, 0
	s_delay_alu instid0(VALU_DEP_3) | instskip(SKIP_1) | instid1(VALU_DEP_3)
	v_add_co_u32 v2, vcc_lo, 0xffffffc1, v2
	s_wait_alu 0xfffd
	v_add_co_ci_u32_e64 v3, null, -1, v3, vcc_lo
	s_mov_b32 s22, exec_lo
	v_cmpx_gt_i64_e64 s[4:5], v[2:3]
	s_cbranch_execz .LBB111_57
; %bb.56:                               ;   in Loop: Header=BB111_53 Depth=1
	v_lshlrev_b64_e32 v[2:3], 2, v[2:3]
	s_delay_alu instid0(VALU_DEP_1) | instskip(SKIP_1) | instid1(VALU_DEP_2)
	v_add_co_u32 v4, vcc_lo, s12, v2
	s_wait_alu 0xfffd
	v_add_co_ci_u32_e64 v5, null, s13, v3, vcc_lo
	v_add_co_u32 v2, vcc_lo, s14, v2
	s_wait_alu 0xfffd
	v_add_co_ci_u32_e64 v3, null, s15, v3, vcc_lo
	global_load_b32 v55, v[4:5], off
	global_load_b32 v88, v[2:3], off
.LBB111_57:                             ;   in Loop: Header=BB111_53 Depth=1
	s_wait_alu 0xfffe
	s_or_b32 exec_lo, exec_lo, s22
.LBB111_58:                             ;   in Loop: Header=BB111_53 Depth=1
	s_wait_alu 0xfffe
	s_or_b32 exec_lo, exec_lo, s2
	v_add_co_u32 v9, vcc_lo, 0xffffffc1, v86
	s_wait_alu 0xfffd
	v_add_co_ci_u32_e64 v10, null, -1, v87, vcc_lo
	v_mov_b32_e32 v8, v1
	v_dual_mov_b32 v2, v1 :: v_dual_mov_b32 v3, v1
	v_dual_mov_b32 v4, v1 :: v_dual_mov_b32 v5, v1
	;; [unrolled: 1-line block ×3, first 2 shown]
	v_cmp_gt_i64_e32 vcc_lo, s[4:5], v[9:10]
	s_delay_alu instid0(VALU_DEP_3) | instskip(NEXT) | instid1(VALU_DEP_3)
	v_dual_mov_b32 v17, v8 :: v_dual_mov_b32 v14, v5
	v_dual_mov_b32 v15, v6 :: v_dual_mov_b32 v16, v7
	;; [unrolled: 1-line block ×4, first 2 shown]
	v_mov_b32_e32 v9, v8
	v_mov_b32_e32 v8, v7
	;; [unrolled: 1-line block ×8, first 2 shown]
	s_and_saveexec_b32 s2, vcc_lo
	s_cbranch_execz .LBB111_60
; %bb.59:                               ;   in Loop: Header=BB111_53 Depth=1
	v_add_co_u32 v2, vcc_lo, v51, v18
	s_wait_alu 0xfffd
	v_add_co_ci_u32_e64 v3, null, v52, v19, vcc_lo
	v_add_co_u32 v4, vcc_lo, v53, v18
	s_wait_alu 0xfffd
	v_add_co_ci_u32_e64 v5, null, v54, v19, vcc_lo
	global_load_u16 v2, v[2:3], off
	global_load_u16 v10, v[4:5], off
	v_dual_mov_b32 v3, v1 :: v_dual_mov_b32 v4, v1
	v_dual_mov_b32 v5, v1 :: v_dual_mov_b32 v6, v1
	;; [unrolled: 1-line block ×6, first 2 shown]
	v_mov_b32_e32 v15, v1
	s_wait_loadcnt 0x1
	v_dual_mov_b32 v17, v1 :: v_dual_lshlrev_b32 v2, 16, v2
	s_wait_loadcnt 0x0
	v_lshlrev_b32_e32 v10, 16, v10
.LBB111_60:                             ;   in Loop: Header=BB111_53 Depth=1
	s_wait_alu 0xfffe
	s_or_b32 exec_lo, exec_lo, s2
	v_add_co_u32 v89, vcc_lo, 0xffffffc2, v86
	s_wait_alu 0xfffd
	v_add_co_ci_u32_e64 v90, null, -1, v87, vcc_lo
	s_mov_b32 s2, exec_lo
	v_cmpx_gt_i64_e64 s[4:5], v[89:90]
	s_cbranch_execz .LBB111_62
; %bb.61:                               ;   in Loop: Header=BB111_53 Depth=1
	v_add_co_u32 v89, vcc_lo, v80, v18
	s_wait_alu 0xfffd
	v_add_co_ci_u32_e64 v90, null, v81, v19, vcc_lo
	v_add_co_u32 v91, vcc_lo, v82, v18
	s_wait_alu 0xfffd
	v_add_co_ci_u32_e64 v92, null, v83, v19, vcc_lo
	global_load_u16 v3, v[89:90], off
	global_load_u16 v11, v[91:92], off
	s_wait_loadcnt 0x1
	v_lshlrev_b32_e32 v3, 16, v3
	s_wait_loadcnt 0x0
	v_lshlrev_b32_e32 v11, 16, v11
.LBB111_62:                             ;   in Loop: Header=BB111_53 Depth=1
	s_wait_alu 0xfffe
	s_or_b32 exec_lo, exec_lo, s2
	v_add_co_u32 v89, vcc_lo, 0xffffffc3, v86
	s_wait_alu 0xfffd
	v_add_co_ci_u32_e64 v90, null, -1, v87, vcc_lo
	s_mov_b32 s2, exec_lo
	v_cmpx_gt_i64_e64 s[4:5], v[89:90]
	s_cbranch_execz .LBB111_64
; %bb.63:                               ;   in Loop: Header=BB111_53 Depth=1
	v_add_co_u32 v89, vcc_lo, v76, v18
	s_wait_alu 0xfffd
	v_add_co_ci_u32_e64 v90, null, v77, v19, vcc_lo
	v_add_co_u32 v91, vcc_lo, v78, v18
	s_wait_alu 0xfffd
	v_add_co_ci_u32_e64 v92, null, v79, v19, vcc_lo
	global_load_u16 v4, v[89:90], off
	global_load_u16 v12, v[91:92], off
	s_wait_loadcnt 0x1
	v_lshlrev_b32_e32 v4, 16, v4
	s_wait_loadcnt 0x0
	v_lshlrev_b32_e32 v12, 16, v12
.LBB111_64:                             ;   in Loop: Header=BB111_53 Depth=1
	;; [unrolled: 22-line block ×7, first 2 shown]
	s_wait_alu 0xfffe
	s_or_b32 exec_lo, exec_lo, s2
	s_wait_loadcnt 0x1
	ds_bpermute_b32 v90, v1, v55
	s_wait_loadcnt 0x0
	ds_bpermute_b32 v89, v1, v88
	s_mov_b32 s2, 0
	s_wait_dscnt 0x1
	v_sub_f32_e32 v10, v10, v90
	ds_bpermute_b32 v90, v1, v55 offset:4
	s_wait_dscnt 0x0
	v_sub_f32_e32 v11, v11, v90
	s_delay_alu instid0(VALU_DEP_1) | instskip(NEXT) | instid1(VALU_DEP_1)
	v_dual_mul_f32 v11, v3, v11 :: v_dual_mul_f32 v10, v2, v10
	v_fma_f32 v10, v10, v89, v84
	ds_bpermute_b32 v89, v1, v88 offset:4
	s_wait_dscnt 0x0
	v_fmac_f32_e32 v10, v11, v89
	ds_bpermute_b32 v11, v1, v55 offset:8
	s_wait_dscnt 0x0
	v_dual_sub_f32 v11, v12, v11 :: v_dual_add_f32 v2, v85, v2
	s_delay_alu instid0(VALU_DEP_1) | instskip(SKIP_4) | instid1(VALU_DEP_1)
	v_dual_mul_f32 v11, v4, v11 :: v_dual_add_f32 v2, v3, v2
	ds_bpermute_b32 v3, v1, v88 offset:8
	v_add_f32_e32 v2, v4, v2
	ds_bpermute_b32 v4, v1, v55 offset:12
	v_add_f32_e32 v2, v5, v2
	v_add_f32_e32 v2, v6, v2
	s_delay_alu instid0(VALU_DEP_1)
	v_add_f32_e32 v2, v7, v2
	s_wait_dscnt 0x1
	v_fmac_f32_e32 v10, v11, v3
	ds_bpermute_b32 v3, v1, v88 offset:12
	v_add_f32_e32 v2, v8, v2
	s_wait_dscnt 0x1
	v_sub_f32_e32 v4, v13, v4
	s_delay_alu instid0(VALU_DEP_1) | instskip(SKIP_1) | instid1(VALU_DEP_1)
	v_mul_f32_e32 v4, v5, v4
	s_wait_dscnt 0x0
	v_fmac_f32_e32 v10, v4, v3
	ds_bpermute_b32 v4, v1, v55 offset:16
	ds_bpermute_b32 v3, v1, v88 offset:16
	s_wait_dscnt 0x1
	v_sub_f32_e32 v4, v14, v4
	s_delay_alu instid0(VALU_DEP_1) | instskip(SKIP_1) | instid1(VALU_DEP_1)
	v_mul_f32_e32 v4, v6, v4
	s_wait_dscnt 0x0
	v_fmac_f32_e32 v10, v4, v3
	ds_bpermute_b32 v4, v1, v55 offset:20
	ds_bpermute_b32 v3, v1, v88 offset:20
	;; [unrolled: 8-line block ×4, first 2 shown]
	v_add_f32_e32 v55, v9, v2
	s_wait_dscnt 0x1
	v_sub_f32_e32 v4, v17, v4
	s_delay_alu instid0(VALU_DEP_1) | instskip(SKIP_1) | instid1(VALU_DEP_1)
	v_mul_f32_e32 v4, v9, v4
	s_wait_dscnt 0x0
	v_fmac_f32_e32 v10, v4, v3
.LBB111_75:                             ;   in Loop: Header=BB111_53 Depth=1
	s_wait_alu 0xfffe
	s_and_b32 vcc_lo, exec_lo, s2
	s_wait_alu 0xfffe
	s_cbranch_vccz .LBB111_81
; %bb.76:                               ;   in Loop: Header=BB111_53 Depth=1
	s_load_b32 s2, s[8:9], 0x0
	v_dual_mov_b32 v4, 0 :: v_dual_mov_b32 v5, 0
	s_wait_kmcnt 0x0
	s_cmp_lt_u32 ttmp9, s2
	s_cselect_b32 s2, 12, 18
	s_wait_alu 0xfffe
	s_add_nc_u64 s[22:23], s[8:9], s[2:3]
	s_load_u16 s2, s[22:23], 0x0
	s_wait_kmcnt 0x0
	v_mad_u32_u24 v2, v48, s2, v50
	s_mov_b32 s2, exec_lo
	s_delay_alu instid0(VALU_DEP_1) | instskip(NEXT) | instid1(VALU_DEP_1)
	v_and_b32_e32 v2, 31, v2
	v_cmpx_gt_u32_e32 8, v2
	s_cbranch_execz .LBB111_80
; %bb.77:                               ;   in Loop: Header=BB111_53 Depth=1
	v_add_co_u32 v2, vcc_lo, v86, v2
	s_wait_alu 0xfffd
	v_add_co_ci_u32_e64 v3, null, 0, v87, vcc_lo
	v_dual_mov_b32 v4, 0 :: v_dual_mov_b32 v5, 0
	s_delay_alu instid0(VALU_DEP_3) | instskip(SKIP_1) | instid1(VALU_DEP_3)
	v_add_co_u32 v2, vcc_lo, 0xffffffc1, v2
	s_wait_alu 0xfffd
	v_add_co_ci_u32_e64 v3, null, -1, v3, vcc_lo
	s_mov_b32 s22, exec_lo
	v_cmpx_gt_i64_e64 s[4:5], v[2:3]
	s_cbranch_execz .LBB111_79
; %bb.78:                               ;   in Loop: Header=BB111_53 Depth=1
	v_lshlrev_b64_e32 v[2:3], 2, v[2:3]
	s_delay_alu instid0(VALU_DEP_1) | instskip(SKIP_1) | instid1(VALU_DEP_2)
	v_add_co_u32 v4, vcc_lo, s12, v2
	s_wait_alu 0xfffd
	v_add_co_ci_u32_e64 v5, null, s13, v3, vcc_lo
	v_add_co_u32 v2, vcc_lo, s14, v2
	s_wait_alu 0xfffd
	v_add_co_ci_u32_e64 v3, null, s15, v3, vcc_lo
	global_load_b32 v4, v[4:5], off
	global_load_b32 v5, v[2:3], off
.LBB111_79:                             ;   in Loop: Header=BB111_53 Depth=1
	s_wait_alu 0xfffe
	s_or_b32 exec_lo, exec_lo, s22
.LBB111_80:                             ;   in Loop: Header=BB111_53 Depth=1
	s_wait_alu 0xfffe
	s_or_b32 exec_lo, exec_lo, s2
	v_add_co_u32 v2, vcc_lo, v51, v18
	s_wait_alu 0xfffd
	v_add_co_ci_u32_e64 v3, null, v52, v19, vcc_lo
	s_wait_loadcnt 0x1
	ds_bpermute_b32 v88, v1, v4
	global_load_u16 v2, v[2:3], off
	s_wait_loadcnt 0x0
	v_lshlrev_b32_e32 v6, 16, v2
	v_add_co_u32 v2, vcc_lo, v53, v18
	s_wait_alu 0xfffd
	v_add_co_ci_u32_e64 v3, null, v54, v19, vcc_lo
	global_load_u16 v2, v[2:3], off
	s_wait_loadcnt 0x0
	v_lshlrev_b32_e32 v7, 16, v2
	v_add_co_u32 v2, vcc_lo, v20, v18
	s_wait_alu 0xfffd
	v_add_co_ci_u32_e64 v3, null, v21, v19, vcc_lo
	s_wait_dscnt 0x0
	v_sub_f32_e32 v7, v7, v88
	global_load_u16 v2, v[2:3], off
	v_mul_f32_e32 v7, v7, v6
	s_wait_loadcnt 0x0
	v_lshlrev_b32_e32 v8, 16, v2
	v_add_co_u32 v2, vcc_lo, v34, v18
	s_wait_alu 0xfffd
	v_add_co_ci_u32_e64 v3, null, v35, v19, vcc_lo
	global_load_u16 v2, v[2:3], off
	s_wait_loadcnt 0x0
	v_lshlrev_b32_e32 v9, 16, v2
	v_add_co_u32 v2, vcc_lo, v22, v18
	s_wait_alu 0xfffd
	v_add_co_ci_u32_e64 v3, null, v23, v19, vcc_lo
	global_load_u16 v2, v[2:3], off
	;; [unrolled: 6-line block ×13, first 2 shown]
	ds_bpermute_b32 v3, v1, v5
	s_wait_dscnt 0x0
	v_fmac_f32_e32 v84, v7, v3
	ds_bpermute_b32 v7, v1, v4 offset:4
	v_add_f32_e32 v3, v85, v6
	ds_bpermute_b32 v6, v1, v5 offset:4
	s_wait_dscnt 0x1
	v_sub_f32_e32 v7, v9, v7
	v_add_f32_e32 v3, v3, v8
	s_delay_alu instid0(VALU_DEP_2) | instskip(NEXT) | instid1(VALU_DEP_2)
	v_mul_f32_e32 v7, v7, v8
	v_add_f32_e32 v3, v3, v10
	s_wait_dscnt 0x0
	s_delay_alu instid0(VALU_DEP_2)
	v_fmac_f32_e32 v84, v7, v6
	ds_bpermute_b32 v7, v1, v4 offset:8
	ds_bpermute_b32 v6, v1, v5 offset:8
	v_add_f32_e32 v3, v3, v12
	s_wait_dscnt 0x1
	v_sub_f32_e32 v7, v11, v7
	s_delay_alu instid0(VALU_DEP_2) | instskip(NEXT) | instid1(VALU_DEP_2)
	v_add_f32_e32 v3, v3, v14
	v_mul_f32_e32 v7, v7, v10
	s_wait_dscnt 0x0
	s_delay_alu instid0(VALU_DEP_1)
	v_fmac_f32_e32 v84, v7, v6
	ds_bpermute_b32 v7, v1, v4 offset:12
	ds_bpermute_b32 v6, v1, v5 offset:12
	s_wait_dscnt 0x1
	v_sub_f32_e32 v7, v13, v7
	v_add_f32_e32 v3, v3, v16
	s_delay_alu instid0(VALU_DEP_2) | instskip(NEXT) | instid1(VALU_DEP_2)
	v_mul_f32_e32 v7, v7, v12
	v_add_f32_e32 v3, v3, v55
	s_wait_dscnt 0x0
	s_delay_alu instid0(VALU_DEP_2) | instskip(SKIP_4) | instid1(VALU_DEP_1)
	v_fmac_f32_e32 v84, v7, v6
	ds_bpermute_b32 v7, v1, v4 offset:16
	ds_bpermute_b32 v6, v1, v5 offset:16
	s_wait_dscnt 0x1
	v_sub_f32_e32 v7, v15, v7
	v_mul_f32_e32 v7, v7, v14
	s_wait_dscnt 0x0
	s_delay_alu instid0(VALU_DEP_1) | instskip(SKIP_4) | instid1(VALU_DEP_1)
	v_fmac_f32_e32 v84, v7, v6
	ds_bpermute_b32 v7, v1, v4 offset:20
	ds_bpermute_b32 v6, v1, v5 offset:20
	s_wait_dscnt 0x1
	v_sub_f32_e32 v7, v17, v7
	v_mul_f32_e32 v7, v7, v16
	s_wait_dscnt 0x0
	s_delay_alu instid0(VALU_DEP_1)
	v_fmac_f32_e32 v84, v7, v6
	ds_bpermute_b32 v7, v1, v4 offset:24
	ds_bpermute_b32 v4, v1, v4 offset:28
	ds_bpermute_b32 v6, v1, v5 offset:24
	ds_bpermute_b32 v5, v1, v5 offset:28
	s_wait_dscnt 0x3
	v_sub_f32_e32 v7, v86, v7
	s_delay_alu instid0(VALU_DEP_1) | instskip(SKIP_2) | instid1(VALU_DEP_2)
	v_mul_f32_e32 v7, v7, v55
	v_add_f32_e32 v55, v3, v87
	s_wait_dscnt 0x1
	v_fmac_f32_e32 v84, v7, v6
	s_wait_loadcnt 0x0
	v_lshlrev_b32_e32 v2, 16, v2
	s_delay_alu instid0(VALU_DEP_1) | instskip(NEXT) | instid1(VALU_DEP_1)
	v_sub_f32_e32 v2, v2, v4
	v_mul_f32_e32 v2, v2, v87
	s_wait_dscnt 0x0
	s_delay_alu instid0(VALU_DEP_1) | instskip(NEXT) | instid1(VALU_DEP_1)
	v_fmac_f32_e32 v84, v2, v5
	v_mov_b32_e32 v10, v84
.LBB111_81:                             ;   in Loop: Header=BB111_53 Depth=1
	v_add_co_u32 v51, vcc_lo, v51, s10
	s_wait_alu 0xfffd
	v_add_co_ci_u32_e64 v52, null, s11, v52, vcc_lo
	v_add_co_u32 v53, vcc_lo, v53, s10
	s_wait_alu 0xfffd
	v_add_co_ci_u32_e64 v54, null, s11, v54, vcc_lo
	v_add_co_u32 v20, vcc_lo, v20, s10
	s_wait_alu 0xfffd
	v_add_co_ci_u32_e64 v21, null, s11, v21, vcc_lo
	v_add_co_u32 v22, vcc_lo, v22, s10
	s_wait_alu 0xfffd
	v_add_co_ci_u32_e64 v23, null, s11, v23, vcc_lo
	v_add_co_u32 v24, vcc_lo, v24, s10
	s_wait_alu 0xfffd
	v_add_co_ci_u32_e64 v25, null, s11, v25, vcc_lo
	v_add_co_u32 v26, vcc_lo, v26, s10
	s_wait_alu 0xfffd
	v_add_co_ci_u32_e64 v27, null, s11, v27, vcc_lo
	v_add_co_u32 v28, vcc_lo, v28, s10
	s_wait_alu 0xfffd
	v_add_co_ci_u32_e64 v29, null, s11, v29, vcc_lo
	v_add_co_u32 v30, vcc_lo, v30, s10
	s_wait_alu 0xfffd
	v_add_co_ci_u32_e64 v31, null, s11, v31, vcc_lo
	v_add_co_u32 v32, vcc_lo, v32, s10
	s_wait_alu 0xfffd
	v_add_co_ci_u32_e64 v33, null, s11, v33, vcc_lo
	v_add_co_u32 v34, vcc_lo, v34, s10
	s_wait_alu 0xfffd
	v_add_co_ci_u32_e64 v35, null, s11, v35, vcc_lo
	v_add_co_u32 v36, vcc_lo, v36, s10
	s_wait_alu 0xfffd
	v_add_co_ci_u32_e64 v37, null, s11, v37, vcc_lo
	v_add_co_u32 v38, vcc_lo, v38, s10
	s_wait_alu 0xfffd
	v_add_co_ci_u32_e64 v39, null, s11, v39, vcc_lo
	v_add_co_u32 v40, vcc_lo, v40, s10
	s_wait_alu 0xfffd
	v_add_co_ci_u32_e64 v41, null, s11, v41, vcc_lo
	v_add_co_u32 v42, vcc_lo, v42, s10
	s_wait_alu 0xfffd
	v_add_co_ci_u32_e64 v43, null, s11, v43, vcc_lo
	v_add_co_u32 v44, vcc_lo, v44, s10
	s_wait_alu 0xfffd
	v_add_co_ci_u32_e64 v45, null, s11, v45, vcc_lo
	v_add_co_u32 v46, vcc_lo, v46, s10
	s_wait_alu 0xfffd
	v_add_co_ci_u32_e64 v47, null, s11, v47, vcc_lo
	v_add_co_u32 v56, vcc_lo, v56, s10
	s_wait_alu 0xfffd
	v_add_co_ci_u32_e64 v57, null, s11, v57, vcc_lo
	v_add_co_u32 v58, vcc_lo, v58, s10
	s_wait_alu 0xfffd
	v_add_co_ci_u32_e64 v59, null, s11, v59, vcc_lo
	v_add_co_u32 v60, vcc_lo, v60, s10
	s_wait_alu 0xfffd
	v_add_co_ci_u32_e64 v61, null, s11, v61, vcc_lo
	v_add_co_u32 v62, vcc_lo, v62, s10
	s_wait_alu 0xfffd
	v_add_co_ci_u32_e64 v63, null, s11, v63, vcc_lo
	v_add_co_u32 v64, vcc_lo, v64, s10
	s_wait_alu 0xfffd
	v_add_co_ci_u32_e64 v65, null, s11, v65, vcc_lo
	v_add_co_u32 v66, vcc_lo, v66, s10
	s_wait_alu 0xfffd
	v_add_co_ci_u32_e64 v67, null, s11, v67, vcc_lo
	v_add_co_u32 v68, vcc_lo, v68, s10
	s_wait_alu 0xfffd
	v_add_co_ci_u32_e64 v69, null, s11, v69, vcc_lo
	v_add_co_u32 v70, vcc_lo, v70, s10
	s_wait_alu 0xfffd
	v_add_co_ci_u32_e64 v71, null, s11, v71, vcc_lo
	v_add_co_u32 v72, vcc_lo, v72, s10
	s_wait_alu 0xfffd
	v_add_co_ci_u32_e64 v73, null, s11, v73, vcc_lo
	v_add_co_u32 v74, vcc_lo, v74, s10
	s_wait_alu 0xfffd
	v_add_co_ci_u32_e64 v75, null, s11, v75, vcc_lo
	v_add_co_u32 v76, vcc_lo, v76, s10
	s_wait_alu 0xfffd
	v_add_co_ci_u32_e64 v77, null, s11, v77, vcc_lo
	v_add_co_u32 v78, vcc_lo, v78, s10
	s_add_nc_u64 s[16:17], s[16:17], s[18:19]
	s_wait_alu 0xfffd
	v_add_co_ci_u32_e64 v79, null, s11, v79, vcc_lo
	v_add_co_u32 v80, vcc_lo, v80, s10
	s_wait_alu 0xfffe
	v_cmp_ge_i64_e64 s2, s[16:17], s[4:5]
	s_wait_alu 0xfffd
	v_add_co_ci_u32_e64 v81, null, s11, v81, vcc_lo
	v_add_co_u32 v82, vcc_lo, v82, s10
	s_wait_alu 0xfffd
	v_add_co_ci_u32_e64 v83, null, s11, v83, vcc_lo
	s_and_b32 vcc_lo, exec_lo, s2
	s_add_nc_u64 s[20:21], s[20:21], s[18:19]
	s_wait_alu 0xfffe
	s_cbranch_vccnz .LBB111_83
; %bb.82:                               ;   in Loop: Header=BB111_53 Depth=1
	v_dual_mov_b32 v85, v55 :: v_dual_mov_b32 v84, v10
	s_branch .LBB111_53
.LBB111_83:
	v_and_b32_e32 v7, 0x3ff, v0
	v_bfe_u32 v1, v0, 10, 10
	v_bfe_u32 v0, v0, 5, 5
	s_mov_b32 s2, exec_lo
	s_delay_alu instid0(VALU_DEP_2) | instskip(NEXT) | instid1(VALU_DEP_2)
	v_mad_u32_u24 v3, v1, 33, v7
	v_add_nc_u32_e32 v2, v0, v1
	s_delay_alu instid0(VALU_DEP_2)
	v_lshl_add_u32 v0, v3, 2, 0
	ds_store_b32 v0, v10
	ds_store_b32 v0, v55 offset:1056
	s_wait_dscnt 0x0
	s_barrier_signal -1
	s_barrier_wait -1
	global_inv scope:SCOPE_SE
	v_cmpx_gt_u32_e32 32, v2
	s_cbranch_execz .LBB111_115
; %bb.84:
	s_load_b128 s[8:11], s[0:1], 0x30
	v_and_b32_e32 v0, 31, v7
                                        ; implicit-def: $vgpr1
	s_delay_alu instid0(VALU_DEP_1)
	v_cmp_gt_u32_e64 s0, 8, v0
	v_mul_u32_u24_e32 v3, 33, v0
                                        ; implicit-def: $vgpr0
	s_and_saveexec_b32 s1, s0
	s_cbranch_execz .LBB111_86
; %bb.85:
	s_delay_alu instid0(VALU_DEP_1) | instskip(NEXT) | instid1(VALU_DEP_1)
	v_add_nc_u32_e32 v0, v2, v3
	v_lshl_add_u32 v0, v0, 2, 0
	ds_load_b32 v1, v0
	ds_load_b32 v0, v0 offset:1056
.LBB111_86:
	s_or_b32 exec_lo, exec_lo, s1
	v_mbcnt_lo_u32_b32 v6, -1, 0
	s_mov_b32 s2, ttmp9
	s_mov_b32 s3, 0
	v_cmp_eq_u32_e64 s1, 0, v7
	s_wait_alu 0xfffe
	s_lshl_b64 s[2:3], s[2:3], 5
	v_xor_b32_e32 v4, 4, v6
	v_xor_b32_e32 v5, 2, v6
	;; [unrolled: 1-line block ×3, first 2 shown]
	s_wait_kmcnt 0x0
	s_cmp_lg_u64 s[8:9], 0
	s_cselect_b32 s5, -1, 0
	v_cmp_gt_i32_e32 vcc_lo, 32, v4
	s_cmp_lg_u64 s[10:11], 0
	s_cselect_b32 s4, -1, 0
	s_wait_alu 0xfffd
	v_cndmask_b32_e32 v4, v6, v4, vcc_lo
	v_cmp_gt_i32_e32 vcc_lo, 32, v5
	s_wait_alu 0xfffd
	v_cndmask_b32_e32 v5, v6, v5, vcc_lo
	v_cmp_gt_i32_e32 vcc_lo, 32, v10
	s_wait_alu 0xfffd
	v_cndmask_b32_e32 v6, v6, v10, vcc_lo
	s_delay_alu instid0(VALU_DEP_1)
	v_lshlrev_b32_e32 v6, 2, v6
	v_lshlrev_b32_e32 v5, 2, v5
	;; [unrolled: 1-line block ×3, first 2 shown]
	s_wait_dscnt 0x0
	ds_bpermute_b32 v9, v4, v0
	s_wait_dscnt 0x0
	v_add_f32_e32 v0, v0, v9
	ds_bpermute_b32 v9, v5, v0
	s_wait_dscnt 0x0
	v_add_f32_e32 v9, v0, v9
	ds_bpermute_b32 v8, v4, v1
	s_wait_alu 0xfffe
	v_or_b32_e32 v0, s2, v2
	ds_bpermute_b32 v11, v6, v9
	s_wait_dscnt 0x1
	v_add_f32_e32 v1, v1, v8
	ds_bpermute_b32 v8, v5, v1
	s_wait_dscnt 0x0
	v_dual_add_f32 v8, v1, v8 :: v_dual_mov_b32 v1, s3
	ds_bpermute_b32 v10, v6, v8
	v_cmp_gt_i64_e32 vcc_lo, s[6:7], v[0:1]
	s_and_b32 s13, s1, vcc_lo
	s_wait_dscnt 0x0
	v_dual_add_f32 v7, v8, v10 :: v_dual_add_f32 v8, v9, v11
	s_wait_alu 0xfffe
	s_and_saveexec_b32 s12, s13
	s_cbranch_execz .LBB111_91
; %bb.87:
	v_lshlrev_b64_e32 v[0:1], 1, v[0:1]
	s_and_not1_b32 vcc_lo, exec_lo, s5
	s_wait_alu 0xfffe
	s_cbranch_vccnz .LBB111_89
; %bb.88:
	v_bfe_u32 v9, v7, 16, 1
	v_cmp_o_f32_e32 vcc_lo, v7, v7
	s_delay_alu instid0(VALU_DEP_2) | instskip(NEXT) | instid1(VALU_DEP_1)
	v_add3_u32 v9, v7, v9, 0x7fff
	v_lshrrev_b32_e32 v9, 16, v9
	s_wait_alu 0xfffd
	s_delay_alu instid0(VALU_DEP_1)
	v_cndmask_b32_e32 v11, 0x7fc0, v9, vcc_lo
	v_add_co_u32 v9, vcc_lo, s8, v0
	s_wait_alu 0xfffd
	v_add_co_ci_u32_e64 v10, null, s9, v1, vcc_lo
	global_store_b16 v[9:10], v11, off
.LBB111_89:
	s_and_not1_b32 vcc_lo, exec_lo, s4
	s_wait_alu 0xfffe
	s_cbranch_vccnz .LBB111_91
; %bb.90:
	v_bfe_u32 v9, v8, 16, 1
	v_cmp_o_f32_e32 vcc_lo, v8, v8
	s_delay_alu instid0(VALU_DEP_2) | instskip(NEXT) | instid1(VALU_DEP_1)
	v_add3_u32 v9, v8, v9, 0x7fff
	v_lshrrev_b32_e32 v9, 16, v9
	s_wait_alu 0xfffd
	s_delay_alu instid0(VALU_DEP_1)
	v_cndmask_b32_e32 v9, 0x7fc0, v9, vcc_lo
	v_add_co_u32 v0, vcc_lo, s10, v0
	s_wait_alu 0xfffd
	v_add_co_ci_u32_e64 v1, null, s11, v1, vcc_lo
	global_store_b16 v[0:1], v9, off
.LBB111_91:
	s_wait_alu 0xfffe
	s_or_b32 exec_lo, exec_lo, s12
	v_cmp_gt_u32_e32 vcc_lo, 24, v2
	s_and_b32 exec_lo, exec_lo, vcc_lo
	s_cbranch_execz .LBB111_115
; %bb.92:
	s_and_saveexec_b32 s12, s0
	s_cbranch_execz .LBB111_94
; %bb.93:
	v_add_nc_u32_e32 v0, v2, v3
	s_delay_alu instid0(VALU_DEP_1)
	v_lshl_add_u32 v0, v0, 2, 0
	ds_load_b32 v7, v0 offset:32
	ds_load_b32 v8, v0 offset:1088
.LBB111_94:
	s_wait_alu 0xfffe
	s_or_b32 exec_lo, exec_lo, s12
	s_wait_dscnt 0x1
	ds_bpermute_b32 v0, v4, v7
	s_wait_dscnt 0x1
	ds_bpermute_b32 v1, v4, v8
	s_wait_dscnt 0x0
	v_dual_add_f32 v0, v7, v0 :: v_dual_add_f32 v1, v8, v1
	ds_bpermute_b32 v7, v5, v0
	ds_bpermute_b32 v8, v5, v1
	s_wait_dscnt 0x0
	v_dual_add_f32 v7, v0, v7 :: v_dual_add_f32 v8, v1, v8
	v_add_nc_u32_e32 v0, 8, v2
	ds_bpermute_b32 v9, v6, v7
	ds_bpermute_b32 v10, v6, v8
	v_add_co_u32 v0, s12, s2, v0
	s_wait_alu 0xf1ff
	v_add_co_ci_u32_e64 v1, null, s3, 0, s12
	s_delay_alu instid0(VALU_DEP_1)
	v_cmp_gt_i64_e32 vcc_lo, s[6:7], v[0:1]
	s_and_b32 s13, s1, vcc_lo
	s_wait_dscnt 0x0
	v_dual_add_f32 v0, v7, v9 :: v_dual_add_f32 v1, v8, v10
	s_wait_alu 0xfffe
	s_and_saveexec_b32 s12, s13
	s_cbranch_execz .LBB111_99
; %bb.95:
	s_and_not1_b32 vcc_lo, exec_lo, s5
	s_wait_alu 0xfffe
	s_cbranch_vccnz .LBB111_97
; %bb.96:
	v_bfe_u32 v7, v0, 16, 1
	v_cmp_o_f32_e32 vcc_lo, v0, v0
	s_delay_alu instid0(VALU_DEP_2) | instskip(SKIP_3) | instid1(VALU_DEP_3)
	v_add3_u32 v9, v0, v7, 0x7fff
	v_add_co_u32 v7, s13, s2, v2
	s_wait_alu 0xf1ff
	v_add_co_ci_u32_e64 v8, null, s3, 0, s13
	v_lshrrev_b32_e32 v9, 16, v9
	s_delay_alu instid0(VALU_DEP_2) | instskip(SKIP_1) | instid1(VALU_DEP_2)
	v_lshlrev_b64_e32 v[7:8], 1, v[7:8]
	s_wait_alu 0xfffd
	v_cndmask_b32_e32 v9, 0x7fc0, v9, vcc_lo
	s_delay_alu instid0(VALU_DEP_2) | instskip(SKIP_1) | instid1(VALU_DEP_3)
	v_add_co_u32 v7, vcc_lo, s8, v7
	s_wait_alu 0xfffd
	v_add_co_ci_u32_e64 v8, null, s9, v8, vcc_lo
	global_store_b16 v[7:8], v9, off offset:16
.LBB111_97:
	s_and_not1_b32 vcc_lo, exec_lo, s4
	s_wait_alu 0xfffe
	s_cbranch_vccnz .LBB111_99
; %bb.98:
	v_bfe_u32 v7, v1, 16, 1
	v_cmp_o_f32_e32 vcc_lo, v1, v1
	s_delay_alu instid0(VALU_DEP_2) | instskip(SKIP_3) | instid1(VALU_DEP_3)
	v_add3_u32 v9, v1, v7, 0x7fff
	v_add_co_u32 v7, s13, s2, v2
	s_wait_alu 0xf1ff
	v_add_co_ci_u32_e64 v8, null, s3, 0, s13
	v_lshrrev_b32_e32 v9, 16, v9
	s_delay_alu instid0(VALU_DEP_2) | instskip(SKIP_1) | instid1(VALU_DEP_2)
	v_lshlrev_b64_e32 v[7:8], 1, v[7:8]
	s_wait_alu 0xfffd
	v_cndmask_b32_e32 v9, 0x7fc0, v9, vcc_lo
	s_delay_alu instid0(VALU_DEP_2) | instskip(SKIP_1) | instid1(VALU_DEP_3)
	v_add_co_u32 v7, vcc_lo, s10, v7
	s_wait_alu 0xfffd
	v_add_co_ci_u32_e64 v8, null, s11, v8, vcc_lo
	global_store_b16 v[7:8], v9, off offset:16
.LBB111_99:
	s_wait_alu 0xfffe
	s_or_b32 exec_lo, exec_lo, s12
	v_cmp_gt_u32_e32 vcc_lo, 16, v2
	s_and_b32 exec_lo, exec_lo, vcc_lo
	s_cbranch_execz .LBB111_115
; %bb.100:
	s_and_saveexec_b32 s12, s0
	s_cbranch_execz .LBB111_102
; %bb.101:
	v_add_nc_u32_e32 v0, v2, v3
	s_delay_alu instid0(VALU_DEP_1)
	v_lshl_add_u32 v1, v0, 2, 0
	ds_load_b32 v0, v1 offset:64
	ds_load_b32 v1, v1 offset:1120
.LBB111_102:
	s_wait_alu 0xfffe
	s_or_b32 exec_lo, exec_lo, s12
	s_wait_dscnt 0x1
	ds_bpermute_b32 v7, v4, v0
	s_wait_dscnt 0x1
	ds_bpermute_b32 v8, v4, v1
	s_wait_dscnt 0x0
	v_dual_add_f32 v0, v0, v7 :: v_dual_add_f32 v1, v1, v8
	ds_bpermute_b32 v7, v5, v0
	ds_bpermute_b32 v8, v5, v1
	s_wait_dscnt 0x0
	v_dual_add_f32 v7, v0, v7 :: v_dual_add_f32 v8, v1, v8
	v_dual_mov_b32 v1, s3 :: v_dual_add_nc_u32 v0, 16, v2
	ds_bpermute_b32 v9, v6, v7
	ds_bpermute_b32 v10, v6, v8
	v_or_b32_e32 v0, s2, v0
	s_delay_alu instid0(VALU_DEP_1)
	v_cmp_gt_i64_e32 vcc_lo, s[6:7], v[0:1]
	s_and_b32 s13, s1, vcc_lo
	s_wait_dscnt 0x0
	v_dual_add_f32 v0, v7, v9 :: v_dual_add_f32 v1, v8, v10
	s_wait_alu 0xfffe
	s_and_saveexec_b32 s12, s13
	s_cbranch_execz .LBB111_107
; %bb.103:
	s_and_not1_b32 vcc_lo, exec_lo, s5
	s_wait_alu 0xfffe
	s_cbranch_vccnz .LBB111_105
; %bb.104:
	v_bfe_u32 v7, v0, 16, 1
	v_cmp_o_f32_e32 vcc_lo, v0, v0
	s_delay_alu instid0(VALU_DEP_2) | instskip(SKIP_3) | instid1(VALU_DEP_3)
	v_add3_u32 v9, v0, v7, 0x7fff
	v_add_co_u32 v7, s13, s2, v2
	s_wait_alu 0xf1ff
	v_add_co_ci_u32_e64 v8, null, s3, 0, s13
	v_lshrrev_b32_e32 v9, 16, v9
	s_delay_alu instid0(VALU_DEP_2) | instskip(SKIP_1) | instid1(VALU_DEP_2)
	v_lshlrev_b64_e32 v[7:8], 1, v[7:8]
	s_wait_alu 0xfffd
	v_cndmask_b32_e32 v9, 0x7fc0, v9, vcc_lo
	s_delay_alu instid0(VALU_DEP_2) | instskip(SKIP_1) | instid1(VALU_DEP_3)
	v_add_co_u32 v7, vcc_lo, s8, v7
	s_wait_alu 0xfffd
	v_add_co_ci_u32_e64 v8, null, s9, v8, vcc_lo
	global_store_b16 v[7:8], v9, off offset:32
.LBB111_105:
	s_and_not1_b32 vcc_lo, exec_lo, s4
	s_wait_alu 0xfffe
	s_cbranch_vccnz .LBB111_107
; %bb.106:
	v_bfe_u32 v7, v1, 16, 1
	v_cmp_o_f32_e32 vcc_lo, v1, v1
	s_delay_alu instid0(VALU_DEP_2) | instskip(SKIP_3) | instid1(VALU_DEP_3)
	v_add3_u32 v9, v1, v7, 0x7fff
	v_add_co_u32 v7, s13, s2, v2
	s_wait_alu 0xf1ff
	v_add_co_ci_u32_e64 v8, null, s3, 0, s13
	v_lshrrev_b32_e32 v9, 16, v9
	s_delay_alu instid0(VALU_DEP_2) | instskip(SKIP_1) | instid1(VALU_DEP_2)
	v_lshlrev_b64_e32 v[7:8], 1, v[7:8]
	s_wait_alu 0xfffd
	v_cndmask_b32_e32 v9, 0x7fc0, v9, vcc_lo
	s_delay_alu instid0(VALU_DEP_2) | instskip(SKIP_1) | instid1(VALU_DEP_3)
	v_add_co_u32 v7, vcc_lo, s10, v7
	s_wait_alu 0xfffd
	v_add_co_ci_u32_e64 v8, null, s11, v8, vcc_lo
	global_store_b16 v[7:8], v9, off offset:32
.LBB111_107:
	s_wait_alu 0xfffe
	s_or_b32 exec_lo, exec_lo, s12
	v_cmp_gt_u32_e32 vcc_lo, 8, v2
	s_and_b32 exec_lo, exec_lo, vcc_lo
	s_cbranch_execz .LBB111_115
; %bb.108:
	s_and_saveexec_b32 s12, s0
	s_cbranch_execz .LBB111_110
; %bb.109:
	v_add_nc_u32_e32 v0, v2, v3
	s_delay_alu instid0(VALU_DEP_1)
	v_lshl_add_u32 v1, v0, 2, 0
	ds_load_b32 v0, v1 offset:96
	ds_load_b32 v1, v1 offset:1152
.LBB111_110:
	s_wait_alu 0xfffe
	s_or_b32 exec_lo, exec_lo, s12
	s_wait_dscnt 0x1
	ds_bpermute_b32 v3, v4, v0
	s_wait_dscnt 0x1
	ds_bpermute_b32 v4, v4, v1
	s_wait_dscnt 0x0
	v_dual_add_f32 v0, v0, v3 :: v_dual_add_f32 v1, v1, v4
	ds_bpermute_b32 v3, v5, v0
	ds_bpermute_b32 v4, v5, v1
	v_add_nc_u32_e32 v5, 24, v2
	s_wait_dscnt 0x0
	v_dual_add_f32 v3, v0, v3 :: v_dual_add_f32 v0, v1, v4
	ds_bpermute_b32 v4, v6, v3
	ds_bpermute_b32 v1, v6, v0
	v_mov_b32_e32 v6, s3
	v_or_b32_e32 v5, s2, v5
	s_delay_alu instid0(VALU_DEP_1) | instskip(SKIP_1) | instid1(SALU_CYCLE_1)
	v_cmp_gt_i64_e32 vcc_lo, s[6:7], v[5:6]
	s_and_b32 s0, s1, vcc_lo
	s_and_b32 exec_lo, exec_lo, s0
	s_cbranch_execz .LBB111_115
; %bb.111:
	s_and_not1_b32 vcc_lo, exec_lo, s5
	s_wait_alu 0xfffe
	s_cbranch_vccnz .LBB111_113
; %bb.112:
	s_wait_dscnt 0x1
	v_add_f32_e32 v5, v3, v4
	s_delay_alu instid0(VALU_DEP_1) | instskip(SKIP_1) | instid1(VALU_DEP_2)
	v_bfe_u32 v3, v5, 16, 1
	v_cmp_o_f32_e32 vcc_lo, v5, v5
	v_add3_u32 v6, v5, v3, 0x7fff
	v_add_co_u32 v3, s0, s2, v2
	s_delay_alu instid0(VALU_DEP_1) | instskip(NEXT) | instid1(VALU_DEP_3)
	v_add_co_ci_u32_e64 v4, null, s3, 0, s0
	v_lshrrev_b32_e32 v6, 16, v6
	s_delay_alu instid0(VALU_DEP_2) | instskip(SKIP_1) | instid1(VALU_DEP_2)
	v_lshlrev_b64_e32 v[3:4], 1, v[3:4]
	s_wait_alu 0xfffd
	v_cndmask_b32_e32 v5, 0x7fc0, v6, vcc_lo
	s_delay_alu instid0(VALU_DEP_2) | instskip(SKIP_1) | instid1(VALU_DEP_3)
	v_add_co_u32 v3, vcc_lo, s8, v3
	s_wait_alu 0xfffd
	v_add_co_ci_u32_e64 v4, null, s9, v4, vcc_lo
	global_store_b16 v[3:4], v5, off offset:48
.LBB111_113:
	s_and_not1_b32 vcc_lo, exec_lo, s4
	s_wait_alu 0xfffe
	s_cbranch_vccnz .LBB111_115
; %bb.114:
	s_wait_dscnt 0x0
	v_add_f32_e32 v3, v0, v1
	s_delay_alu instid0(VALU_DEP_1) | instskip(SKIP_1) | instid1(VALU_DEP_2)
	v_bfe_u32 v0, v3, 16, 1
	v_cmp_o_f32_e32 vcc_lo, v3, v3
	v_add3_u32 v4, v3, v0, 0x7fff
	v_add_co_u32 v0, s0, s2, v2
	s_wait_alu 0xf1ff
	v_add_co_ci_u32_e64 v1, null, s3, 0, s0
	s_delay_alu instid0(VALU_DEP_3) | instskip(NEXT) | instid1(VALU_DEP_2)
	v_lshrrev_b32_e32 v2, 16, v4
	v_lshlrev_b64_e32 v[0:1], 1, v[0:1]
	s_wait_alu 0xfffd
	s_delay_alu instid0(VALU_DEP_2) | instskip(NEXT) | instid1(VALU_DEP_2)
	v_cndmask_b32_e32 v2, 0x7fc0, v2, vcc_lo
	v_add_co_u32 v0, vcc_lo, s10, v0
	s_wait_alu 0xfffd
	s_delay_alu instid0(VALU_DEP_3)
	v_add_co_ci_u32_e64 v1, null, s11, v1, vcc_lo
	global_store_b16 v[0:1], v2, off offset:48
.LBB111_115:
	s_endpgm
	.section	.rodata,"a",@progbits
	.p2align	6, 0x0
	.amdhsa_kernel _ZN2at6native12_GLOBAL__N_135GammaBetaBackwardCUDAKernelTemplateIN3c108BFloat16EfLj32ELj8ELj64ELb0ELb0ELb0EEEvllPKT_S7_PKT0_SA_PS5_SB_
		.amdhsa_group_segment_fixed_size 0
		.amdhsa_private_segment_fixed_size 0
		.amdhsa_kernarg_size 320
		.amdhsa_user_sgpr_count 2
		.amdhsa_user_sgpr_dispatch_ptr 0
		.amdhsa_user_sgpr_queue_ptr 0
		.amdhsa_user_sgpr_kernarg_segment_ptr 1
		.amdhsa_user_sgpr_dispatch_id 0
		.amdhsa_user_sgpr_private_segment_size 0
		.amdhsa_wavefront_size32 1
		.amdhsa_uses_dynamic_stack 0
		.amdhsa_enable_private_segment 0
		.amdhsa_system_sgpr_workgroup_id_x 1
		.amdhsa_system_sgpr_workgroup_id_y 1
		.amdhsa_system_sgpr_workgroup_id_z 0
		.amdhsa_system_sgpr_workgroup_info 0
		.amdhsa_system_vgpr_workitem_id 1
		.amdhsa_next_free_vgpr 93
		.amdhsa_next_free_sgpr 36
		.amdhsa_reserve_vcc 1
		.amdhsa_float_round_mode_32 0
		.amdhsa_float_round_mode_16_64 0
		.amdhsa_float_denorm_mode_32 3
		.amdhsa_float_denorm_mode_16_64 3
		.amdhsa_fp16_overflow 0
		.amdhsa_workgroup_processor_mode 1
		.amdhsa_memory_ordered 1
		.amdhsa_forward_progress 1
		.amdhsa_inst_pref_size 93
		.amdhsa_round_robin_scheduling 0
		.amdhsa_exception_fp_ieee_invalid_op 0
		.amdhsa_exception_fp_denorm_src 0
		.amdhsa_exception_fp_ieee_div_zero 0
		.amdhsa_exception_fp_ieee_overflow 0
		.amdhsa_exception_fp_ieee_underflow 0
		.amdhsa_exception_fp_ieee_inexact 0
		.amdhsa_exception_int_div_zero 0
	.end_amdhsa_kernel
	.section	.text._ZN2at6native12_GLOBAL__N_135GammaBetaBackwardCUDAKernelTemplateIN3c108BFloat16EfLj32ELj8ELj64ELb0ELb0ELb0EEEvllPKT_S7_PKT0_SA_PS5_SB_,"axG",@progbits,_ZN2at6native12_GLOBAL__N_135GammaBetaBackwardCUDAKernelTemplateIN3c108BFloat16EfLj32ELj8ELj64ELb0ELb0ELb0EEEvllPKT_S7_PKT0_SA_PS5_SB_,comdat
.Lfunc_end111:
	.size	_ZN2at6native12_GLOBAL__N_135GammaBetaBackwardCUDAKernelTemplateIN3c108BFloat16EfLj32ELj8ELj64ELb0ELb0ELb0EEEvllPKT_S7_PKT0_SA_PS5_SB_, .Lfunc_end111-_ZN2at6native12_GLOBAL__N_135GammaBetaBackwardCUDAKernelTemplateIN3c108BFloat16EfLj32ELj8ELj64ELb0ELb0ELb0EEEvllPKT_S7_PKT0_SA_PS5_SB_
                                        ; -- End function
	.set _ZN2at6native12_GLOBAL__N_135GammaBetaBackwardCUDAKernelTemplateIN3c108BFloat16EfLj32ELj8ELj64ELb0ELb0ELb0EEEvllPKT_S7_PKT0_SA_PS5_SB_.num_vgpr, 93
	.set _ZN2at6native12_GLOBAL__N_135GammaBetaBackwardCUDAKernelTemplateIN3c108BFloat16EfLj32ELj8ELj64ELb0ELb0ELb0EEEvllPKT_S7_PKT0_SA_PS5_SB_.num_agpr, 0
	.set _ZN2at6native12_GLOBAL__N_135GammaBetaBackwardCUDAKernelTemplateIN3c108BFloat16EfLj32ELj8ELj64ELb0ELb0ELb0EEEvllPKT_S7_PKT0_SA_PS5_SB_.numbered_sgpr, 36
	.set _ZN2at6native12_GLOBAL__N_135GammaBetaBackwardCUDAKernelTemplateIN3c108BFloat16EfLj32ELj8ELj64ELb0ELb0ELb0EEEvllPKT_S7_PKT0_SA_PS5_SB_.num_named_barrier, 0
	.set _ZN2at6native12_GLOBAL__N_135GammaBetaBackwardCUDAKernelTemplateIN3c108BFloat16EfLj32ELj8ELj64ELb0ELb0ELb0EEEvllPKT_S7_PKT0_SA_PS5_SB_.private_seg_size, 0
	.set _ZN2at6native12_GLOBAL__N_135GammaBetaBackwardCUDAKernelTemplateIN3c108BFloat16EfLj32ELj8ELj64ELb0ELb0ELb0EEEvllPKT_S7_PKT0_SA_PS5_SB_.uses_vcc, 1
	.set _ZN2at6native12_GLOBAL__N_135GammaBetaBackwardCUDAKernelTemplateIN3c108BFloat16EfLj32ELj8ELj64ELb0ELb0ELb0EEEvllPKT_S7_PKT0_SA_PS5_SB_.uses_flat_scratch, 0
	.set _ZN2at6native12_GLOBAL__N_135GammaBetaBackwardCUDAKernelTemplateIN3c108BFloat16EfLj32ELj8ELj64ELb0ELb0ELb0EEEvllPKT_S7_PKT0_SA_PS5_SB_.has_dyn_sized_stack, 0
	.set _ZN2at6native12_GLOBAL__N_135GammaBetaBackwardCUDAKernelTemplateIN3c108BFloat16EfLj32ELj8ELj64ELb0ELb0ELb0EEEvllPKT_S7_PKT0_SA_PS5_SB_.has_recursion, 0
	.set _ZN2at6native12_GLOBAL__N_135GammaBetaBackwardCUDAKernelTemplateIN3c108BFloat16EfLj32ELj8ELj64ELb0ELb0ELb0EEEvllPKT_S7_PKT0_SA_PS5_SB_.has_indirect_call, 0
	.section	.AMDGPU.csdata,"",@progbits
; Kernel info:
; codeLenInByte = 11796
; TotalNumSgprs: 38
; NumVgprs: 93
; ScratchSize: 0
; MemoryBound: 0
; FloatMode: 240
; IeeeMode: 1
; LDSByteSize: 0 bytes/workgroup (compile time only)
; SGPRBlocks: 0
; VGPRBlocks: 11
; NumSGPRsForWavesPerEU: 38
; NumVGPRsForWavesPerEU: 93
; Occupancy: 16
; WaveLimiterHint : 0
; COMPUTE_PGM_RSRC2:SCRATCH_EN: 0
; COMPUTE_PGM_RSRC2:USER_SGPR: 2
; COMPUTE_PGM_RSRC2:TRAP_HANDLER: 0
; COMPUTE_PGM_RSRC2:TGID_X_EN: 1
; COMPUTE_PGM_RSRC2:TGID_Y_EN: 1
; COMPUTE_PGM_RSRC2:TGID_Z_EN: 0
; COMPUTE_PGM_RSRC2:TIDIG_COMP_CNT: 1
	.section	.text._ZN2at6native12_GLOBAL__N_135GammaBetaBackwardCUDAKernelTemplateIN3c108BFloat16EfLj32ELj16ELj128ELb0ELb1ELb0EEEvllPKT_S7_PKT0_SA_PS5_SB_,"axG",@progbits,_ZN2at6native12_GLOBAL__N_135GammaBetaBackwardCUDAKernelTemplateIN3c108BFloat16EfLj32ELj16ELj128ELb0ELb1ELb0EEEvllPKT_S7_PKT0_SA_PS5_SB_,comdat
	.globl	_ZN2at6native12_GLOBAL__N_135GammaBetaBackwardCUDAKernelTemplateIN3c108BFloat16EfLj32ELj16ELj128ELb0ELb1ELb0EEEvllPKT_S7_PKT0_SA_PS5_SB_ ; -- Begin function _ZN2at6native12_GLOBAL__N_135GammaBetaBackwardCUDAKernelTemplateIN3c108BFloat16EfLj32ELj16ELj128ELb0ELb1ELb0EEEvllPKT_S7_PKT0_SA_PS5_SB_
	.p2align	8
	.type	_ZN2at6native12_GLOBAL__N_135GammaBetaBackwardCUDAKernelTemplateIN3c108BFloat16EfLj32ELj16ELj128ELb0ELb1ELb0EEEvllPKT_S7_PKT0_SA_PS5_SB_,@function
_ZN2at6native12_GLOBAL__N_135GammaBetaBackwardCUDAKernelTemplateIN3c108BFloat16EfLj32ELj16ELj128ELb0ELb1ELb0EEEvllPKT_S7_PKT0_SA_PS5_SB_: ; @_ZN2at6native12_GLOBAL__N_135GammaBetaBackwardCUDAKernelTemplateIN3c108BFloat16EfLj32ELj16ELj128ELb0ELb1ELb0EEEvllPKT_S7_PKT0_SA_PS5_SB_
; %bb.0:
	s_load_b128 s[16:19], s[0:1], 0x0
	s_lshl_b32 s2, ttmp7, 7
	s_mov_b32 s3, 0
	v_bfe_u32 v7, v0, 10, 10
	s_wait_kmcnt 0x0
	v_cmp_gt_i64_e64 s4, s[16:17], s[2:3]
	s_and_b32 vcc_lo, exec_lo, s4
	s_cbranch_vccnz .LBB112_2
; %bb.1:
	v_bfe_u32 v1, v0, 10, 10
	s_mov_b32 s4, s3
	s_branch .LBB112_3
.LBB112_2:
	s_mov_b32 s4, -1
                                        ; implicit-def: $vgpr1
.LBB112_3:
	s_load_b128 s[12:15], s[0:1], 0x30
	v_dual_mov_b32 v17, 0 :: v_dual_and_b32 v6, 0x3ff, v0
	v_mov_b32_e32 v0, 0
	s_and_not1_b32 vcc_lo, exec_lo, s4
	s_cbranch_vccnz .LBB112_11
; %bb.4:
	s_load_b32 s20, s[0:1], 0x4c
	v_dual_mov_b32 v1, 0 :: v_dual_lshlrev_b32 v0, 3, v7
	s_clause 0x1
	s_load_b32 s22, s[0:1], 0x44
	s_load_b256 s[4:11], s[0:1], 0x10
	s_mov_b32 s21, 0
	v_dual_mov_b32 v8, 8 :: v_dual_mov_b32 v9, 4
	v_add_co_u32 v2, s0, v0, s2
	s_delay_alu instid0(VALU_DEP_1) | instskip(SKIP_1) | instid1(VALU_DEP_3)
	v_add_co_ci_u32_e64 v3, null, 0, 0, s0
	v_lshl_add_u32 v0, ttmp9, 5, v6
	v_mul_lo_u32 v14, s19, v2
	v_mad_co_u64_u32 v[4:5], null, s18, v2, 0
	s_delay_alu instid0(VALU_DEP_4) | instskip(NEXT) | instid1(VALU_DEP_4)
	v_mul_lo_u32 v17, s18, v3
	v_lshlrev_b64_e32 v[15:16], 1, v[0:1]
	v_dual_mov_b32 v10, 12 :: v_dual_mov_b32 v11, 16
	v_mov_b32_e32 v0, 0
	s_wait_kmcnt 0x0
	s_and_b32 s0, s20, 0xffff
	s_wait_alu 0xfffe
	v_mad_u32_u24 v13, v7, s0, v6
	v_mov_b32_e32 v12, 20
	v_add3_u32 v5, v5, v17, v14
	s_lshl_b32 s20, s22, 7
	s_delay_alu instid0(VALU_DEP_3) | instskip(SKIP_1) | instid1(VALU_DEP_3)
	v_dual_mov_b32 v14, 28 :: v_dual_and_b32 v19, 31, v13
	v_mov_b32_e32 v13, 24
	v_lshlrev_b64_e32 v[17:18], 1, v[4:5]
	s_mul_u64 s[24:25], s[18:19], s[20:21]
	s_lshl_b64 s[22:23], s[20:21], 2
	v_add_co_u32 v2, vcc_lo, v2, v19
	s_delay_alu instid0(VALU_DEP_1) | instskip(NEXT) | instid1(VALU_DEP_3)
	v_add_co_ci_u32_e64 v3, null, 0, v3, vcc_lo
	v_add_co_u32 v15, vcc_lo, v17, v15
	v_cmp_gt_u32_e64 s0, 8, v19
	s_delay_alu instid0(VALU_DEP_3)
	v_lshlrev_b64_e32 v[4:5], 2, v[2:3]
	s_wait_alu 0xfffd
	v_add_co_ci_u32_e64 v16, null, v18, v16, vcc_lo
	v_mov_b32_e32 v17, 0
	s_lshl_b64 s[24:25], s[24:25], 1
	s_lshl_b64 s[18:19], s[18:19], 1
	s_branch .LBB112_7
.LBB112_5:                              ;   in Loop: Header=BB112_7 Depth=1
	s_or_b32 exec_lo, exec_lo, s26
.LBB112_6:                              ;   in Loop: Header=BB112_7 Depth=1
	s_wait_alu 0xfffe
	s_or_b32 exec_lo, exec_lo, s1
	v_add_co_u32 v20, vcc_lo, s4, v15
	s_wait_alu 0xfffd
	v_add_co_ci_u32_e64 v21, null, s5, v16, vcc_lo
	v_add_co_u32 v22, vcc_lo, s6, v15
	s_wait_alu 0xfffd
	v_add_co_ci_u32_e64 v23, null, s7, v16, vcc_lo
	;; [unrolled: 3-line block ×5, first 2 shown]
	global_load_u16 v30, v[20:21], off
	global_load_u16 v31, v[22:23], off
	;; [unrolled: 1-line block ×5, first 2 shown]
	v_add_co_u32 v20, vcc_lo, v26, s18
	s_wait_alu 0xfffd
	v_add_co_ci_u32_e64 v21, null, s19, v27, vcc_lo
	v_add_co_u32 v22, vcc_lo, v28, s18
	s_wait_alu 0xfffd
	v_add_co_ci_u32_e64 v23, null, s19, v29, vcc_lo
	;; [unrolled: 3-line block ×5, first 2 shown]
	global_load_u16 v35, v[20:21], off
	global_load_u16 v36, v[22:23], off
	;; [unrolled: 1-line block ×5, first 2 shown]
	v_add_co_u32 v20, vcc_lo, v26, s18
	s_wait_alu 0xfffd
	v_add_co_ci_u32_e64 v21, null, s19, v27, vcc_lo
	v_add_co_u32 v22, vcc_lo, v28, s18
	s_wait_alu 0xfffd
	v_add_co_ci_u32_e64 v23, null, s19, v29, vcc_lo
	;; [unrolled: 3-line block ×4, first 2 shown]
	global_load_u16 v28, v[20:21], off
	global_load_u16 v29, v[22:23], off
	;; [unrolled: 1-line block ×4, first 2 shown]
	v_add_co_u32 v20, vcc_lo, v26, s18
	s_wait_alu 0xfffd
	v_add_co_ci_u32_e64 v21, null, s19, v27, vcc_lo
	v_add_co_u32 v22, vcc_lo, v24, s18
	s_wait_alu 0xfffd
	v_add_co_ci_u32_e64 v23, null, s19, v25, vcc_lo
	global_load_u16 v20, v[20:21], off
	global_load_u16 v21, v[22:23], off
	s_wait_loadcnt 0x11
	ds_bpermute_b32 v25, v9, v18
	ds_bpermute_b32 v22, v1, v18
	s_wait_loadcnt 0x10
	ds_bpermute_b32 v23, v1, v19
	ds_bpermute_b32 v27, v8, v18
	;; [unrolled: 1-line block ×14, first 2 shown]
	v_add_co_u32 v4, vcc_lo, v4, s22
	s_add_nc_u64 s[2:3], s[2:3], s[20:21]
	s_wait_alu 0xfffd
	v_add_co_ci_u32_e64 v5, null, s23, v5, vcc_lo
	v_add_co_u32 v2, vcc_lo, v2, s20
	s_wait_alu 0xfffe
	v_cmp_lt_i64_e64 s1, s[2:3], s[16:17]
	s_wait_alu 0xfffd
	v_add_co_ci_u32_e64 v3, null, 0, v3, vcc_lo
	v_add_co_u32 v15, vcc_lo, v15, s24
	s_wait_alu 0xfffd
	v_add_co_ci_u32_e64 v16, null, s25, v16, vcc_lo
	s_and_b32 vcc_lo, exec_lo, s1
	s_wait_loadcnt 0xc
	v_lshlrev_b32_e32 v33, 16, v33
	s_wait_dscnt 0xf
	s_delay_alu instid0(VALU_DEP_1) | instskip(SKIP_1) | instid1(VALU_DEP_2)
	v_dual_sub_f32 v25, v33, v25 :: v_dual_lshlrev_b32 v30, 16, v30
	v_lshlrev_b32_e32 v31, 16, v31
	v_add_f32_e32 v17, v17, v30
	s_wait_dscnt 0xe
	s_delay_alu instid0(VALU_DEP_2) | instskip(NEXT) | instid1(VALU_DEP_1)
	v_sub_f32_e32 v22, v31, v22
	v_dual_mul_f32 v22, v22, v30 :: v_dual_lshlrev_b32 v31, 16, v32
	s_wait_loadcnt 0xa
	v_lshlrev_b32_e32 v32, 16, v35
	v_lshlrev_b32_e32 v30, 16, v34
	s_wait_dscnt 0xd
	v_fmac_f32_e32 v0, v22, v23
	s_wait_loadcnt 0x8
	v_dual_mul_f32 v22, v25, v31 :: v_dual_lshlrev_b32 v25, 16, v37
	s_wait_dscnt 0xc
	v_sub_f32_e32 v23, v32, v27
	v_add_f32_e32 v17, v17, v31
	v_lshlrev_b32_e32 v27, 16, v36
	s_wait_dscnt 0xb
	v_fmac_f32_e32 v0, v22, v24
	s_wait_loadcnt 0x6
	v_lshlrev_b32_e32 v24, 16, v39
	s_wait_dscnt 0xa
	v_dual_mul_f32 v22, v23, v30 :: v_dual_sub_f32 v23, v25, v43
	v_add_f32_e32 v17, v17, v30
	v_lshlrev_b32_e32 v25, 16, v38
	s_wait_dscnt 0x9
	s_delay_alu instid0(VALU_DEP_3)
	v_fmac_f32_e32 v0, v22, v26
	s_wait_dscnt 0x8
	v_dual_mul_f32 v22, v23, v27 :: v_dual_sub_f32 v23, v24, v45
	s_wait_loadcnt 0x5
	v_lshlrev_b32_e32 v26, 16, v28
	s_wait_loadcnt 0x4
	v_dual_add_f32 v17, v17, v27 :: v_dual_lshlrev_b32 v24, 16, v29
	s_wait_dscnt 0x7
	v_fmac_f32_e32 v0, v22, v42
	s_wait_dscnt 0x5
	s_delay_alu instid0(VALU_DEP_2) | instskip(SKIP_3) | instid1(VALU_DEP_3)
	v_dual_mul_f32 v22, v23, v25 :: v_dual_sub_f32 v23, v24, v47
	v_add_f32_e32 v17, v17, v25
	s_wait_loadcnt 0x3
	v_lshlrev_b32_e32 v25, 16, v40
	v_fmac_f32_e32 v0, v22, v44
	s_wait_loadcnt 0x2
	v_dual_add_f32 v17, v17, v26 :: v_dual_lshlrev_b32 v24, 16, v41
	v_mul_f32_e32 v22, v23, v26
	s_wait_loadcnt_dscnt 0x104
	s_delay_alu instid0(VALU_DEP_2)
	v_dual_sub_f32 v23, v24, v49 :: v_dual_lshlrev_b32 v20, 16, v20
	s_wait_loadcnt 0x0
	v_lshlrev_b32_e32 v21, 16, v21
	s_wait_dscnt 0x3
	v_dual_add_f32 v17, v17, v25 :: v_dual_fmac_f32 v0, v22, v46
	s_wait_dscnt 0x2
	v_sub_f32_e32 v18, v20, v18
	v_mul_f32_e32 v22, v23, v25
	s_delay_alu instid0(VALU_DEP_3) | instskip(NEXT) | instid1(VALU_DEP_3)
	v_add_f32_e32 v17, v17, v21
	v_mul_f32_e32 v18, v18, v21
	s_wait_dscnt 0x1
	s_delay_alu instid0(VALU_DEP_3) | instskip(SKIP_1) | instid1(VALU_DEP_1)
	v_fmac_f32_e32 v0, v22, v48
	s_wait_dscnt 0x0
	v_fmac_f32_e32 v0, v18, v19
	s_wait_alu 0xfffe
	s_cbranch_vccz .LBB112_10
.LBB112_7:                              ; =>This Inner Loop Header: Depth=1
	v_dual_mov_b32 v19, 0 :: v_dual_mov_b32 v18, 0
	s_and_saveexec_b32 s1, s0
	s_cbranch_execz .LBB112_6
; %bb.8:                                ;   in Loop: Header=BB112_7 Depth=1
	v_dual_mov_b32 v18, 0 :: v_dual_mov_b32 v19, 0
	s_mov_b32 s26, exec_lo
	v_cmpx_gt_i64_e64 s[16:17], v[2:3]
	s_cbranch_execz .LBB112_5
; %bb.9:                                ;   in Loop: Header=BB112_7 Depth=1
	v_add_co_u32 v18, vcc_lo, s8, v4
	s_wait_alu 0xfffd
	v_add_co_ci_u32_e64 v19, null, s9, v5, vcc_lo
	v_add_co_u32 v20, vcc_lo, s10, v4
	s_wait_alu 0xfffd
	v_add_co_ci_u32_e64 v21, null, s11, v5, vcc_lo
	global_load_b32 v18, v[18:19], off
	global_load_b32 v19, v[20:21], off
	s_branch .LBB112_5
.LBB112_10:
	v_mov_b32_e32 v1, v7
.LBB112_11:
	s_delay_alu instid0(VALU_DEP_1) | instskip(SKIP_2) | instid1(VALU_DEP_2)
	v_mad_u32_u24 v2, v1, 33, v6
	v_lshrrev_b32_e32 v3, 5, v6
	s_mov_b32 s0, exec_lo
	v_lshl_add_u32 v4, v2, 2, 0
	s_delay_alu instid0(VALU_DEP_2)
	v_add_nc_u32_e32 v2, v3, v1
	ds_store_b32 v4, v0
	ds_store_b32 v4, v17 offset:2112
	s_wait_dscnt 0x0
	s_barrier_signal -1
	s_barrier_wait -1
	global_inv scope:SCOPE_SE
	v_cmpx_gt_u32_e32 32, v2
	s_cbranch_execz .LBB112_27
; %bb.12:
	v_and_b32_e32 v0, 31, v6
                                        ; implicit-def: $vgpr1
	s_delay_alu instid0(VALU_DEP_1)
	v_cmp_gt_u32_e64 s0, 16, v0
	v_mul_u32_u24_e32 v3, 33, v0
                                        ; implicit-def: $vgpr0
	s_wait_alu 0xfffe
	s_and_saveexec_b32 s1, s0
	s_cbranch_execz .LBB112_14
; %bb.13:
	s_delay_alu instid0(VALU_DEP_1) | instskip(NEXT) | instid1(VALU_DEP_1)
	v_add_nc_u32_e32 v0, v2, v3
	v_lshl_add_u32 v0, v0, 2, 0
	ds_load_b32 v1, v0
	ds_load_b32 v0, v0 offset:2112
.LBB112_14:
	s_wait_alu 0xfffe
	s_or_b32 exec_lo, exec_lo, s1
	v_mbcnt_lo_u32_b32 v8, -1, 0
	s_mov_b32 s2, ttmp9
	s_mov_b32 s3, 0
	v_cmp_eq_u32_e64 s1, 0, v6
	s_wait_alu 0xfffe
	s_lshl_b64 s[2:3], s[2:3], 5
	v_xor_b32_e32 v4, 8, v8
	v_xor_b32_e32 v5, 4, v8
	;; [unrolled: 1-line block ×3, first 2 shown]
	s_wait_kmcnt 0x0
	s_cmp_lg_u64 s[12:13], 0
	s_cselect_b32 s5, -1, 0
	v_cmp_gt_i32_e32 vcc_lo, 32, v4
	s_cmp_lg_u64 s[14:15], 0
	s_cselect_b32 s4, -1, 0
	s_wait_alu 0xfffd
	v_cndmask_b32_e32 v4, v8, v4, vcc_lo
	v_cmp_gt_i32_e32 vcc_lo, 32, v5
	s_wait_alu 0xfffd
	v_cndmask_b32_e32 v5, v8, v5, vcc_lo
	s_delay_alu instid0(VALU_DEP_1)
	v_lshlrev_b32_e32 v5, 2, v5
	v_lshlrev_b32_e32 v4, 2, v4
	s_wait_dscnt 0x1
	ds_bpermute_b32 v7, v4, v1
	s_wait_dscnt 0x0
	v_add_f32_e32 v1, v1, v7
	ds_bpermute_b32 v9, v4, v0
	v_xor_b32_e32 v7, 2, v8
	s_delay_alu instid0(VALU_DEP_1) | instskip(SKIP_4) | instid1(VALU_DEP_2)
	v_cmp_gt_i32_e32 vcc_lo, 32, v7
	s_wait_alu 0xfffd
	v_cndmask_b32_e32 v7, v8, v7, vcc_lo
	v_cmp_gt_i32_e32 vcc_lo, 32, v11
	s_wait_dscnt 0x0
	v_dual_add_f32 v0, v0, v9 :: v_dual_lshlrev_b32 v7, 2, v7
	ds_bpermute_b32 v9, v5, v1
	ds_bpermute_b32 v10, v5, v0
	s_wait_dscnt 0x0
	v_dual_add_f32 v1, v1, v9 :: v_dual_add_f32 v0, v0, v10
	ds_bpermute_b32 v9, v7, v1
	s_wait_alu 0xfffd
	v_cndmask_b32_e32 v8, v8, v11, vcc_lo
	ds_bpermute_b32 v10, v7, v0
	s_wait_dscnt 0x1
	v_dual_add_f32 v1, v1, v9 :: v_dual_lshlrev_b32 v8, 2, v8
	s_wait_dscnt 0x0
	v_add_f32_e32 v0, v0, v10
	ds_bpermute_b32 v9, v8, v1
	ds_bpermute_b32 v10, v8, v0
	s_wait_dscnt 0x0
	v_dual_add_f32 v6, v1, v9 :: v_dual_add_f32 v9, v0, v10
	s_and_saveexec_b32 s6, s1
	s_cbranch_execz .LBB112_19
; %bb.15:
	s_wait_alu 0xfffe
	v_mov_b32_e32 v1, s3
	v_or_b32_e32 v0, s2, v2
	s_and_not1_b32 vcc_lo, exec_lo, s5
	s_delay_alu instid0(VALU_DEP_1)
	v_lshlrev_b64_e32 v[0:1], 1, v[0:1]
	s_wait_alu 0xfffe
	s_cbranch_vccnz .LBB112_17
; %bb.16:
	v_bfe_u32 v10, v6, 16, 1
	v_cmp_o_f32_e32 vcc_lo, v6, v6
	s_delay_alu instid0(VALU_DEP_2) | instskip(NEXT) | instid1(VALU_DEP_1)
	v_add3_u32 v10, v6, v10, 0x7fff
	v_lshrrev_b32_e32 v10, 16, v10
	s_wait_alu 0xfffd
	s_delay_alu instid0(VALU_DEP_1)
	v_cndmask_b32_e32 v12, 0x7fc0, v10, vcc_lo
	v_add_co_u32 v10, vcc_lo, s12, v0
	s_wait_alu 0xfffd
	v_add_co_ci_u32_e64 v11, null, s13, v1, vcc_lo
	global_store_b16 v[10:11], v12, off
.LBB112_17:
	s_and_not1_b32 vcc_lo, exec_lo, s4
	s_wait_alu 0xfffe
	s_cbranch_vccnz .LBB112_19
; %bb.18:
	v_bfe_u32 v10, v9, 16, 1
	v_cmp_o_f32_e32 vcc_lo, v9, v9
	s_delay_alu instid0(VALU_DEP_2) | instskip(NEXT) | instid1(VALU_DEP_1)
	v_add3_u32 v10, v9, v10, 0x7fff
	v_lshrrev_b32_e32 v10, 16, v10
	s_wait_alu 0xfffd
	s_delay_alu instid0(VALU_DEP_1)
	v_cndmask_b32_e32 v10, 0x7fc0, v10, vcc_lo
	v_add_co_u32 v0, vcc_lo, s14, v0
	s_wait_alu 0xfffd
	v_add_co_ci_u32_e64 v1, null, s15, v1, vcc_lo
	global_store_b16 v[0:1], v10, off
.LBB112_19:
	s_wait_alu 0xfffe
	s_or_b32 exec_lo, exec_lo, s6
	v_cmp_gt_u32_e32 vcc_lo, 16, v2
	s_and_b32 exec_lo, exec_lo, vcc_lo
	s_cbranch_execz .LBB112_27
; %bb.20:
	s_and_saveexec_b32 s6, s0
	s_cbranch_execz .LBB112_22
; %bb.21:
	v_add_nc_u32_e32 v0, v2, v3
	s_delay_alu instid0(VALU_DEP_1)
	v_lshl_add_u32 v0, v0, 2, 0
	ds_load_b32 v6, v0 offset:64
	ds_load_b32 v9, v0 offset:2176
.LBB112_22:
	s_wait_alu 0xfffe
	s_or_b32 exec_lo, exec_lo, s6
	s_wait_dscnt 0x1
	ds_bpermute_b32 v0, v4, v6
	s_wait_dscnt 0x1
	ds_bpermute_b32 v1, v4, v9
	s_wait_dscnt 0x0
	v_dual_add_f32 v0, v6, v0 :: v_dual_add_f32 v1, v9, v1
	ds_bpermute_b32 v3, v5, v0
	ds_bpermute_b32 v4, v5, v1
	s_wait_dscnt 0x0
	v_dual_add_f32 v0, v0, v3 :: v_dual_add_f32 v1, v1, v4
	ds_bpermute_b32 v3, v7, v0
	;; [unrolled: 4-line block ×3, first 2 shown]
	ds_bpermute_b32 v1, v8, v0
	s_and_b32 exec_lo, exec_lo, s1
	s_cbranch_execz .LBB112_27
; %bb.23:
	s_and_not1_b32 vcc_lo, exec_lo, s5
	s_wait_alu 0xfffe
	s_cbranch_vccnz .LBB112_25
; %bb.24:
	s_wait_dscnt 0x1
	v_add_f32_e32 v5, v3, v4
	s_delay_alu instid0(VALU_DEP_1) | instskip(SKIP_1) | instid1(VALU_DEP_2)
	v_bfe_u32 v3, v5, 16, 1
	v_cmp_o_f32_e32 vcc_lo, v5, v5
	v_add3_u32 v6, v5, v3, 0x7fff
	v_add_co_u32 v3, s0, s2, v2
	s_wait_alu 0xf1ff
	v_add_co_ci_u32_e64 v4, null, s3, 0, s0
	s_delay_alu instid0(VALU_DEP_3) | instskip(NEXT) | instid1(VALU_DEP_2)
	v_lshrrev_b32_e32 v6, 16, v6
	v_lshlrev_b64_e32 v[3:4], 1, v[3:4]
	s_wait_alu 0xfffd
	s_delay_alu instid0(VALU_DEP_2) | instskip(NEXT) | instid1(VALU_DEP_2)
	v_cndmask_b32_e32 v5, 0x7fc0, v6, vcc_lo
	v_add_co_u32 v3, vcc_lo, s12, v3
	s_wait_alu 0xfffd
	s_delay_alu instid0(VALU_DEP_3)
	v_add_co_ci_u32_e64 v4, null, s13, v4, vcc_lo
	global_store_b16 v[3:4], v5, off offset:32
.LBB112_25:
	s_and_not1_b32 vcc_lo, exec_lo, s4
	s_wait_alu 0xfffe
	s_cbranch_vccnz .LBB112_27
; %bb.26:
	s_wait_dscnt 0x0
	v_add_f32_e32 v3, v0, v1
	s_delay_alu instid0(VALU_DEP_1) | instskip(SKIP_1) | instid1(VALU_DEP_2)
	v_bfe_u32 v0, v3, 16, 1
	v_cmp_o_f32_e32 vcc_lo, v3, v3
	v_add3_u32 v4, v3, v0, 0x7fff
	v_add_co_u32 v0, s0, s2, v2
	s_wait_alu 0xf1ff
	v_add_co_ci_u32_e64 v1, null, s3, 0, s0
	s_delay_alu instid0(VALU_DEP_3) | instskip(NEXT) | instid1(VALU_DEP_2)
	v_lshrrev_b32_e32 v2, 16, v4
	v_lshlrev_b64_e32 v[0:1], 1, v[0:1]
	s_wait_alu 0xfffd
	s_delay_alu instid0(VALU_DEP_2) | instskip(NEXT) | instid1(VALU_DEP_2)
	v_cndmask_b32_e32 v2, 0x7fc0, v2, vcc_lo
	v_add_co_u32 v0, vcc_lo, s14, v0
	s_wait_alu 0xfffd
	s_delay_alu instid0(VALU_DEP_3)
	v_add_co_ci_u32_e64 v1, null, s15, v1, vcc_lo
	global_store_b16 v[0:1], v2, off offset:32
.LBB112_27:
	s_endpgm
	.section	.rodata,"a",@progbits
	.p2align	6, 0x0
	.amdhsa_kernel _ZN2at6native12_GLOBAL__N_135GammaBetaBackwardCUDAKernelTemplateIN3c108BFloat16EfLj32ELj16ELj128ELb0ELb1ELb0EEEvllPKT_S7_PKT0_SA_PS5_SB_
		.amdhsa_group_segment_fixed_size 0
		.amdhsa_private_segment_fixed_size 0
		.amdhsa_kernarg_size 320
		.amdhsa_user_sgpr_count 2
		.amdhsa_user_sgpr_dispatch_ptr 0
		.amdhsa_user_sgpr_queue_ptr 0
		.amdhsa_user_sgpr_kernarg_segment_ptr 1
		.amdhsa_user_sgpr_dispatch_id 0
		.amdhsa_user_sgpr_private_segment_size 0
		.amdhsa_wavefront_size32 1
		.amdhsa_uses_dynamic_stack 0
		.amdhsa_enable_private_segment 0
		.amdhsa_system_sgpr_workgroup_id_x 1
		.amdhsa_system_sgpr_workgroup_id_y 1
		.amdhsa_system_sgpr_workgroup_id_z 0
		.amdhsa_system_sgpr_workgroup_info 0
		.amdhsa_system_vgpr_workitem_id 1
		.amdhsa_next_free_vgpr 50
		.amdhsa_next_free_sgpr 27
		.amdhsa_reserve_vcc 1
		.amdhsa_float_round_mode_32 0
		.amdhsa_float_round_mode_16_64 0
		.amdhsa_float_denorm_mode_32 3
		.amdhsa_float_denorm_mode_16_64 3
		.amdhsa_fp16_overflow 0
		.amdhsa_workgroup_processor_mode 1
		.amdhsa_memory_ordered 1
		.amdhsa_forward_progress 1
		.amdhsa_inst_pref_size 21
		.amdhsa_round_robin_scheduling 0
		.amdhsa_exception_fp_ieee_invalid_op 0
		.amdhsa_exception_fp_denorm_src 0
		.amdhsa_exception_fp_ieee_div_zero 0
		.amdhsa_exception_fp_ieee_overflow 0
		.amdhsa_exception_fp_ieee_underflow 0
		.amdhsa_exception_fp_ieee_inexact 0
		.amdhsa_exception_int_div_zero 0
	.end_amdhsa_kernel
	.section	.text._ZN2at6native12_GLOBAL__N_135GammaBetaBackwardCUDAKernelTemplateIN3c108BFloat16EfLj32ELj16ELj128ELb0ELb1ELb0EEEvllPKT_S7_PKT0_SA_PS5_SB_,"axG",@progbits,_ZN2at6native12_GLOBAL__N_135GammaBetaBackwardCUDAKernelTemplateIN3c108BFloat16EfLj32ELj16ELj128ELb0ELb1ELb0EEEvllPKT_S7_PKT0_SA_PS5_SB_,comdat
.Lfunc_end112:
	.size	_ZN2at6native12_GLOBAL__N_135GammaBetaBackwardCUDAKernelTemplateIN3c108BFloat16EfLj32ELj16ELj128ELb0ELb1ELb0EEEvllPKT_S7_PKT0_SA_PS5_SB_, .Lfunc_end112-_ZN2at6native12_GLOBAL__N_135GammaBetaBackwardCUDAKernelTemplateIN3c108BFloat16EfLj32ELj16ELj128ELb0ELb1ELb0EEEvllPKT_S7_PKT0_SA_PS5_SB_
                                        ; -- End function
	.set _ZN2at6native12_GLOBAL__N_135GammaBetaBackwardCUDAKernelTemplateIN3c108BFloat16EfLj32ELj16ELj128ELb0ELb1ELb0EEEvllPKT_S7_PKT0_SA_PS5_SB_.num_vgpr, 50
	.set _ZN2at6native12_GLOBAL__N_135GammaBetaBackwardCUDAKernelTemplateIN3c108BFloat16EfLj32ELj16ELj128ELb0ELb1ELb0EEEvllPKT_S7_PKT0_SA_PS5_SB_.num_agpr, 0
	.set _ZN2at6native12_GLOBAL__N_135GammaBetaBackwardCUDAKernelTemplateIN3c108BFloat16EfLj32ELj16ELj128ELb0ELb1ELb0EEEvllPKT_S7_PKT0_SA_PS5_SB_.numbered_sgpr, 27
	.set _ZN2at6native12_GLOBAL__N_135GammaBetaBackwardCUDAKernelTemplateIN3c108BFloat16EfLj32ELj16ELj128ELb0ELb1ELb0EEEvllPKT_S7_PKT0_SA_PS5_SB_.num_named_barrier, 0
	.set _ZN2at6native12_GLOBAL__N_135GammaBetaBackwardCUDAKernelTemplateIN3c108BFloat16EfLj32ELj16ELj128ELb0ELb1ELb0EEEvllPKT_S7_PKT0_SA_PS5_SB_.private_seg_size, 0
	.set _ZN2at6native12_GLOBAL__N_135GammaBetaBackwardCUDAKernelTemplateIN3c108BFloat16EfLj32ELj16ELj128ELb0ELb1ELb0EEEvllPKT_S7_PKT0_SA_PS5_SB_.uses_vcc, 1
	.set _ZN2at6native12_GLOBAL__N_135GammaBetaBackwardCUDAKernelTemplateIN3c108BFloat16EfLj32ELj16ELj128ELb0ELb1ELb0EEEvllPKT_S7_PKT0_SA_PS5_SB_.uses_flat_scratch, 0
	.set _ZN2at6native12_GLOBAL__N_135GammaBetaBackwardCUDAKernelTemplateIN3c108BFloat16EfLj32ELj16ELj128ELb0ELb1ELb0EEEvllPKT_S7_PKT0_SA_PS5_SB_.has_dyn_sized_stack, 0
	.set _ZN2at6native12_GLOBAL__N_135GammaBetaBackwardCUDAKernelTemplateIN3c108BFloat16EfLj32ELj16ELj128ELb0ELb1ELb0EEEvllPKT_S7_PKT0_SA_PS5_SB_.has_recursion, 0
	.set _ZN2at6native12_GLOBAL__N_135GammaBetaBackwardCUDAKernelTemplateIN3c108BFloat16EfLj32ELj16ELj128ELb0ELb1ELb0EEEvllPKT_S7_PKT0_SA_PS5_SB_.has_indirect_call, 0
	.section	.AMDGPU.csdata,"",@progbits
; Kernel info:
; codeLenInByte = 2616
; TotalNumSgprs: 29
; NumVgprs: 50
; ScratchSize: 0
; MemoryBound: 0
; FloatMode: 240
; IeeeMode: 1
; LDSByteSize: 0 bytes/workgroup (compile time only)
; SGPRBlocks: 0
; VGPRBlocks: 6
; NumSGPRsForWavesPerEU: 29
; NumVGPRsForWavesPerEU: 50
; Occupancy: 16
; WaveLimiterHint : 0
; COMPUTE_PGM_RSRC2:SCRATCH_EN: 0
; COMPUTE_PGM_RSRC2:USER_SGPR: 2
; COMPUTE_PGM_RSRC2:TRAP_HANDLER: 0
; COMPUTE_PGM_RSRC2:TGID_X_EN: 1
; COMPUTE_PGM_RSRC2:TGID_Y_EN: 1
; COMPUTE_PGM_RSRC2:TGID_Z_EN: 0
; COMPUTE_PGM_RSRC2:TIDIG_COMP_CNT: 1
	.section	.text._ZN2at6native12_GLOBAL__N_135GammaBetaBackwardCUDAKernelTemplateIN3c108BFloat16EfLj32ELj16ELj128ELb0ELb0ELb0EEEvllPKT_S7_PKT0_SA_PS5_SB_,"axG",@progbits,_ZN2at6native12_GLOBAL__N_135GammaBetaBackwardCUDAKernelTemplateIN3c108BFloat16EfLj32ELj16ELj128ELb0ELb0ELb0EEEvllPKT_S7_PKT0_SA_PS5_SB_,comdat
	.globl	_ZN2at6native12_GLOBAL__N_135GammaBetaBackwardCUDAKernelTemplateIN3c108BFloat16EfLj32ELj16ELj128ELb0ELb0ELb0EEEvllPKT_S7_PKT0_SA_PS5_SB_ ; -- Begin function _ZN2at6native12_GLOBAL__N_135GammaBetaBackwardCUDAKernelTemplateIN3c108BFloat16EfLj32ELj16ELj128ELb0ELb0ELb0EEEvllPKT_S7_PKT0_SA_PS5_SB_
	.p2align	8
	.type	_ZN2at6native12_GLOBAL__N_135GammaBetaBackwardCUDAKernelTemplateIN3c108BFloat16EfLj32ELj16ELj128ELb0ELb0ELb0EEEvllPKT_S7_PKT0_SA_PS5_SB_,@function
_ZN2at6native12_GLOBAL__N_135GammaBetaBackwardCUDAKernelTemplateIN3c108BFloat16EfLj32ELj16ELj128ELb0ELb0ELb0EEEvllPKT_S7_PKT0_SA_PS5_SB_: ; @_ZN2at6native12_GLOBAL__N_135GammaBetaBackwardCUDAKernelTemplateIN3c108BFloat16EfLj32ELj16ELj128ELb0ELb0ELb0EEEvllPKT_S7_PKT0_SA_PS5_SB_
; %bb.0:
	s_clause 0x1
	s_load_b256 s[4:11], s[0:1], 0x0
	s_load_b128 s[12:15], s[0:1], 0x20
	s_lshl_b32 s30, ttmp9, 5
	s_mov_b32 s17, 0
	s_or_b32 s16, s30, 31
	s_wait_kmcnt 0x0
	v_cmp_le_i64_e64 s2, s[6:7], s[16:17]
	s_lshl_b32 s16, ttmp7, 7
	s_wait_alu 0xfffe
	v_cmp_gt_i64_e64 s31, s[4:5], s[16:17]
	s_and_b32 vcc_lo, exec_lo, s2
	v_cndmask_b32_e64 v1, 0, 1, s31
	s_delay_alu instid0(VALU_DEP_1)
	v_cmp_ne_u32_e64 s2, 1, v1
	s_cbranch_vccz .LBB113_49
; %bb.1:
	v_dual_mov_b32 v10, 0 :: v_dual_mov_b32 v55, 0
	s_and_b32 vcc_lo, exec_lo, s2
	s_cbranch_vccnz .LBB113_50
; %bb.2:
	v_bfe_u32 v20, v0, 10, 10
	v_dual_mov_b32 v1, 0 :: v_dual_and_b32 v22, 0x3ff, v0
	s_load_b32 s3, s[0:1], 0x44
	s_mov_b32 s19, 0
	s_delay_alu instid0(VALU_DEP_2) | instskip(NEXT) | instid1(VALU_DEP_2)
	v_dual_mov_b32 v56, 0 :: v_dual_lshlrev_b32 v21, 3, v20
	v_dual_mov_b32 v3, v1 :: v_dual_add_nc_u32 v2, s30, v22
	s_mov_b32 s23, s19
	s_delay_alu instid0(VALU_DEP_2) | instskip(NEXT) | instid1(VALU_DEP_1)
	v_add_co_u32 v10, s2, v21, s16
	v_add_co_ci_u32_e64 v11, null, 0, 0, s2
	s_delay_alu instid0(VALU_DEP_3) | instskip(NEXT) | instid1(VALU_DEP_3)
	v_cmp_gt_i64_e64 s2, s[6:7], v[2:3]
	v_mul_lo_u32 v6, s7, v10
	v_mad_co_u64_u32 v[4:5], null, s6, v10, 0
	s_delay_alu instid0(VALU_DEP_4) | instskip(SKIP_1) | instid1(VALU_DEP_1)
	v_mul_lo_u32 v7, s6, v11
	v_add_co_u32 v8, vcc_lo, v10, 7
	v_add_co_ci_u32_e64 v9, null, 0, v11, vcc_lo
	v_lshlrev_b64_e32 v[18:19], 1, v[2:3]
	s_delay_alu instid0(VALU_DEP_3)
	v_mul_lo_u32 v12, s7, v8
	s_wait_kmcnt 0x0
	s_lshl_b32 s22, s3, 7
	v_add3_u32 v5, v5, v7, v6
	v_mad_co_u64_u32 v[6:7], null, s6, v8, 0
	v_add_co_u32 v8, vcc_lo, v10, 6
	v_mul_lo_u32 v13, s6, v9
	s_wait_alu 0xfffd
	v_add_co_ci_u32_e64 v9, null, 0, v11, vcc_lo
	v_lshlrev_b64_e32 v[2:3], 1, v[4:5]
	v_mul_lo_u32 v14, s7, v8
	v_mov_b32_e32 v55, 0
	s_delay_alu instid0(VALU_DEP_4)
	v_mul_lo_u32 v15, s6, v9
	v_mad_co_u64_u32 v[8:9], null, s6, v8, 0
	v_add_co_u32 v23, vcc_lo, s8, v2
	s_wait_alu 0xfffd
	v_add_co_ci_u32_e64 v24, null, s9, v3, vcc_lo
	v_add_co_u32 v25, vcc_lo, s10, v2
	v_add3_u32 v7, v7, v13, v12
	s_wait_alu 0xfffd
	v_add_co_ci_u32_e64 v26, null, s11, v3, vcc_lo
	v_add_co_u32 v12, vcc_lo, v10, 5
	v_add3_u32 v9, v9, v15, v14
	s_wait_alu 0xfffd
	v_add_co_ci_u32_e64 v13, null, 0, v11, vcc_lo
	v_lshlrev_b64_e32 v[2:3], 1, v[6:7]
	v_mul_lo_u32 v14, s7, v12
	v_lshlrev_b64_e32 v[6:7], 1, v[8:9]
	s_delay_alu instid0(VALU_DEP_4)
	v_mul_lo_u32 v13, s6, v13
	v_mad_co_u64_u32 v[8:9], null, s6, v12, 0
	v_add_co_u32 v27, vcc_lo, s8, v2
	s_wait_alu 0xfffd
	v_add_co_ci_u32_e64 v28, null, s9, v3, vcc_lo
	v_add_co_u32 v29, vcc_lo, s10, v2
	s_wait_alu 0xfffd
	v_add_co_ci_u32_e64 v30, null, s11, v3, vcc_lo
	v_add_co_u32 v31, vcc_lo, s8, v6
	v_add3_u32 v9, v9, v13, v14
	s_wait_alu 0xfffd
	v_add_co_ci_u32_e64 v32, null, s9, v7, vcc_lo
	v_add_co_u32 v12, vcc_lo, v10, 4
	v_add_co_u32 v33, s3, s10, v6
	s_wait_alu 0xfffd
	v_add_co_ci_u32_e64 v6, null, 0, v11, vcc_lo
	v_lshlrev_b64_e32 v[2:3], 1, v[8:9]
	v_add_co_u32 v8, vcc_lo, v10, 3
	s_wait_alu 0xfffd
	v_add_co_ci_u32_e64 v9, null, 0, v11, vcc_lo
	s_wait_alu 0xf1ff
	v_add_co_ci_u32_e64 v34, null, s11, v7, s3
	v_mul_lo_u32 v13, s7, v12
	v_mul_lo_u32 v14, s6, v6
	v_mad_co_u64_u32 v[6:7], null, s6, v12, 0
	v_mul_lo_u32 v12, s7, v8
	v_mul_lo_u32 v15, s6, v9
	v_mad_co_u64_u32 v[8:9], null, s6, v8, 0
	v_add_co_u32 v35, vcc_lo, s8, v2
	s_wait_alu 0xfffd
	v_add_co_ci_u32_e64 v36, null, s9, v3, vcc_lo
	v_add3_u32 v7, v7, v14, v13
	v_add_co_u32 v37, vcc_lo, s10, v2
	s_wait_alu 0xfffd
	v_add_co_ci_u32_e64 v38, null, s11, v3, vcc_lo
	v_add_co_u32 v10, vcc_lo, v10, 2
	v_add3_u32 v9, v9, v15, v12
	s_wait_alu 0xfffd
	v_add_co_ci_u32_e64 v11, null, 0, v11, vcc_lo
	v_lshlrev_b64_e32 v[2:3], 1, v[6:7]
	v_mul_lo_u32 v12, s7, v10
	v_lshlrev_b64_e32 v[6:7], 1, v[8:9]
	s_delay_alu instid0(VALU_DEP_4)
	v_mul_lo_u32 v11, s6, v11
	v_mad_co_u64_u32 v[8:9], null, s6, v10, 0
	v_add_co_u32 v39, vcc_lo, s8, v2
	s_wait_alu 0xfffd
	v_add_co_ci_u32_e64 v40, null, s9, v3, vcc_lo
	v_add_co_u32 v41, vcc_lo, s10, v2
	s_wait_alu 0xfffd
	v_add_co_ci_u32_e64 v42, null, s11, v3, vcc_lo
	;; [unrolled: 3-line block ×3, first 2 shown]
	v_add3_u32 v9, v9, v11, v12
	v_add_co_u32 v45, vcc_lo, s10, v6
	s_wait_alu 0xfffd
	v_add_co_ci_u32_e64 v46, null, s11, v7, vcc_lo
	v_add_co_u32 v4, vcc_lo, v4, s6
	s_wait_alu 0xfffd
	v_add_co_ci_u32_e64 v5, null, s7, v5, vcc_lo
	v_lshlrev_b64_e32 v[2:3], 1, v[8:9]
	s_mul_u64 s[24:25], s[6:7], s[22:23]
	s_add_nc_u64 s[20:21], s[0:1], 64
	s_delay_alu instid0(VALU_DEP_2)
	v_lshlrev_b64_e32 v[4:5], 1, v[4:5]
	s_lshl_b64 s[24:25], s[24:25], 1
	s_add_nc_u64 s[26:27], s[16:17], 0x7f
	v_add_co_u32 v47, vcc_lo, s8, v2
	s_wait_alu 0xfffd
	v_add_co_ci_u32_e64 v48, null, s9, v3, vcc_lo
	v_add_co_u32 v49, vcc_lo, s10, v2
	s_wait_alu 0xfffd
	v_add_co_ci_u32_e64 v50, null, s11, v3, vcc_lo
	;; [unrolled: 3-line block ×4, first 2 shown]
	s_mov_b64 s[28:29], s[16:17]
.LBB113_3:                              ; =>This Inner Loop Header: Depth=1
	v_cmp_ge_i64_e64 s3, s[26:27], s[4:5]
	v_add_co_u32 v57, s18, v21, s26
	s_wait_alu 0xf1ff
	v_add_co_ci_u32_e64 v58, null, 0, s27, s18
                                        ; implicit-def: $vgpr10_vgpr11_vgpr12_vgpr13_vgpr14_vgpr15_vgpr16_vgpr17
                                        ; implicit-def: $vgpr2_vgpr3_vgpr4_vgpr5_vgpr6_vgpr7_vgpr8_vgpr9
                                        ; implicit-def: $vgpr60
                                        ; implicit-def: $vgpr2
	s_and_b32 vcc_lo, exec_lo, s3
	s_mov_b32 s3, -1
                                        ; implicit-def: $vgpr10
                                        ; implicit-def: $vgpr3
	s_wait_alu 0xfffe
	s_cbranch_vccz .LBB113_25
; %bb.4:                                ;   in Loop: Header=BB113_3 Depth=1
	s_load_b32 s3, s[20:21], 0xc
	v_dual_mov_b32 v60, 0 :: v_dual_mov_b32 v59, 0
	s_wait_kmcnt 0x0
	s_and_b32 s3, s3, 0xffff
	s_wait_alu 0xfffe
	v_mad_u32_u24 v2, v20, s3, v22
	s_mov_b32 s3, exec_lo
	s_delay_alu instid0(VALU_DEP_1) | instskip(NEXT) | instid1(VALU_DEP_1)
	v_and_b32_e32 v2, 31, v2
	v_cmpx_gt_u32_e32 8, v2
	s_cbranch_execz .LBB113_8
; %bb.5:                                ;   in Loop: Header=BB113_3 Depth=1
	v_add_co_u32 v2, vcc_lo, v57, v2
	s_wait_alu 0xfffd
	v_add_co_ci_u32_e64 v3, null, 0, v58, vcc_lo
	v_dual_mov_b32 v59, 0 :: v_dual_mov_b32 v60, 0
	s_delay_alu instid0(VALU_DEP_3) | instskip(SKIP_1) | instid1(VALU_DEP_3)
	v_add_co_u32 v2, vcc_lo, 0xffffff81, v2
	s_wait_alu 0xfffd
	v_add_co_ci_u32_e64 v3, null, -1, v3, vcc_lo
	s_mov_b32 s18, exec_lo
	v_cmpx_gt_i64_e64 s[4:5], v[2:3]
	s_cbranch_execz .LBB113_7
; %bb.6:                                ;   in Loop: Header=BB113_3 Depth=1
	v_lshlrev_b64_e32 v[2:3], 2, v[2:3]
	s_delay_alu instid0(VALU_DEP_1) | instskip(SKIP_1) | instid1(VALU_DEP_2)
	v_add_co_u32 v4, vcc_lo, s12, v2
	s_wait_alu 0xfffd
	v_add_co_ci_u32_e64 v5, null, s13, v3, vcc_lo
	v_add_co_u32 v2, vcc_lo, s14, v2
	s_wait_alu 0xfffd
	v_add_co_ci_u32_e64 v3, null, s15, v3, vcc_lo
	global_load_b32 v59, v[4:5], off
	global_load_b32 v60, v[2:3], off
.LBB113_7:                              ;   in Loop: Header=BB113_3 Depth=1
	s_wait_alu 0xfffe
	s_or_b32 exec_lo, exec_lo, s18
.LBB113_8:                              ;   in Loop: Header=BB113_3 Depth=1
	s_wait_alu 0xfffe
	s_or_b32 exec_lo, exec_lo, s3
	v_add_co_u32 v9, vcc_lo, 0xffffff81, v57
	s_wait_alu 0xfffd
	v_add_co_ci_u32_e64 v10, null, -1, v58, vcc_lo
	v_mov_b32_e32 v8, v1
	v_dual_mov_b32 v2, v1 :: v_dual_mov_b32 v3, v1
	v_dual_mov_b32 v4, v1 :: v_dual_mov_b32 v5, v1
	v_dual_mov_b32 v6, v1 :: v_dual_mov_b32 v7, v1
	v_cmp_gt_i64_e32 vcc_lo, s[4:5], v[9:10]
	s_delay_alu instid0(VALU_DEP_3) | instskip(NEXT) | instid1(VALU_DEP_3)
	v_dual_mov_b32 v17, v8 :: v_dual_mov_b32 v14, v5
	v_dual_mov_b32 v15, v6 :: v_dual_mov_b32 v16, v7
	v_dual_mov_b32 v13, v4 :: v_dual_mov_b32 v12, v3
	v_dual_mov_b32 v11, v2 :: v_dual_mov_b32 v10, v1
	v_mov_b32_e32 v9, v8
	v_mov_b32_e32 v8, v7
	;; [unrolled: 1-line block ×8, first 2 shown]
	s_and_b32 s18, s2, vcc_lo
	s_wait_alu 0xfffe
	s_and_saveexec_b32 s3, s18
	s_cbranch_execz .LBB113_10
; %bb.9:                                ;   in Loop: Header=BB113_3 Depth=1
	v_add_co_u32 v2, vcc_lo, v23, v18
	s_wait_alu 0xfffd
	v_add_co_ci_u32_e64 v3, null, v24, v19, vcc_lo
	v_add_co_u32 v4, vcc_lo, v25, v18
	s_wait_alu 0xfffd
	v_add_co_ci_u32_e64 v5, null, v26, v19, vcc_lo
	global_load_u16 v2, v[2:3], off
	global_load_u16 v10, v[4:5], off
	v_dual_mov_b32 v3, v1 :: v_dual_mov_b32 v4, v1
	v_dual_mov_b32 v5, v1 :: v_dual_mov_b32 v6, v1
	;; [unrolled: 1-line block ×6, first 2 shown]
	v_mov_b32_e32 v15, v1
	s_wait_loadcnt 0x1
	v_dual_mov_b32 v17, v1 :: v_dual_lshlrev_b32 v2, 16, v2
	s_wait_loadcnt 0x0
	v_lshlrev_b32_e32 v10, 16, v10
.LBB113_10:                             ;   in Loop: Header=BB113_3 Depth=1
	s_wait_alu 0xfffe
	s_or_b32 exec_lo, exec_lo, s3
	v_add_co_u32 v61, vcc_lo, 0xffffff82, v57
	s_wait_alu 0xfffd
	v_add_co_ci_u32_e64 v62, null, -1, v58, vcc_lo
	s_delay_alu instid0(VALU_DEP_1)
	v_cmp_gt_i64_e32 vcc_lo, s[4:5], v[61:62]
	s_and_b32 s18, s2, vcc_lo
	s_wait_alu 0xfffe
	s_and_saveexec_b32 s3, s18
	s_cbranch_execz .LBB113_12
; %bb.11:                               ;   in Loop: Header=BB113_3 Depth=1
	v_add_co_u32 v61, vcc_lo, v51, v18
	s_wait_alu 0xfffd
	v_add_co_ci_u32_e64 v62, null, v52, v19, vcc_lo
	v_add_co_u32 v63, vcc_lo, v53, v18
	s_wait_alu 0xfffd
	v_add_co_ci_u32_e64 v64, null, v54, v19, vcc_lo
	global_load_u16 v3, v[61:62], off
	global_load_u16 v11, v[63:64], off
	s_wait_loadcnt 0x1
	v_lshlrev_b32_e32 v3, 16, v3
	s_wait_loadcnt 0x0
	v_lshlrev_b32_e32 v11, 16, v11
.LBB113_12:                             ;   in Loop: Header=BB113_3 Depth=1
	s_wait_alu 0xfffe
	s_or_b32 exec_lo, exec_lo, s3
	v_add_co_u32 v61, vcc_lo, 0xffffff83, v57
	s_wait_alu 0xfffd
	v_add_co_ci_u32_e64 v62, null, -1, v58, vcc_lo
	s_delay_alu instid0(VALU_DEP_1)
	v_cmp_gt_i64_e32 vcc_lo, s[4:5], v[61:62]
	s_and_b32 s18, s2, vcc_lo
	s_wait_alu 0xfffe
	s_and_saveexec_b32 s3, s18
	s_cbranch_execz .LBB113_14
; %bb.13:                               ;   in Loop: Header=BB113_3 Depth=1
	v_add_co_u32 v61, vcc_lo, v47, v18
	s_wait_alu 0xfffd
	v_add_co_ci_u32_e64 v62, null, v48, v19, vcc_lo
	v_add_co_u32 v63, vcc_lo, v49, v18
	s_wait_alu 0xfffd
	v_add_co_ci_u32_e64 v64, null, v50, v19, vcc_lo
	global_load_u16 v4, v[61:62], off
	global_load_u16 v12, v[63:64], off
	s_wait_loadcnt 0x1
	v_lshlrev_b32_e32 v4, 16, v4
	s_wait_loadcnt 0x0
	v_lshlrev_b32_e32 v12, 16, v12
.LBB113_14:                             ;   in Loop: Header=BB113_3 Depth=1
	;; [unrolled: 25-line block ×7, first 2 shown]
	s_wait_alu 0xfffe
	s_or_b32 exec_lo, exec_lo, s3
	s_wait_loadcnt 0x1
	ds_bpermute_b32 v61, v1, v59
	ds_bpermute_b32 v62, v1, v59 offset:4
	ds_bpermute_b32 v63, v1, v59 offset:8
	s_wait_loadcnt 0x0
	ds_bpermute_b32 v64, v1, v60
	ds_bpermute_b32 v65, v1, v59 offset:12
	ds_bpermute_b32 v66, v1, v60 offset:4
	;; [unrolled: 1-line block ×7, first 2 shown]
	s_mov_b32 s3, 0
	s_wait_dscnt 0xa
	v_dual_sub_f32 v10, v10, v61 :: v_dual_add_f32 v61, v55, v2
	s_wait_dscnt 0x8
	v_dual_sub_f32 v11, v11, v62 :: v_dual_sub_f32 v12, v12, v63
	ds_bpermute_b32 v62, v1, v60 offset:16
	v_mul_f32_e32 v2, v2, v10
	ds_bpermute_b32 v63, v1, v60 offset:20
	v_dual_mul_f32 v11, v3, v11 :: v_dual_mul_f32 v12, v4, v12
	v_add_f32_e32 v3, v3, v61
	s_wait_dscnt 0x9
	v_fma_f32 v10, v2, v64, v56
	s_wait_dscnt 0x8
	v_sub_f32_e32 v2, v13, v65
	ds_bpermute_b32 v64, v1, v60 offset:24
	ds_bpermute_b32 v60, v1, v60 offset:28
	s_wait_dscnt 0x9
	v_dual_add_f32 v3, v4, v3 :: v_dual_fmac_f32 v10, v11, v66
	s_wait_dscnt 0x8
	v_sub_f32_e32 v11, v14, v67
	v_mul_f32_e32 v13, v5, v2
	ds_bpermute_b32 v2, v1, v59 offset:28
	s_wait_dscnt 0x6
	v_sub_f32_e32 v4, v15, v70
	v_dual_fmac_f32 v10, v12, v68 :: v_dual_mul_f32 v11, v6, v11
	v_add_f32_e32 v3, v5, v3
	s_wait_dscnt 0x5
	s_delay_alu instid0(VALU_DEP_3) | instskip(NEXT) | instid1(VALU_DEP_2)
	v_dual_sub_f32 v5, v16, v71 :: v_dual_mul_f32 v4, v7, v4
	v_dual_fmac_f32 v10, v13, v69 :: v_dual_add_f32 v3, v6, v3
	s_wait_dscnt 0x4
	s_delay_alu instid0(VALU_DEP_1) | instskip(SKIP_1) | instid1(VALU_DEP_1)
	v_dual_mul_f32 v5, v8, v5 :: v_dual_fmac_f32 v10, v11, v62
	s_wait_dscnt 0x3
	v_fmac_f32_e32 v10, v4, v63
	s_wait_dscnt 0x2
	s_delay_alu instid0(VALU_DEP_1) | instskip(NEXT) | instid1(VALU_DEP_1)
	v_dual_add_f32 v3, v7, v3 :: v_dual_fmac_f32 v10, v5, v64
	v_add_f32_e32 v3, v8, v3
.LBB113_25:                             ;   in Loop: Header=BB113_3 Depth=1
	s_wait_alu 0xfffe
	s_and_b32 vcc_lo, exec_lo, s3
	s_wait_alu 0xfffe
	s_cbranch_vccz .LBB113_40
; %bb.26:                               ;   in Loop: Header=BB113_3 Depth=1
	s_load_b32 s3, s[20:21], 0x0
	s_wait_dscnt 0x1
	v_dual_mov_b32 v60, 0 :: v_dual_mov_b32 v59, 0
	s_wait_kmcnt 0x0
	s_cmp_lt_u32 ttmp9, s3
	s_cselect_b32 s18, 12, 18
	s_wait_alu 0xfffe
	s_add_nc_u64 s[34:35], s[20:21], s[18:19]
	s_load_u16 s3, s[34:35], 0x0
	s_wait_dscnt 0x0
	s_wait_kmcnt 0x0
	v_mad_u32_u24 v2, v20, s3, v22
	s_mov_b32 s3, exec_lo
	s_delay_alu instid0(VALU_DEP_1) | instskip(NEXT) | instid1(VALU_DEP_1)
	v_and_b32_e32 v2, 31, v2
	v_cmpx_gt_u32_e32 8, v2
	s_cbranch_execz .LBB113_30
; %bb.27:                               ;   in Loop: Header=BB113_3 Depth=1
	v_add_co_u32 v2, vcc_lo, v57, v2
	s_wait_alu 0xfffd
	v_add_co_ci_u32_e64 v3, null, 0, v58, vcc_lo
	v_dual_mov_b32 v59, 0 :: v_dual_mov_b32 v60, 0
	s_delay_alu instid0(VALU_DEP_3) | instskip(SKIP_1) | instid1(VALU_DEP_3)
	v_add_co_u32 v2, vcc_lo, 0xffffff81, v2
	s_wait_alu 0xfffd
	v_add_co_ci_u32_e64 v3, null, -1, v3, vcc_lo
	s_mov_b32 s18, exec_lo
	v_cmpx_gt_i64_e64 s[4:5], v[2:3]
	s_cbranch_execz .LBB113_29
; %bb.28:                               ;   in Loop: Header=BB113_3 Depth=1
	v_lshlrev_b64_e32 v[2:3], 2, v[2:3]
	s_delay_alu instid0(VALU_DEP_1) | instskip(SKIP_1) | instid1(VALU_DEP_2)
	v_add_co_u32 v4, vcc_lo, s12, v2
	s_wait_alu 0xfffd
	v_add_co_ci_u32_e64 v5, null, s13, v3, vcc_lo
	v_add_co_u32 v2, vcc_lo, s14, v2
	s_wait_alu 0xfffd
	v_add_co_ci_u32_e64 v3, null, s15, v3, vcc_lo
	global_load_b32 v59, v[4:5], off
	global_load_b32 v60, v[2:3], off
.LBB113_29:                             ;   in Loop: Header=BB113_3 Depth=1
	s_wait_alu 0xfffe
	s_or_b32 exec_lo, exec_lo, s18
.LBB113_30:                             ;   in Loop: Header=BB113_3 Depth=1
	s_wait_alu 0xfffe
	s_or_b32 exec_lo, exec_lo, s3
	v_mov_b32_e32 v8, v1
	v_dual_mov_b32 v2, v1 :: v_dual_mov_b32 v3, v1
	v_dual_mov_b32 v4, v1 :: v_dual_mov_b32 v5, v1
	;; [unrolled: 1-line block ×3, first 2 shown]
	s_delay_alu instid0(VALU_DEP_4) | instskip(NEXT) | instid1(VALU_DEP_3)
	v_mov_b32_e32 v17, v8
	v_dual_mov_b32 v13, v4 :: v_dual_mov_b32 v12, v3
	s_delay_alu instid0(VALU_DEP_3) | instskip(NEXT) | instid1(VALU_DEP_4)
	v_dual_mov_b32 v15, v6 :: v_dual_mov_b32 v14, v5
	v_dual_mov_b32 v16, v7 :: v_dual_mov_b32 v11, v2
	;; [unrolled: 1-line block ×3, first 2 shown]
	v_mov_b32_e32 v8, v7
	v_mov_b32_e32 v7, v6
	;; [unrolled: 1-line block ×7, first 2 shown]
	s_and_saveexec_b32 s3, s2
	s_cbranch_execnz .LBB113_42
; %bb.31:                               ;   in Loop: Header=BB113_3 Depth=1
	s_wait_alu 0xfffe
	s_or_b32 exec_lo, exec_lo, s3
	s_and_saveexec_b32 s3, s2
	s_cbranch_execnz .LBB113_43
.LBB113_32:                             ;   in Loop: Header=BB113_3 Depth=1
	s_wait_alu 0xfffe
	s_or_b32 exec_lo, exec_lo, s3
	s_and_saveexec_b32 s3, s2
	s_cbranch_execnz .LBB113_44
.LBB113_33:                             ;   in Loop: Header=BB113_3 Depth=1
	s_wait_alu 0xfffe
	s_or_b32 exec_lo, exec_lo, s3
	s_and_saveexec_b32 s3, s2
	s_cbranch_execnz .LBB113_45
.LBB113_34:                             ;   in Loop: Header=BB113_3 Depth=1
	s_wait_alu 0xfffe
	s_or_b32 exec_lo, exec_lo, s3
	s_and_saveexec_b32 s3, s2
	s_cbranch_execnz .LBB113_46
.LBB113_35:                             ;   in Loop: Header=BB113_3 Depth=1
	s_wait_alu 0xfffe
	s_or_b32 exec_lo, exec_lo, s3
	s_and_saveexec_b32 s3, s2
	s_cbranch_execnz .LBB113_47
.LBB113_36:                             ;   in Loop: Header=BB113_3 Depth=1
	s_wait_alu 0xfffe
	s_or_b32 exec_lo, exec_lo, s3
	s_and_saveexec_b32 s3, s2
	s_cbranch_execnz .LBB113_48
.LBB113_37:                             ;   in Loop: Header=BB113_3 Depth=1
	s_wait_alu 0xfffe
	s_or_b32 exec_lo, exec_lo, s3
	s_and_saveexec_b32 s3, s2
	s_cbranch_execz .LBB113_39
.LBB113_38:                             ;   in Loop: Header=BB113_3 Depth=1
	v_add_co_u32 v57, vcc_lo, v27, v18
	s_wait_alu 0xfffd
	v_add_co_ci_u32_e64 v58, null, v28, v19, vcc_lo
	v_add_co_u32 v61, vcc_lo, v29, v18
	s_wait_alu 0xfffd
	v_add_co_ci_u32_e64 v62, null, v30, v19, vcc_lo
	global_load_u16 v9, v[57:58], off
	global_load_u16 v17, v[61:62], off
	s_wait_loadcnt 0x1
	v_lshlrev_b32_e32 v9, 16, v9
	s_wait_loadcnt 0x0
	v_lshlrev_b32_e32 v17, 16, v17
.LBB113_39:                             ;   in Loop: Header=BB113_3 Depth=1
	s_wait_alu 0xfffe
	s_or_b32 exec_lo, exec_lo, s3
	s_wait_loadcnt 0x1
	ds_bpermute_b32 v57, v1, v59
	ds_bpermute_b32 v58, v1, v59 offset:4
	ds_bpermute_b32 v61, v1, v59 offset:8
	s_wait_loadcnt 0x0
	ds_bpermute_b32 v62, v1, v60
	ds_bpermute_b32 v63, v1, v59 offset:12
	ds_bpermute_b32 v64, v1, v60 offset:4
	;; [unrolled: 1-line block ×5, first 2 shown]
	s_wait_dscnt 0x7
	v_dual_sub_f32 v10, v10, v57 :: v_dual_sub_f32 v11, v11, v58
	ds_bpermute_b32 v57, v1, v60 offset:12
	s_wait_dscnt 0x7
	v_sub_f32_e32 v12, v12, v61
	ds_bpermute_b32 v58, v1, v60 offset:20
	v_dual_mul_f32 v10, v2, v10 :: v_dual_mul_f32 v11, v3, v11
	s_wait_dscnt 0x6
	v_dual_add_f32 v2, v55, v2 :: v_dual_sub_f32 v13, v13, v63
	ds_bpermute_b32 v55, v1, v60 offset:16
	v_fmac_f32_e32 v56, v10, v62
	ds_bpermute_b32 v10, v1, v59 offset:24
	s_wait_dscnt 0x6
	v_dual_add_f32 v2, v3, v2 :: v_dual_sub_f32 v3, v14, v65
	v_dual_fmac_f32 v56, v11, v64 :: v_dual_mul_f32 v11, v5, v13
	s_wait_dscnt 0x5
	v_dual_sub_f32 v13, v15, v67 :: v_dual_mul_f32 v12, v4, v12
	s_wait_dscnt 0x4
	s_delay_alu instid0(VALU_DEP_1)
	v_dual_mul_f32 v3, v6, v3 :: v_dual_fmac_f32 v56, v12, v66
	ds_bpermute_b32 v12, v1, v60 offset:24
	ds_bpermute_b32 v60, v1, v60 offset:28
	s_wait_dscnt 0x5
	v_fmac_f32_e32 v56, v11, v57
	s_wait_dscnt 0x2
	s_delay_alu instid0(VALU_DEP_1) | instskip(NEXT) | instid1(VALU_DEP_1)
	v_dual_fmac_f32 v56, v3, v55 :: v_dual_sub_f32 v3, v16, v10
	v_mul_f32_e32 v3, v8, v3
	v_add_f32_e32 v4, v4, v2
	ds_bpermute_b32 v2, v1, v59 offset:28
	v_dual_add_f32 v4, v5, v4 :: v_dual_mul_f32 v5, v7, v13
	s_delay_alu instid0(VALU_DEP_1) | instskip(NEXT) | instid1(VALU_DEP_2)
	v_add_f32_e32 v4, v6, v4
	v_fmac_f32_e32 v56, v5, v58
	s_delay_alu instid0(VALU_DEP_2) | instskip(SKIP_1) | instid1(VALU_DEP_2)
	v_add_f32_e32 v4, v7, v4
	s_wait_dscnt 0x2
	v_fmac_f32_e32 v56, v3, v12
	s_delay_alu instid0(VALU_DEP_2) | instskip(NEXT) | instid1(VALU_DEP_2)
	v_add_f32_e32 v3, v8, v4
	v_mov_b32_e32 v10, v56
.LBB113_40:                             ;   in Loop: Header=BB113_3 Depth=1
	v_add_co_u32 v23, vcc_lo, v23, s24
	s_wait_alu 0xfffd
	v_add_co_ci_u32_e64 v24, null, s25, v24, vcc_lo
	v_add_co_u32 v25, vcc_lo, v25, s24
	s_wait_alu 0xfffd
	v_add_co_ci_u32_e64 v26, null, s25, v26, vcc_lo
	;; [unrolled: 3-line block ×10, first 2 shown]
	v_add_co_u32 v43, vcc_lo, v43, s24
	s_wait_dscnt 0x0
	v_dual_sub_f32 v2, v17, v2 :: v_dual_add_f32 v55, v3, v9
	s_wait_alu 0xfffd
	v_add_co_ci_u32_e64 v44, null, s25, v44, vcc_lo
	v_add_co_u32 v45, vcc_lo, v45, s24
	s_wait_alu 0xfffd
	v_add_co_ci_u32_e64 v46, null, s25, v46, vcc_lo
	v_add_co_u32 v47, vcc_lo, v47, s24
	;; [unrolled: 3-line block ×3, first 2 shown]
	s_add_nc_u64 s[28:29], s[28:29], s[22:23]
	v_mul_f32_e32 v2, v9, v2
	s_wait_alu 0xfffd
	v_add_co_ci_u32_e64 v50, null, s25, v50, vcc_lo
	v_add_co_u32 v51, vcc_lo, v51, s24
	s_wait_alu 0xfffe
	v_cmp_lt_i64_e64 s3, s[28:29], s[4:5]
	s_wait_alu 0xfffd
	v_add_co_ci_u32_e64 v52, null, s25, v52, vcc_lo
	v_add_co_u32 v53, vcc_lo, v53, s24
	v_fmac_f32_e32 v10, v2, v60
	s_wait_alu 0xfffd
	v_add_co_ci_u32_e64 v54, null, s25, v54, vcc_lo
	s_and_b32 vcc_lo, exec_lo, s3
	s_add_nc_u64 s[26:27], s[26:27], s[22:23]
	s_wait_alu 0xfffe
	s_cbranch_vccz .LBB113_50
; %bb.41:                               ;   in Loop: Header=BB113_3 Depth=1
	v_mov_b32_e32 v56, v10
	s_branch .LBB113_3
.LBB113_42:                             ;   in Loop: Header=BB113_3 Depth=1
	v_add_co_u32 v2, vcc_lo, v23, v18
	s_wait_alu 0xfffd
	v_add_co_ci_u32_e64 v3, null, v24, v19, vcc_lo
	v_add_co_u32 v4, vcc_lo, v25, v18
	s_wait_alu 0xfffd
	v_add_co_ci_u32_e64 v5, null, v26, v19, vcc_lo
	global_load_u16 v2, v[2:3], off
	global_load_u16 v10, v[4:5], off
	v_dual_mov_b32 v3, v1 :: v_dual_mov_b32 v4, v1
	v_dual_mov_b32 v5, v1 :: v_dual_mov_b32 v6, v1
	;; [unrolled: 1-line block ×6, first 2 shown]
	v_mov_b32_e32 v15, v1
	s_wait_loadcnt 0x1
	v_dual_mov_b32 v17, v1 :: v_dual_lshlrev_b32 v2, 16, v2
	s_wait_loadcnt 0x0
	v_lshlrev_b32_e32 v10, 16, v10
	s_wait_alu 0xfffe
	s_or_b32 exec_lo, exec_lo, s3
	s_and_saveexec_b32 s3, s2
	s_cbranch_execz .LBB113_32
.LBB113_43:                             ;   in Loop: Header=BB113_3 Depth=1
	v_add_co_u32 v57, vcc_lo, v51, v18
	s_wait_alu 0xfffd
	v_add_co_ci_u32_e64 v58, null, v52, v19, vcc_lo
	v_add_co_u32 v61, vcc_lo, v53, v18
	s_wait_alu 0xfffd
	v_add_co_ci_u32_e64 v62, null, v54, v19, vcc_lo
	global_load_u16 v3, v[57:58], off
	global_load_u16 v11, v[61:62], off
	s_wait_loadcnt 0x1
	v_lshlrev_b32_e32 v3, 16, v3
	s_wait_loadcnt 0x0
	v_lshlrev_b32_e32 v11, 16, v11
	s_wait_alu 0xfffe
	s_or_b32 exec_lo, exec_lo, s3
	s_and_saveexec_b32 s3, s2
	s_cbranch_execz .LBB113_33
.LBB113_44:                             ;   in Loop: Header=BB113_3 Depth=1
	v_add_co_u32 v57, vcc_lo, v47, v18
	s_wait_alu 0xfffd
	v_add_co_ci_u32_e64 v58, null, v48, v19, vcc_lo
	v_add_co_u32 v61, vcc_lo, v49, v18
	s_wait_alu 0xfffd
	v_add_co_ci_u32_e64 v62, null, v50, v19, vcc_lo
	global_load_u16 v4, v[57:58], off
	global_load_u16 v12, v[61:62], off
	s_wait_loadcnt 0x1
	v_lshlrev_b32_e32 v4, 16, v4
	s_wait_loadcnt 0x0
	v_lshlrev_b32_e32 v12, 16, v12
	s_wait_alu 0xfffe
	s_or_b32 exec_lo, exec_lo, s3
	s_and_saveexec_b32 s3, s2
	s_cbranch_execz .LBB113_34
.LBB113_45:                             ;   in Loop: Header=BB113_3 Depth=1
	v_add_co_u32 v57, vcc_lo, v43, v18
	s_wait_alu 0xfffd
	v_add_co_ci_u32_e64 v58, null, v44, v19, vcc_lo
	v_add_co_u32 v61, vcc_lo, v45, v18
	s_wait_alu 0xfffd
	v_add_co_ci_u32_e64 v62, null, v46, v19, vcc_lo
	global_load_u16 v5, v[57:58], off
	global_load_u16 v13, v[61:62], off
	s_wait_loadcnt 0x1
	v_lshlrev_b32_e32 v5, 16, v5
	s_wait_loadcnt 0x0
	v_lshlrev_b32_e32 v13, 16, v13
	s_wait_alu 0xfffe
	s_or_b32 exec_lo, exec_lo, s3
	s_and_saveexec_b32 s3, s2
	s_cbranch_execz .LBB113_35
.LBB113_46:                             ;   in Loop: Header=BB113_3 Depth=1
	v_add_co_u32 v57, vcc_lo, v39, v18
	s_wait_alu 0xfffd
	v_add_co_ci_u32_e64 v58, null, v40, v19, vcc_lo
	v_add_co_u32 v61, vcc_lo, v41, v18
	s_wait_alu 0xfffd
	v_add_co_ci_u32_e64 v62, null, v42, v19, vcc_lo
	global_load_u16 v6, v[57:58], off
	global_load_u16 v14, v[61:62], off
	s_wait_loadcnt 0x1
	v_lshlrev_b32_e32 v6, 16, v6
	s_wait_loadcnt 0x0
	v_lshlrev_b32_e32 v14, 16, v14
	s_wait_alu 0xfffe
	s_or_b32 exec_lo, exec_lo, s3
	s_and_saveexec_b32 s3, s2
	s_cbranch_execz .LBB113_36
.LBB113_47:                             ;   in Loop: Header=BB113_3 Depth=1
	v_add_co_u32 v57, vcc_lo, v35, v18
	s_wait_alu 0xfffd
	v_add_co_ci_u32_e64 v58, null, v36, v19, vcc_lo
	v_add_co_u32 v61, vcc_lo, v37, v18
	s_wait_alu 0xfffd
	v_add_co_ci_u32_e64 v62, null, v38, v19, vcc_lo
	global_load_u16 v7, v[57:58], off
	global_load_u16 v15, v[61:62], off
	s_wait_loadcnt 0x1
	v_lshlrev_b32_e32 v7, 16, v7
	s_wait_loadcnt 0x0
	v_lshlrev_b32_e32 v15, 16, v15
	s_wait_alu 0xfffe
	s_or_b32 exec_lo, exec_lo, s3
	s_and_saveexec_b32 s3, s2
	s_cbranch_execz .LBB113_37
.LBB113_48:                             ;   in Loop: Header=BB113_3 Depth=1
	v_add_co_u32 v57, vcc_lo, v31, v18
	s_wait_alu 0xfffd
	v_add_co_ci_u32_e64 v58, null, v32, v19, vcc_lo
	v_add_co_u32 v61, vcc_lo, v33, v18
	s_wait_alu 0xfffd
	v_add_co_ci_u32_e64 v62, null, v34, v19, vcc_lo
	global_load_u16 v8, v[57:58], off
	global_load_u16 v16, v[61:62], off
	s_wait_loadcnt 0x1
	v_lshlrev_b32_e32 v8, 16, v8
	s_wait_loadcnt 0x0
	v_lshlrev_b32_e32 v16, 16, v16
	s_wait_alu 0xfffe
	s_or_b32 exec_lo, exec_lo, s3
	s_and_saveexec_b32 s3, s2
	s_cbranch_execnz .LBB113_38
	s_branch .LBB113_39
.LBB113_49:
                                        ; implicit-def: $vgpr10
                                        ; implicit-def: $vgpr55
	s_branch .LBB113_51
.LBB113_50:
	s_cbranch_execnz .LBB113_83
.LBB113_51:
	v_dual_mov_b32 v10, 0 :: v_dual_mov_b32 v55, 0
	s_and_not1_b32 vcc_lo, exec_lo, s31
	s_wait_alu 0xfffe
	s_cbranch_vccnz .LBB113_83
; %bb.52:
	v_bfe_u32 v48, v0, 10, 10
	v_dual_mov_b32 v1, 0 :: v_dual_and_b32 v50, 0x3ff, v0
	s_lshl_b64 s[20:21], s[16:17], 1
	s_mov_b32 s3, 0
	s_delay_alu instid0(VALU_DEP_2) | instskip(SKIP_2) | instid1(VALU_DEP_3)
	v_dual_mov_b32 v84, 0 :: v_dual_lshlrev_b32 v49, 3, v48
	v_dual_mov_b32 v85, 0 :: v_dual_lshlrev_b32 v8, 4, v48
	v_dual_mov_b32 v5, v1 :: v_dual_add_nc_u32 v4, s30, v50
	v_add_co_u32 v10, s2, v49, s16
	s_wait_alu 0xf1ff
	v_add_co_ci_u32_e64 v11, null, 0, 0, s2
	s_delay_alu instid0(VALU_DEP_3) | instskip(NEXT) | instid1(VALU_DEP_3)
	v_lshlrev_b64_e32 v[18:19], 1, v[4:5]
	v_mul_lo_u32 v6, s7, v10
	v_mad_co_u64_u32 v[2:3], null, s6, v10, 0
	s_delay_alu instid0(VALU_DEP_4) | instskip(SKIP_2) | instid1(VALU_DEP_1)
	v_mul_lo_u32 v7, s6, v11
	s_load_b32 s2, s[0:1], 0x44
	s_mov_b32 s19, s3
	v_add3_u32 v3, v3, v7, v6
	v_add_co_u32 v6, s18, v8, s20
	s_wait_alu 0xf1ff
	v_add_co_ci_u32_e64 v7, null, 0, s21, s18
	s_delay_alu instid0(VALU_DEP_3) | instskip(NEXT) | instid1(VALU_DEP_3)
	v_lshlrev_b64_e32 v[4:5], 1, v[2:3]
	v_add_co_u32 v8, vcc_lo, v6, 2
	s_wait_alu 0xfffd
	s_delay_alu instid0(VALU_DEP_3) | instskip(NEXT) | instid1(VALU_DEP_3)
	v_add_co_ci_u32_e64 v9, null, 0, v7, vcc_lo
	v_add_co_u32 v51, vcc_lo, s8, v4
	s_wait_alu 0xfffd
	v_add_co_ci_u32_e64 v52, null, s9, v5, vcc_lo
	v_add_co_u32 v53, vcc_lo, s10, v4
	s_wait_alu 0xfffd
	;; [unrolled: 3-line block ×5, first 2 shown]
	v_add_co_ci_u32_e64 v28, null, 0, v7, vcc_lo
	v_add_co_u32 v42, vcc_lo, v6, 10
	v_mad_co_u64_u32 v[22:23], null, s6, v4, s[8:9]
	v_mul_lo_u32 v5, s6, v5
	v_mul_lo_u32 v15, s7, v4
	v_mad_co_u64_u32 v[36:37], null, s6, v4, s[10:11]
	s_wait_alu 0xfffd
	v_add_co_ci_u32_e64 v30, null, 0, v7, vcc_lo
	v_add_co_u32 v44, vcc_lo, v6, 12
	s_wait_alu 0xfffd
	v_add_co_ci_u32_e64 v32, null, 0, v7, vcc_lo
	v_add_co_u32 v6, vcc_lo, v6, 14
	v_mad_co_u64_u32 v[20:21], null, s6, v8, s[8:9]
	v_mul_lo_u32 v9, s6, v9
	v_mul_lo_u32 v12, s7, v8
	v_mad_co_u64_u32 v[34:35], null, s6, v8, s[10:11]
	s_wait_alu 0xfffd
	v_add_co_ci_u32_e64 v7, null, 0, v7, vcc_lo
	v_add_co_u32 v4, vcc_lo, v10, 7
	v_add3_u32 v23, v15, v23, v5
	v_add3_u32 v37, v15, v37, v5
	s_wait_alu 0xfffd
	v_add_co_ci_u32_e64 v5, null, 0, v11, vcc_lo
	v_mul_lo_u32 v61, s6, v7
	v_add_co_u32 v7, vcc_lo, v10, 6
	v_add3_u32 v21, v12, v21, v9
	v_add3_u32 v35, v12, v35, v9
	s_wait_alu 0xfffd
	v_add_co_ci_u32_e64 v12, null, 0, v11, vcc_lo
	v_mul_lo_u32 v8, s7, v4
	v_mul_lo_u32 v9, s6, v5
	v_mad_co_u64_u32 v[4:5], null, s6, v4, 0
	v_mad_co_u64_u32 v[24:25], null, s6, v13, s[8:9]
	v_mul_lo_u32 v17, s7, v13
	v_mul_lo_u32 v59, s6, v32
	v_mad_co_u64_u32 v[32:33], null, s6, v6, s[8:9]
	v_mul_lo_u32 v62, s7, v6
	v_mad_co_u64_u32 v[38:39], null, s6, v13, s[10:11]
	v_mad_co_u64_u32 v[46:47], null, s6, v6, s[10:11]
	v_mul_lo_u32 v13, s7, v7
	v_mul_lo_u32 v12, s6, v12
	v_mad_co_u64_u32 v[6:7], null, s6, v7, 0
	v_add3_u32 v5, v5, v9, v8
	v_add_co_u32 v8, vcc_lo, v10, 5
	v_mad_co_u64_u32 v[26:27], null, s6, v16, s[8:9]
	v_mul_lo_u32 v55, s6, v28
	v_mul_lo_u32 v56, s7, v16
	v_mad_co_u64_u32 v[40:41], null, s6, v16, s[10:11]
	s_wait_alu 0xfffd
	v_add_co_ci_u32_e64 v9, null, 0, v11, vcc_lo
	v_add3_u32 v7, v7, v12, v13
	v_mad_co_u64_u32 v[28:29], null, s6, v42, s[8:9]
	v_mul_lo_u32 v57, s6, v30
	v_mul_lo_u32 v58, s7, v42
	v_mad_co_u64_u32 v[42:43], null, s6, v42, s[10:11]
	v_lshlrev_b64_e32 v[4:5], 1, v[4:5]
	v_mad_co_u64_u32 v[30:31], null, s6, v44, s[8:9]
	v_mul_lo_u32 v60, s7, v44
	v_mad_co_u64_u32 v[44:45], null, s6, v44, s[10:11]
	v_mul_lo_u32 v12, s7, v8
	v_mul_lo_u32 v13, s6, v9
	v_mad_co_u64_u32 v[8:9], null, s6, v8, 0
	v_lshlrev_b64_e32 v[6:7], 1, v[6:7]
	v_add3_u32 v27, v56, v27, v55
	v_add3_u32 v41, v56, v41, v55
	v_add_co_u32 v56, vcc_lo, s8, v4
	v_add3_u32 v29, v58, v29, v57
	v_add3_u32 v43, v58, v43, v57
	s_wait_alu 0xfffd
	v_add_co_ci_u32_e64 v57, null, s9, v5, vcc_lo
	v_add_co_u32 v58, vcc_lo, s10, v4
	v_add3_u32 v31, v60, v31, v59
	v_add3_u32 v45, v60, v45, v59
	s_wait_alu 0xfffd
	v_add_co_ci_u32_e64 v59, null, s11, v5, vcc_lo
	v_add_co_u32 v60, vcc_lo, s8, v6
	v_mul_lo_u32 v14, s6, v14
	v_add3_u32 v9, v9, v13, v12
	v_add3_u32 v33, v62, v33, v61
	;; [unrolled: 1-line block ×3, first 2 shown]
	s_wait_alu 0xfffd
	v_add_co_ci_u32_e64 v61, null, s9, v7, vcc_lo
	v_add_co_u32 v12, vcc_lo, v10, 4
	s_wait_kmcnt 0x0
	s_lshl_b32 s18, s2, 7
	v_add_co_u32 v62, s2, s10, v6
	s_wait_alu 0xfffd
	v_add_co_ci_u32_e64 v6, null, 0, v11, vcc_lo
	v_lshlrev_b64_e32 v[4:5], 1, v[8:9]
	v_add_co_u32 v8, vcc_lo, v10, 3
	s_wait_alu 0xfffd
	v_add_co_ci_u32_e64 v9, null, 0, v11, vcc_lo
	v_add3_u32 v25, v17, v25, v14
	v_add3_u32 v39, v17, v39, v14
	s_wait_alu 0xf1ff
	v_add_co_ci_u32_e64 v63, null, s11, v7, s2
	v_mul_lo_u32 v13, s7, v12
	v_mul_lo_u32 v14, s6, v6
	v_mad_co_u64_u32 v[6:7], null, s6, v12, 0
	v_mul_lo_u32 v12, s7, v8
	v_mul_lo_u32 v15, s6, v9
	v_mad_co_u64_u32 v[8:9], null, s6, v8, 0
	v_add_co_u32 v64, vcc_lo, s8, v4
	s_wait_alu 0xfffd
	v_add_co_ci_u32_e64 v65, null, s9, v5, vcc_lo
	v_add3_u32 v7, v7, v14, v13
	v_add_co_u32 v66, vcc_lo, s10, v4
	s_wait_alu 0xfffd
	v_add_co_ci_u32_e64 v67, null, s11, v5, vcc_lo
	v_add_co_u32 v10, vcc_lo, v10, 2
	v_add3_u32 v9, v9, v15, v12
	s_wait_alu 0xfffd
	v_add_co_ci_u32_e64 v11, null, 0, v11, vcc_lo
	v_lshlrev_b64_e32 v[4:5], 1, v[6:7]
	v_mul_lo_u32 v12, s7, v10
	v_lshlrev_b64_e32 v[6:7], 1, v[8:9]
	s_delay_alu instid0(VALU_DEP_4)
	v_mul_lo_u32 v11, s6, v11
	v_mad_co_u64_u32 v[8:9], null, s6, v10, 0
	v_add_co_u32 v68, vcc_lo, s8, v4
	s_wait_alu 0xfffd
	v_add_co_ci_u32_e64 v69, null, s9, v5, vcc_lo
	v_add_co_u32 v70, vcc_lo, s10, v4
	s_wait_alu 0xfffd
	v_add_co_ci_u32_e64 v71, null, s11, v5, vcc_lo
	;; [unrolled: 3-line block ×3, first 2 shown]
	v_add3_u32 v9, v9, v11, v12
	v_add_co_u32 v74, vcc_lo, s10, v6
	s_wait_alu 0xfffd
	v_add_co_ci_u32_e64 v75, null, s11, v7, vcc_lo
	v_add_co_u32 v2, vcc_lo, v2, s6
	s_wait_alu 0xfffd
	v_add_co_ci_u32_e64 v3, null, s7, v3, vcc_lo
	v_lshlrev_b64_e32 v[4:5], 1, v[8:9]
	s_wait_alu 0xfffe
	s_mul_u64 s[20:21], s[6:7], s[18:19]
	s_delay_alu instid0(VALU_DEP_2) | instskip(NEXT) | instid1(VALU_DEP_2)
	v_lshlrev_b64_e32 v[2:3], 1, v[2:3]
	v_add_co_u32 v76, vcc_lo, s8, v4
	s_wait_alu 0xfffd
	v_add_co_ci_u32_e64 v77, null, s9, v5, vcc_lo
	v_add_co_u32 v78, vcc_lo, s10, v4
	s_wait_alu 0xfffd
	v_add_co_ci_u32_e64 v79, null, s11, v5, vcc_lo
	;; [unrolled: 3-line block ×4, first 2 shown]
	s_add_nc_u64 s[8:9], s[0:1], 64
	s_wait_alu 0xfffe
	s_lshl_b64 s[10:11], s[20:21], 1
	s_add_nc_u64 s[20:21], s[16:17], 0x7f
.LBB113_53:                             ; =>This Inner Loop Header: Depth=1
	s_wait_alu 0xfffe
	v_cmp_ge_i64_e64 s2, s[20:21], s[4:5]
	v_add_co_u32 v86, s22, v49, s20
	s_wait_alu 0xf1ff
	v_add_co_ci_u32_e64 v87, null, 0, s21, s22
                                        ; implicit-def: $vgpr55
                                        ; implicit-def: $vgpr10
	s_and_b32 vcc_lo, exec_lo, s2
	s_mov_b32 s2, -1
	s_wait_alu 0xfffe
	s_cbranch_vccz .LBB113_75
; %bb.54:                               ;   in Loop: Header=BB113_53 Depth=1
	s_load_b32 s2, s[8:9], 0xc
	v_dual_mov_b32 v88, 0 :: v_dual_mov_b32 v55, 0
	s_wait_kmcnt 0x0
	s_and_b32 s2, s2, 0xffff
	s_wait_alu 0xfffe
	v_mad_u32_u24 v2, v48, s2, v50
	s_mov_b32 s2, exec_lo
	s_delay_alu instid0(VALU_DEP_1) | instskip(NEXT) | instid1(VALU_DEP_1)
	v_and_b32_e32 v2, 31, v2
	v_cmpx_gt_u32_e32 8, v2
	s_cbranch_execz .LBB113_58
; %bb.55:                               ;   in Loop: Header=BB113_53 Depth=1
	v_add_co_u32 v2, vcc_lo, v86, v2
	s_wait_alu 0xfffd
	v_add_co_ci_u32_e64 v3, null, 0, v87, vcc_lo
	v_dual_mov_b32 v55, 0 :: v_dual_mov_b32 v88, 0
	s_delay_alu instid0(VALU_DEP_3) | instskip(SKIP_1) | instid1(VALU_DEP_3)
	v_add_co_u32 v2, vcc_lo, 0xffffff81, v2
	s_wait_alu 0xfffd
	v_add_co_ci_u32_e64 v3, null, -1, v3, vcc_lo
	s_mov_b32 s22, exec_lo
	v_cmpx_gt_i64_e64 s[4:5], v[2:3]
	s_cbranch_execz .LBB113_57
; %bb.56:                               ;   in Loop: Header=BB113_53 Depth=1
	v_lshlrev_b64_e32 v[2:3], 2, v[2:3]
	s_delay_alu instid0(VALU_DEP_1) | instskip(SKIP_1) | instid1(VALU_DEP_2)
	v_add_co_u32 v4, vcc_lo, s12, v2
	s_wait_alu 0xfffd
	v_add_co_ci_u32_e64 v5, null, s13, v3, vcc_lo
	v_add_co_u32 v2, vcc_lo, s14, v2
	s_wait_alu 0xfffd
	v_add_co_ci_u32_e64 v3, null, s15, v3, vcc_lo
	global_load_b32 v55, v[4:5], off
	global_load_b32 v88, v[2:3], off
.LBB113_57:                             ;   in Loop: Header=BB113_53 Depth=1
	s_wait_alu 0xfffe
	s_or_b32 exec_lo, exec_lo, s22
.LBB113_58:                             ;   in Loop: Header=BB113_53 Depth=1
	s_wait_alu 0xfffe
	s_or_b32 exec_lo, exec_lo, s2
	v_add_co_u32 v9, vcc_lo, 0xffffff81, v86
	s_wait_alu 0xfffd
	v_add_co_ci_u32_e64 v10, null, -1, v87, vcc_lo
	v_mov_b32_e32 v8, v1
	v_dual_mov_b32 v2, v1 :: v_dual_mov_b32 v3, v1
	v_dual_mov_b32 v4, v1 :: v_dual_mov_b32 v5, v1
	;; [unrolled: 1-line block ×3, first 2 shown]
	v_cmp_gt_i64_e32 vcc_lo, s[4:5], v[9:10]
	s_delay_alu instid0(VALU_DEP_3) | instskip(NEXT) | instid1(VALU_DEP_3)
	v_dual_mov_b32 v17, v8 :: v_dual_mov_b32 v14, v5
	v_dual_mov_b32 v15, v6 :: v_dual_mov_b32 v16, v7
	;; [unrolled: 1-line block ×4, first 2 shown]
	v_mov_b32_e32 v9, v8
	v_mov_b32_e32 v8, v7
	;; [unrolled: 1-line block ×8, first 2 shown]
	s_and_saveexec_b32 s2, vcc_lo
	s_cbranch_execz .LBB113_60
; %bb.59:                               ;   in Loop: Header=BB113_53 Depth=1
	v_add_co_u32 v2, vcc_lo, v51, v18
	s_wait_alu 0xfffd
	v_add_co_ci_u32_e64 v3, null, v52, v19, vcc_lo
	v_add_co_u32 v4, vcc_lo, v53, v18
	s_wait_alu 0xfffd
	v_add_co_ci_u32_e64 v5, null, v54, v19, vcc_lo
	global_load_u16 v2, v[2:3], off
	global_load_u16 v10, v[4:5], off
	v_dual_mov_b32 v3, v1 :: v_dual_mov_b32 v4, v1
	v_dual_mov_b32 v5, v1 :: v_dual_mov_b32 v6, v1
	;; [unrolled: 1-line block ×6, first 2 shown]
	v_mov_b32_e32 v15, v1
	s_wait_loadcnt 0x1
	v_dual_mov_b32 v17, v1 :: v_dual_lshlrev_b32 v2, 16, v2
	s_wait_loadcnt 0x0
	v_lshlrev_b32_e32 v10, 16, v10
.LBB113_60:                             ;   in Loop: Header=BB113_53 Depth=1
	s_wait_alu 0xfffe
	s_or_b32 exec_lo, exec_lo, s2
	v_add_co_u32 v89, vcc_lo, 0xffffff82, v86
	s_wait_alu 0xfffd
	v_add_co_ci_u32_e64 v90, null, -1, v87, vcc_lo
	s_mov_b32 s2, exec_lo
	v_cmpx_gt_i64_e64 s[4:5], v[89:90]
	s_cbranch_execz .LBB113_62
; %bb.61:                               ;   in Loop: Header=BB113_53 Depth=1
	v_add_co_u32 v89, vcc_lo, v80, v18
	s_wait_alu 0xfffd
	v_add_co_ci_u32_e64 v90, null, v81, v19, vcc_lo
	v_add_co_u32 v91, vcc_lo, v82, v18
	s_wait_alu 0xfffd
	v_add_co_ci_u32_e64 v92, null, v83, v19, vcc_lo
	global_load_u16 v3, v[89:90], off
	global_load_u16 v11, v[91:92], off
	s_wait_loadcnt 0x1
	v_lshlrev_b32_e32 v3, 16, v3
	s_wait_loadcnt 0x0
	v_lshlrev_b32_e32 v11, 16, v11
.LBB113_62:                             ;   in Loop: Header=BB113_53 Depth=1
	s_wait_alu 0xfffe
	s_or_b32 exec_lo, exec_lo, s2
	v_add_co_u32 v89, vcc_lo, 0xffffff83, v86
	s_wait_alu 0xfffd
	v_add_co_ci_u32_e64 v90, null, -1, v87, vcc_lo
	s_mov_b32 s2, exec_lo
	v_cmpx_gt_i64_e64 s[4:5], v[89:90]
	s_cbranch_execz .LBB113_64
; %bb.63:                               ;   in Loop: Header=BB113_53 Depth=1
	v_add_co_u32 v89, vcc_lo, v76, v18
	s_wait_alu 0xfffd
	v_add_co_ci_u32_e64 v90, null, v77, v19, vcc_lo
	v_add_co_u32 v91, vcc_lo, v78, v18
	s_wait_alu 0xfffd
	v_add_co_ci_u32_e64 v92, null, v79, v19, vcc_lo
	global_load_u16 v4, v[89:90], off
	global_load_u16 v12, v[91:92], off
	s_wait_loadcnt 0x1
	v_lshlrev_b32_e32 v4, 16, v4
	s_wait_loadcnt 0x0
	v_lshlrev_b32_e32 v12, 16, v12
.LBB113_64:                             ;   in Loop: Header=BB113_53 Depth=1
	;; [unrolled: 22-line block ×7, first 2 shown]
	s_wait_alu 0xfffe
	s_or_b32 exec_lo, exec_lo, s2
	s_wait_loadcnt 0x1
	ds_bpermute_b32 v90, v1, v55
	s_wait_loadcnt 0x0
	ds_bpermute_b32 v89, v1, v88
	s_mov_b32 s2, 0
	s_wait_dscnt 0x1
	v_sub_f32_e32 v10, v10, v90
	ds_bpermute_b32 v90, v1, v55 offset:4
	s_wait_dscnt 0x0
	v_sub_f32_e32 v11, v11, v90
	s_delay_alu instid0(VALU_DEP_1) | instskip(NEXT) | instid1(VALU_DEP_1)
	v_dual_mul_f32 v11, v3, v11 :: v_dual_mul_f32 v10, v2, v10
	v_fma_f32 v10, v10, v89, v84
	ds_bpermute_b32 v89, v1, v88 offset:4
	s_wait_dscnt 0x0
	v_fmac_f32_e32 v10, v11, v89
	ds_bpermute_b32 v11, v1, v55 offset:8
	s_wait_dscnt 0x0
	v_dual_sub_f32 v11, v12, v11 :: v_dual_add_f32 v2, v85, v2
	s_delay_alu instid0(VALU_DEP_1) | instskip(SKIP_4) | instid1(VALU_DEP_1)
	v_dual_mul_f32 v11, v4, v11 :: v_dual_add_f32 v2, v3, v2
	ds_bpermute_b32 v3, v1, v88 offset:8
	v_add_f32_e32 v2, v4, v2
	ds_bpermute_b32 v4, v1, v55 offset:12
	v_add_f32_e32 v2, v5, v2
	v_add_f32_e32 v2, v6, v2
	s_delay_alu instid0(VALU_DEP_1)
	v_add_f32_e32 v2, v7, v2
	s_wait_dscnt 0x1
	v_fmac_f32_e32 v10, v11, v3
	ds_bpermute_b32 v3, v1, v88 offset:12
	v_add_f32_e32 v2, v8, v2
	s_wait_dscnt 0x1
	v_sub_f32_e32 v4, v13, v4
	s_delay_alu instid0(VALU_DEP_1) | instskip(SKIP_1) | instid1(VALU_DEP_1)
	v_mul_f32_e32 v4, v5, v4
	s_wait_dscnt 0x0
	v_fmac_f32_e32 v10, v4, v3
	ds_bpermute_b32 v4, v1, v55 offset:16
	ds_bpermute_b32 v3, v1, v88 offset:16
	s_wait_dscnt 0x1
	v_sub_f32_e32 v4, v14, v4
	s_delay_alu instid0(VALU_DEP_1) | instskip(SKIP_1) | instid1(VALU_DEP_1)
	v_mul_f32_e32 v4, v6, v4
	s_wait_dscnt 0x0
	v_fmac_f32_e32 v10, v4, v3
	ds_bpermute_b32 v4, v1, v55 offset:20
	ds_bpermute_b32 v3, v1, v88 offset:20
	;; [unrolled: 8-line block ×4, first 2 shown]
	v_add_f32_e32 v55, v9, v2
	s_wait_dscnt 0x1
	v_sub_f32_e32 v4, v17, v4
	s_delay_alu instid0(VALU_DEP_1) | instskip(SKIP_1) | instid1(VALU_DEP_1)
	v_mul_f32_e32 v4, v9, v4
	s_wait_dscnt 0x0
	v_fmac_f32_e32 v10, v4, v3
.LBB113_75:                             ;   in Loop: Header=BB113_53 Depth=1
	s_wait_alu 0xfffe
	s_and_b32 vcc_lo, exec_lo, s2
	s_wait_alu 0xfffe
	s_cbranch_vccz .LBB113_81
; %bb.76:                               ;   in Loop: Header=BB113_53 Depth=1
	s_load_b32 s2, s[8:9], 0x0
	v_dual_mov_b32 v4, 0 :: v_dual_mov_b32 v5, 0
	s_wait_kmcnt 0x0
	s_cmp_lt_u32 ttmp9, s2
	s_cselect_b32 s2, 12, 18
	s_wait_alu 0xfffe
	s_add_nc_u64 s[22:23], s[8:9], s[2:3]
	s_load_u16 s2, s[22:23], 0x0
	s_wait_kmcnt 0x0
	v_mad_u32_u24 v2, v48, s2, v50
	s_mov_b32 s2, exec_lo
	s_delay_alu instid0(VALU_DEP_1) | instskip(NEXT) | instid1(VALU_DEP_1)
	v_and_b32_e32 v2, 31, v2
	v_cmpx_gt_u32_e32 8, v2
	s_cbranch_execz .LBB113_80
; %bb.77:                               ;   in Loop: Header=BB113_53 Depth=1
	v_add_co_u32 v2, vcc_lo, v86, v2
	s_wait_alu 0xfffd
	v_add_co_ci_u32_e64 v3, null, 0, v87, vcc_lo
	v_dual_mov_b32 v4, 0 :: v_dual_mov_b32 v5, 0
	s_delay_alu instid0(VALU_DEP_3) | instskip(SKIP_1) | instid1(VALU_DEP_3)
	v_add_co_u32 v2, vcc_lo, 0xffffff81, v2
	s_wait_alu 0xfffd
	v_add_co_ci_u32_e64 v3, null, -1, v3, vcc_lo
	s_mov_b32 s22, exec_lo
	v_cmpx_gt_i64_e64 s[4:5], v[2:3]
	s_cbranch_execz .LBB113_79
; %bb.78:                               ;   in Loop: Header=BB113_53 Depth=1
	v_lshlrev_b64_e32 v[2:3], 2, v[2:3]
	s_delay_alu instid0(VALU_DEP_1) | instskip(SKIP_1) | instid1(VALU_DEP_2)
	v_add_co_u32 v4, vcc_lo, s12, v2
	s_wait_alu 0xfffd
	v_add_co_ci_u32_e64 v5, null, s13, v3, vcc_lo
	v_add_co_u32 v2, vcc_lo, s14, v2
	s_wait_alu 0xfffd
	v_add_co_ci_u32_e64 v3, null, s15, v3, vcc_lo
	global_load_b32 v4, v[4:5], off
	global_load_b32 v5, v[2:3], off
.LBB113_79:                             ;   in Loop: Header=BB113_53 Depth=1
	s_wait_alu 0xfffe
	s_or_b32 exec_lo, exec_lo, s22
.LBB113_80:                             ;   in Loop: Header=BB113_53 Depth=1
	s_wait_alu 0xfffe
	s_or_b32 exec_lo, exec_lo, s2
	v_add_co_u32 v2, vcc_lo, v51, v18
	s_wait_alu 0xfffd
	v_add_co_ci_u32_e64 v3, null, v52, v19, vcc_lo
	s_wait_loadcnt 0x1
	ds_bpermute_b32 v88, v1, v4
	global_load_u16 v2, v[2:3], off
	s_wait_loadcnt 0x0
	v_lshlrev_b32_e32 v6, 16, v2
	v_add_co_u32 v2, vcc_lo, v53, v18
	s_wait_alu 0xfffd
	v_add_co_ci_u32_e64 v3, null, v54, v19, vcc_lo
	global_load_u16 v2, v[2:3], off
	s_wait_loadcnt 0x0
	v_lshlrev_b32_e32 v7, 16, v2
	v_add_co_u32 v2, vcc_lo, v20, v18
	s_wait_alu 0xfffd
	v_add_co_ci_u32_e64 v3, null, v21, v19, vcc_lo
	s_wait_dscnt 0x0
	v_sub_f32_e32 v7, v7, v88
	global_load_u16 v2, v[2:3], off
	v_mul_f32_e32 v7, v7, v6
	s_wait_loadcnt 0x0
	v_lshlrev_b32_e32 v8, 16, v2
	v_add_co_u32 v2, vcc_lo, v34, v18
	s_wait_alu 0xfffd
	v_add_co_ci_u32_e64 v3, null, v35, v19, vcc_lo
	global_load_u16 v2, v[2:3], off
	s_wait_loadcnt 0x0
	v_lshlrev_b32_e32 v9, 16, v2
	v_add_co_u32 v2, vcc_lo, v22, v18
	s_wait_alu 0xfffd
	v_add_co_ci_u32_e64 v3, null, v23, v19, vcc_lo
	global_load_u16 v2, v[2:3], off
	;; [unrolled: 6-line block ×13, first 2 shown]
	ds_bpermute_b32 v3, v1, v5
	s_wait_dscnt 0x0
	v_fmac_f32_e32 v84, v7, v3
	ds_bpermute_b32 v7, v1, v4 offset:4
	v_add_f32_e32 v3, v85, v6
	ds_bpermute_b32 v6, v1, v5 offset:4
	s_wait_dscnt 0x1
	v_sub_f32_e32 v7, v9, v7
	v_add_f32_e32 v3, v3, v8
	s_delay_alu instid0(VALU_DEP_2) | instskip(NEXT) | instid1(VALU_DEP_2)
	v_mul_f32_e32 v7, v7, v8
	v_add_f32_e32 v3, v3, v10
	s_wait_dscnt 0x0
	s_delay_alu instid0(VALU_DEP_2)
	v_fmac_f32_e32 v84, v7, v6
	ds_bpermute_b32 v7, v1, v4 offset:8
	ds_bpermute_b32 v6, v1, v5 offset:8
	v_add_f32_e32 v3, v3, v12
	s_wait_dscnt 0x1
	v_sub_f32_e32 v7, v11, v7
	s_delay_alu instid0(VALU_DEP_2) | instskip(NEXT) | instid1(VALU_DEP_2)
	v_add_f32_e32 v3, v3, v14
	v_mul_f32_e32 v7, v7, v10
	s_wait_dscnt 0x0
	s_delay_alu instid0(VALU_DEP_1)
	v_fmac_f32_e32 v84, v7, v6
	ds_bpermute_b32 v7, v1, v4 offset:12
	ds_bpermute_b32 v6, v1, v5 offset:12
	s_wait_dscnt 0x1
	v_sub_f32_e32 v7, v13, v7
	v_add_f32_e32 v3, v3, v16
	s_delay_alu instid0(VALU_DEP_2) | instskip(NEXT) | instid1(VALU_DEP_2)
	v_mul_f32_e32 v7, v7, v12
	v_add_f32_e32 v3, v3, v55
	s_wait_dscnt 0x0
	s_delay_alu instid0(VALU_DEP_2) | instskip(SKIP_4) | instid1(VALU_DEP_1)
	v_fmac_f32_e32 v84, v7, v6
	ds_bpermute_b32 v7, v1, v4 offset:16
	ds_bpermute_b32 v6, v1, v5 offset:16
	s_wait_dscnt 0x1
	v_sub_f32_e32 v7, v15, v7
	v_mul_f32_e32 v7, v7, v14
	s_wait_dscnt 0x0
	s_delay_alu instid0(VALU_DEP_1) | instskip(SKIP_4) | instid1(VALU_DEP_1)
	v_fmac_f32_e32 v84, v7, v6
	ds_bpermute_b32 v7, v1, v4 offset:20
	ds_bpermute_b32 v6, v1, v5 offset:20
	s_wait_dscnt 0x1
	v_sub_f32_e32 v7, v17, v7
	v_mul_f32_e32 v7, v7, v16
	s_wait_dscnt 0x0
	s_delay_alu instid0(VALU_DEP_1)
	v_fmac_f32_e32 v84, v7, v6
	ds_bpermute_b32 v7, v1, v4 offset:24
	ds_bpermute_b32 v4, v1, v4 offset:28
	;; [unrolled: 1-line block ×4, first 2 shown]
	s_wait_dscnt 0x3
	v_sub_f32_e32 v7, v86, v7
	s_delay_alu instid0(VALU_DEP_1) | instskip(SKIP_2) | instid1(VALU_DEP_2)
	v_mul_f32_e32 v7, v7, v55
	v_add_f32_e32 v55, v3, v87
	s_wait_dscnt 0x1
	v_fmac_f32_e32 v84, v7, v6
	s_wait_loadcnt 0x0
	v_lshlrev_b32_e32 v2, 16, v2
	s_delay_alu instid0(VALU_DEP_1) | instskip(NEXT) | instid1(VALU_DEP_1)
	v_sub_f32_e32 v2, v2, v4
	v_mul_f32_e32 v2, v2, v87
	s_wait_dscnt 0x0
	s_delay_alu instid0(VALU_DEP_1) | instskip(NEXT) | instid1(VALU_DEP_1)
	v_fmac_f32_e32 v84, v2, v5
	v_mov_b32_e32 v10, v84
.LBB113_81:                             ;   in Loop: Header=BB113_53 Depth=1
	v_add_co_u32 v51, vcc_lo, v51, s10
	s_wait_alu 0xfffd
	v_add_co_ci_u32_e64 v52, null, s11, v52, vcc_lo
	v_add_co_u32 v53, vcc_lo, v53, s10
	s_wait_alu 0xfffd
	v_add_co_ci_u32_e64 v54, null, s11, v54, vcc_lo
	;; [unrolled: 3-line block ×27, first 2 shown]
	v_add_co_u32 v78, vcc_lo, v78, s10
	s_add_nc_u64 s[16:17], s[16:17], s[18:19]
	s_wait_alu 0xfffd
	v_add_co_ci_u32_e64 v79, null, s11, v79, vcc_lo
	v_add_co_u32 v80, vcc_lo, v80, s10
	s_wait_alu 0xfffe
	v_cmp_ge_i64_e64 s2, s[16:17], s[4:5]
	s_wait_alu 0xfffd
	v_add_co_ci_u32_e64 v81, null, s11, v81, vcc_lo
	v_add_co_u32 v82, vcc_lo, v82, s10
	s_wait_alu 0xfffd
	v_add_co_ci_u32_e64 v83, null, s11, v83, vcc_lo
	s_and_b32 vcc_lo, exec_lo, s2
	s_add_nc_u64 s[20:21], s[20:21], s[18:19]
	s_wait_alu 0xfffe
	s_cbranch_vccnz .LBB113_83
; %bb.82:                               ;   in Loop: Header=BB113_53 Depth=1
	v_dual_mov_b32 v85, v55 :: v_dual_mov_b32 v84, v10
	s_branch .LBB113_53
.LBB113_83:
	v_and_b32_e32 v8, 0x3ff, v0
	v_bfe_u32 v1, v0, 10, 10
	v_bfe_u32 v0, v0, 5, 5
	s_mov_b32 s2, exec_lo
	s_delay_alu instid0(VALU_DEP_2) | instskip(NEXT) | instid1(VALU_DEP_2)
	v_mad_u32_u24 v3, v1, 33, v8
	v_add_nc_u32_e32 v2, v0, v1
	s_delay_alu instid0(VALU_DEP_2)
	v_lshl_add_u32 v0, v3, 2, 0
	ds_store_b32 v0, v10
	ds_store_b32 v0, v55 offset:2112
	s_wait_dscnt 0x0
	s_barrier_signal -1
	s_barrier_wait -1
	global_inv scope:SCOPE_SE
	v_cmpx_gt_u32_e32 32, v2
	s_cbranch_execz .LBB113_99
; %bb.84:
	s_load_b128 s[8:11], s[0:1], 0x30
	v_and_b32_e32 v0, 31, v8
                                        ; implicit-def: $vgpr1
	s_delay_alu instid0(VALU_DEP_1)
	v_cmp_gt_u32_e64 s0, 16, v0
	v_mul_u32_u24_e32 v3, 33, v0
                                        ; implicit-def: $vgpr0
	s_and_saveexec_b32 s1, s0
	s_cbranch_execz .LBB113_86
; %bb.85:
	s_delay_alu instid0(VALU_DEP_1) | instskip(NEXT) | instid1(VALU_DEP_1)
	v_add_nc_u32_e32 v0, v2, v3
	v_lshl_add_u32 v0, v0, 2, 0
	ds_load_b32 v1, v0
	ds_load_b32 v0, v0 offset:2112
.LBB113_86:
	s_or_b32 exec_lo, exec_lo, s1
	v_mbcnt_lo_u32_b32 v7, -1, 0
	s_mov_b32 s2, ttmp9
	s_mov_b32 s3, 0
	v_cmp_eq_u32_e64 s1, 0, v8
	s_wait_alu 0xfffe
	s_lshl_b64 s[2:3], s[2:3], 5
	v_xor_b32_e32 v4, 8, v7
	v_xor_b32_e32 v5, 4, v7
	;; [unrolled: 1-line block ×3, first 2 shown]
	s_wait_kmcnt 0x0
	s_cmp_lg_u64 s[8:9], 0
	s_cselect_b32 s5, -1, 0
	v_cmp_gt_i32_e32 vcc_lo, 32, v4
	s_cmp_lg_u64 s[10:11], 0
	s_cselect_b32 s4, -1, 0
	s_wait_alu 0xfffd
	v_cndmask_b32_e32 v4, v7, v4, vcc_lo
	v_cmp_gt_i32_e32 vcc_lo, 32, v5
	s_wait_alu 0xfffd
	v_cndmask_b32_e32 v5, v7, v5, vcc_lo
	s_delay_alu instid0(VALU_DEP_1)
	v_lshlrev_b32_e32 v5, 2, v5
	v_lshlrev_b32_e32 v4, 2, v4
	s_wait_dscnt 0x1
	ds_bpermute_b32 v6, v4, v1
	s_wait_dscnt 0x0
	v_add_f32_e32 v1, v1, v6
	ds_bpermute_b32 v9, v4, v0
	v_xor_b32_e32 v6, 2, v7
	s_delay_alu instid0(VALU_DEP_1)
	v_cmp_gt_i32_e32 vcc_lo, 32, v6
	s_wait_alu 0xfffd
	v_cndmask_b32_e32 v6, v7, v6, vcc_lo
	v_cmp_gt_i32_e32 vcc_lo, 32, v11
	s_wait_dscnt 0x0
	s_wait_alu 0xfffd
	v_dual_cndmask_b32 v7, v7, v11 :: v_dual_add_f32 v0, v0, v9
	ds_bpermute_b32 v9, v5, v1
	v_lshlrev_b32_e32 v7, 2, v7
	ds_bpermute_b32 v10, v5, v0
	s_wait_dscnt 0x1
	v_dual_add_f32 v1, v1, v9 :: v_dual_lshlrev_b32 v6, 2, v6
	s_wait_dscnt 0x0
	v_add_f32_e32 v0, v0, v10
	ds_bpermute_b32 v9, v6, v1
	ds_bpermute_b32 v10, v6, v0
	s_wait_dscnt 0x0
	v_dual_add_f32 v9, v1, v9 :: v_dual_add_f32 v10, v0, v10
	s_wait_alu 0xfffe
	v_or_b32_e32 v0, s2, v2
	ds_bpermute_b32 v11, v7, v9
	v_mov_b32_e32 v1, s3
	ds_bpermute_b32 v12, v7, v10
	s_wait_dscnt 0x1
	v_add_f32_e32 v8, v9, v11
	v_cmp_gt_i64_e32 vcc_lo, s[6:7], v[0:1]
	s_wait_dscnt 0x0
	v_add_f32_e32 v9, v10, v12
	s_and_b32 s13, s1, vcc_lo
	s_wait_alu 0xfffe
	s_and_saveexec_b32 s12, s13
	s_cbranch_execz .LBB113_91
; %bb.87:
	v_lshlrev_b64_e32 v[0:1], 1, v[0:1]
	s_and_not1_b32 vcc_lo, exec_lo, s5
	s_wait_alu 0xfffe
	s_cbranch_vccnz .LBB113_89
; %bb.88:
	v_bfe_u32 v10, v8, 16, 1
	v_cmp_o_f32_e32 vcc_lo, v8, v8
	s_delay_alu instid0(VALU_DEP_2) | instskip(NEXT) | instid1(VALU_DEP_1)
	v_add3_u32 v10, v8, v10, 0x7fff
	v_lshrrev_b32_e32 v10, 16, v10
	s_wait_alu 0xfffd
	s_delay_alu instid0(VALU_DEP_1)
	v_cndmask_b32_e32 v12, 0x7fc0, v10, vcc_lo
	v_add_co_u32 v10, vcc_lo, s8, v0
	s_wait_alu 0xfffd
	v_add_co_ci_u32_e64 v11, null, s9, v1, vcc_lo
	global_store_b16 v[10:11], v12, off
.LBB113_89:
	s_and_not1_b32 vcc_lo, exec_lo, s4
	s_wait_alu 0xfffe
	s_cbranch_vccnz .LBB113_91
; %bb.90:
	v_bfe_u32 v10, v9, 16, 1
	v_cmp_o_f32_e32 vcc_lo, v9, v9
	s_delay_alu instid0(VALU_DEP_2) | instskip(NEXT) | instid1(VALU_DEP_1)
	v_add3_u32 v10, v9, v10, 0x7fff
	v_lshrrev_b32_e32 v10, 16, v10
	s_wait_alu 0xfffd
	s_delay_alu instid0(VALU_DEP_1)
	v_cndmask_b32_e32 v10, 0x7fc0, v10, vcc_lo
	v_add_co_u32 v0, vcc_lo, s10, v0
	s_wait_alu 0xfffd
	v_add_co_ci_u32_e64 v1, null, s11, v1, vcc_lo
	global_store_b16 v[0:1], v10, off
.LBB113_91:
	s_wait_alu 0xfffe
	s_or_b32 exec_lo, exec_lo, s12
	v_cmp_gt_u32_e32 vcc_lo, 16, v2
	s_and_b32 exec_lo, exec_lo, vcc_lo
	s_cbranch_execz .LBB113_99
; %bb.92:
	s_and_saveexec_b32 s12, s0
	s_cbranch_execz .LBB113_94
; %bb.93:
	v_add_nc_u32_e32 v0, v2, v3
	s_delay_alu instid0(VALU_DEP_1)
	v_lshl_add_u32 v0, v0, 2, 0
	ds_load_b32 v8, v0 offset:64
	ds_load_b32 v9, v0 offset:2176
.LBB113_94:
	s_wait_alu 0xfffe
	s_or_b32 exec_lo, exec_lo, s12
	s_wait_dscnt 0x1
	ds_bpermute_b32 v0, v4, v8
	s_wait_dscnt 0x1
	ds_bpermute_b32 v1, v4, v9
	s_wait_dscnt 0x0
	v_dual_add_f32 v0, v8, v0 :: v_dual_add_f32 v1, v9, v1
	ds_bpermute_b32 v3, v5, v0
	ds_bpermute_b32 v4, v5, v1
	s_wait_dscnt 0x1
	v_dual_add_f32 v0, v0, v3 :: v_dual_add_nc_u32 v5, 16, v2
	s_wait_dscnt 0x0
	v_add_f32_e32 v1, v1, v4
	ds_bpermute_b32 v3, v6, v0
	ds_bpermute_b32 v4, v6, v1
	v_mov_b32_e32 v6, s3
	v_or_b32_e32 v5, s2, v5
	s_delay_alu instid0(VALU_DEP_1)
	v_cmp_gt_i64_e32 vcc_lo, s[6:7], v[5:6]
	s_and_b32 s0, s1, vcc_lo
	s_wait_dscnt 0x0
	v_dual_add_f32 v3, v0, v3 :: v_dual_add_f32 v0, v1, v4
	ds_bpermute_b32 v4, v7, v3
	ds_bpermute_b32 v1, v7, v0
	s_and_b32 exec_lo, exec_lo, s0
	s_cbranch_execz .LBB113_99
; %bb.95:
	s_and_not1_b32 vcc_lo, exec_lo, s5
	s_wait_alu 0xfffe
	s_cbranch_vccnz .LBB113_97
; %bb.96:
	s_wait_dscnt 0x1
	v_add_f32_e32 v5, v3, v4
	s_delay_alu instid0(VALU_DEP_1) | instskip(SKIP_1) | instid1(VALU_DEP_2)
	v_bfe_u32 v3, v5, 16, 1
	v_cmp_o_f32_e32 vcc_lo, v5, v5
	v_add3_u32 v6, v5, v3, 0x7fff
	v_add_co_u32 v3, s0, s2, v2
	s_delay_alu instid0(VALU_DEP_1) | instskip(NEXT) | instid1(VALU_DEP_3)
	v_add_co_ci_u32_e64 v4, null, s3, 0, s0
	v_lshrrev_b32_e32 v6, 16, v6
	s_delay_alu instid0(VALU_DEP_2) | instskip(SKIP_1) | instid1(VALU_DEP_2)
	v_lshlrev_b64_e32 v[3:4], 1, v[3:4]
	s_wait_alu 0xfffd
	v_cndmask_b32_e32 v5, 0x7fc0, v6, vcc_lo
	s_delay_alu instid0(VALU_DEP_2) | instskip(SKIP_1) | instid1(VALU_DEP_3)
	v_add_co_u32 v3, vcc_lo, s8, v3
	s_wait_alu 0xfffd
	v_add_co_ci_u32_e64 v4, null, s9, v4, vcc_lo
	global_store_b16 v[3:4], v5, off offset:32
.LBB113_97:
	s_and_not1_b32 vcc_lo, exec_lo, s4
	s_wait_alu 0xfffe
	s_cbranch_vccnz .LBB113_99
; %bb.98:
	s_wait_dscnt 0x0
	v_add_f32_e32 v3, v0, v1
	s_delay_alu instid0(VALU_DEP_1) | instskip(SKIP_1) | instid1(VALU_DEP_2)
	v_bfe_u32 v0, v3, 16, 1
	v_cmp_o_f32_e32 vcc_lo, v3, v3
	v_add3_u32 v4, v3, v0, 0x7fff
	v_add_co_u32 v0, s0, s2, v2
	s_wait_alu 0xf1ff
	v_add_co_ci_u32_e64 v1, null, s3, 0, s0
	s_delay_alu instid0(VALU_DEP_3) | instskip(NEXT) | instid1(VALU_DEP_2)
	v_lshrrev_b32_e32 v2, 16, v4
	v_lshlrev_b64_e32 v[0:1], 1, v[0:1]
	s_wait_alu 0xfffd
	s_delay_alu instid0(VALU_DEP_2) | instskip(NEXT) | instid1(VALU_DEP_2)
	v_cndmask_b32_e32 v2, 0x7fc0, v2, vcc_lo
	v_add_co_u32 v0, vcc_lo, s10, v0
	s_wait_alu 0xfffd
	s_delay_alu instid0(VALU_DEP_3)
	v_add_co_ci_u32_e64 v1, null, s11, v1, vcc_lo
	global_store_b16 v[0:1], v2, off offset:32
.LBB113_99:
	s_endpgm
	.section	.rodata,"a",@progbits
	.p2align	6, 0x0
	.amdhsa_kernel _ZN2at6native12_GLOBAL__N_135GammaBetaBackwardCUDAKernelTemplateIN3c108BFloat16EfLj32ELj16ELj128ELb0ELb0ELb0EEEvllPKT_S7_PKT0_SA_PS5_SB_
		.amdhsa_group_segment_fixed_size 0
		.amdhsa_private_segment_fixed_size 0
		.amdhsa_kernarg_size 320
		.amdhsa_user_sgpr_count 2
		.amdhsa_user_sgpr_dispatch_ptr 0
		.amdhsa_user_sgpr_queue_ptr 0
		.amdhsa_user_sgpr_kernarg_segment_ptr 1
		.amdhsa_user_sgpr_dispatch_id 0
		.amdhsa_user_sgpr_private_segment_size 0
		.amdhsa_wavefront_size32 1
		.amdhsa_uses_dynamic_stack 0
		.amdhsa_enable_private_segment 0
		.amdhsa_system_sgpr_workgroup_id_x 1
		.amdhsa_system_sgpr_workgroup_id_y 1
		.amdhsa_system_sgpr_workgroup_id_z 0
		.amdhsa_system_sgpr_workgroup_info 0
		.amdhsa_system_vgpr_workitem_id 1
		.amdhsa_next_free_vgpr 93
		.amdhsa_next_free_sgpr 36
		.amdhsa_reserve_vcc 1
		.amdhsa_float_round_mode_32 0
		.amdhsa_float_round_mode_16_64 0
		.amdhsa_float_denorm_mode_32 3
		.amdhsa_float_denorm_mode_16_64 3
		.amdhsa_fp16_overflow 0
		.amdhsa_workgroup_processor_mode 1
		.amdhsa_memory_ordered 1
		.amdhsa_forward_progress 1
		.amdhsa_inst_pref_size 86
		.amdhsa_round_robin_scheduling 0
		.amdhsa_exception_fp_ieee_invalid_op 0
		.amdhsa_exception_fp_denorm_src 0
		.amdhsa_exception_fp_ieee_div_zero 0
		.amdhsa_exception_fp_ieee_overflow 0
		.amdhsa_exception_fp_ieee_underflow 0
		.amdhsa_exception_fp_ieee_inexact 0
		.amdhsa_exception_int_div_zero 0
	.end_amdhsa_kernel
	.section	.text._ZN2at6native12_GLOBAL__N_135GammaBetaBackwardCUDAKernelTemplateIN3c108BFloat16EfLj32ELj16ELj128ELb0ELb0ELb0EEEvllPKT_S7_PKT0_SA_PS5_SB_,"axG",@progbits,_ZN2at6native12_GLOBAL__N_135GammaBetaBackwardCUDAKernelTemplateIN3c108BFloat16EfLj32ELj16ELj128ELb0ELb0ELb0EEEvllPKT_S7_PKT0_SA_PS5_SB_,comdat
.Lfunc_end113:
	.size	_ZN2at6native12_GLOBAL__N_135GammaBetaBackwardCUDAKernelTemplateIN3c108BFloat16EfLj32ELj16ELj128ELb0ELb0ELb0EEEvllPKT_S7_PKT0_SA_PS5_SB_, .Lfunc_end113-_ZN2at6native12_GLOBAL__N_135GammaBetaBackwardCUDAKernelTemplateIN3c108BFloat16EfLj32ELj16ELj128ELb0ELb0ELb0EEEvllPKT_S7_PKT0_SA_PS5_SB_
                                        ; -- End function
	.set _ZN2at6native12_GLOBAL__N_135GammaBetaBackwardCUDAKernelTemplateIN3c108BFloat16EfLj32ELj16ELj128ELb0ELb0ELb0EEEvllPKT_S7_PKT0_SA_PS5_SB_.num_vgpr, 93
	.set _ZN2at6native12_GLOBAL__N_135GammaBetaBackwardCUDAKernelTemplateIN3c108BFloat16EfLj32ELj16ELj128ELb0ELb0ELb0EEEvllPKT_S7_PKT0_SA_PS5_SB_.num_agpr, 0
	.set _ZN2at6native12_GLOBAL__N_135GammaBetaBackwardCUDAKernelTemplateIN3c108BFloat16EfLj32ELj16ELj128ELb0ELb0ELb0EEEvllPKT_S7_PKT0_SA_PS5_SB_.numbered_sgpr, 36
	.set _ZN2at6native12_GLOBAL__N_135GammaBetaBackwardCUDAKernelTemplateIN3c108BFloat16EfLj32ELj16ELj128ELb0ELb0ELb0EEEvllPKT_S7_PKT0_SA_PS5_SB_.num_named_barrier, 0
	.set _ZN2at6native12_GLOBAL__N_135GammaBetaBackwardCUDAKernelTemplateIN3c108BFloat16EfLj32ELj16ELj128ELb0ELb0ELb0EEEvllPKT_S7_PKT0_SA_PS5_SB_.private_seg_size, 0
	.set _ZN2at6native12_GLOBAL__N_135GammaBetaBackwardCUDAKernelTemplateIN3c108BFloat16EfLj32ELj16ELj128ELb0ELb0ELb0EEEvllPKT_S7_PKT0_SA_PS5_SB_.uses_vcc, 1
	.set _ZN2at6native12_GLOBAL__N_135GammaBetaBackwardCUDAKernelTemplateIN3c108BFloat16EfLj32ELj16ELj128ELb0ELb0ELb0EEEvllPKT_S7_PKT0_SA_PS5_SB_.uses_flat_scratch, 0
	.set _ZN2at6native12_GLOBAL__N_135GammaBetaBackwardCUDAKernelTemplateIN3c108BFloat16EfLj32ELj16ELj128ELb0ELb0ELb0EEEvllPKT_S7_PKT0_SA_PS5_SB_.has_dyn_sized_stack, 0
	.set _ZN2at6native12_GLOBAL__N_135GammaBetaBackwardCUDAKernelTemplateIN3c108BFloat16EfLj32ELj16ELj128ELb0ELb0ELb0EEEvllPKT_S7_PKT0_SA_PS5_SB_.has_recursion, 0
	.set _ZN2at6native12_GLOBAL__N_135GammaBetaBackwardCUDAKernelTemplateIN3c108BFloat16EfLj32ELj16ELj128ELb0ELb0ELb0EEEvllPKT_S7_PKT0_SA_PS5_SB_.has_indirect_call, 0
	.section	.AMDGPU.csdata,"",@progbits
; Kernel info:
; codeLenInByte = 11008
; TotalNumSgprs: 38
; NumVgprs: 93
; ScratchSize: 0
; MemoryBound: 0
; FloatMode: 240
; IeeeMode: 1
; LDSByteSize: 0 bytes/workgroup (compile time only)
; SGPRBlocks: 0
; VGPRBlocks: 11
; NumSGPRsForWavesPerEU: 38
; NumVGPRsForWavesPerEU: 93
; Occupancy: 16
; WaveLimiterHint : 0
; COMPUTE_PGM_RSRC2:SCRATCH_EN: 0
; COMPUTE_PGM_RSRC2:USER_SGPR: 2
; COMPUTE_PGM_RSRC2:TRAP_HANDLER: 0
; COMPUTE_PGM_RSRC2:TGID_X_EN: 1
; COMPUTE_PGM_RSRC2:TGID_Y_EN: 1
; COMPUTE_PGM_RSRC2:TGID_Z_EN: 0
; COMPUTE_PGM_RSRC2:TIDIG_COMP_CNT: 1
	.section	.text._ZN2at6native12_GLOBAL__N_135GammaBetaBackwardCUDAKernelTemplateIN3c108BFloat16EfLj32ELj32ELj256ELb0ELb1ELb0EEEvllPKT_S7_PKT0_SA_PS5_SB_,"axG",@progbits,_ZN2at6native12_GLOBAL__N_135GammaBetaBackwardCUDAKernelTemplateIN3c108BFloat16EfLj32ELj32ELj256ELb0ELb1ELb0EEEvllPKT_S7_PKT0_SA_PS5_SB_,comdat
	.globl	_ZN2at6native12_GLOBAL__N_135GammaBetaBackwardCUDAKernelTemplateIN3c108BFloat16EfLj32ELj32ELj256ELb0ELb1ELb0EEEvllPKT_S7_PKT0_SA_PS5_SB_ ; -- Begin function _ZN2at6native12_GLOBAL__N_135GammaBetaBackwardCUDAKernelTemplateIN3c108BFloat16EfLj32ELj32ELj256ELb0ELb1ELb0EEEvllPKT_S7_PKT0_SA_PS5_SB_
	.p2align	8
	.type	_ZN2at6native12_GLOBAL__N_135GammaBetaBackwardCUDAKernelTemplateIN3c108BFloat16EfLj32ELj32ELj256ELb0ELb1ELb0EEEvllPKT_S7_PKT0_SA_PS5_SB_,@function
_ZN2at6native12_GLOBAL__N_135GammaBetaBackwardCUDAKernelTemplateIN3c108BFloat16EfLj32ELj32ELj256ELb0ELb1ELb0EEEvllPKT_S7_PKT0_SA_PS5_SB_: ; @_ZN2at6native12_GLOBAL__N_135GammaBetaBackwardCUDAKernelTemplateIN3c108BFloat16EfLj32ELj32ELj256ELb0ELb1ELb0EEEvllPKT_S7_PKT0_SA_PS5_SB_
; %bb.0:
	s_load_b128 s[16:19], s[0:1], 0x0
	s_lshl_b32 s2, ttmp7, 8
	s_mov_b32 s3, 0
	v_bfe_u32 v7, v0, 10, 10
	s_wait_kmcnt 0x0
	v_cmp_gt_i64_e64 s4, s[16:17], s[2:3]
	s_and_b32 vcc_lo, exec_lo, s4
	s_cbranch_vccnz .LBB114_2
; %bb.1:
	v_bfe_u32 v1, v0, 10, 10
	s_mov_b32 s4, s3
	s_branch .LBB114_3
.LBB114_2:
	s_mov_b32 s4, -1
                                        ; implicit-def: $vgpr1
.LBB114_3:
	s_load_b128 s[12:15], s[0:1], 0x30
	v_dual_mov_b32 v17, 0 :: v_dual_and_b32 v6, 0x3ff, v0
	v_mov_b32_e32 v0, 0
	s_and_not1_b32 vcc_lo, exec_lo, s4
	s_cbranch_vccnz .LBB114_11
; %bb.4:
	s_load_b32 s20, s[0:1], 0x4c
	v_dual_mov_b32 v1, 0 :: v_dual_lshlrev_b32 v0, 3, v7
	s_clause 0x1
	s_load_b32 s22, s[0:1], 0x44
	s_load_b256 s[4:11], s[0:1], 0x10
	s_mov_b32 s21, 0
	v_dual_mov_b32 v8, 4 :: v_dual_mov_b32 v9, 8
	v_add_co_u32 v2, s0, v0, s2
	s_delay_alu instid0(VALU_DEP_1) | instskip(SKIP_1) | instid1(VALU_DEP_3)
	v_add_co_ci_u32_e64 v3, null, 0, 0, s0
	v_lshl_add_u32 v0, ttmp9, 5, v6
	v_mul_lo_u32 v14, s19, v2
	v_mad_co_u64_u32 v[4:5], null, s18, v2, 0
	s_delay_alu instid0(VALU_DEP_4) | instskip(NEXT) | instid1(VALU_DEP_4)
	v_mul_lo_u32 v17, s18, v3
	v_lshlrev_b64_e32 v[15:16], 1, v[0:1]
	v_dual_mov_b32 v10, 12 :: v_dual_mov_b32 v11, 16
	v_mov_b32_e32 v0, 0
	s_wait_kmcnt 0x0
	s_and_b32 s0, s20, 0xffff
	s_wait_alu 0xfffe
	v_mad_u32_u24 v13, v7, s0, v6
	v_mov_b32_e32 v12, 20
	v_add3_u32 v5, v5, v17, v14
	s_lshl_b32 s20, s22, 8
	s_delay_alu instid0(VALU_DEP_3) | instskip(SKIP_1) | instid1(VALU_DEP_3)
	v_dual_mov_b32 v14, 28 :: v_dual_and_b32 v19, 31, v13
	v_mov_b32_e32 v13, 24
	v_lshlrev_b64_e32 v[17:18], 1, v[4:5]
	s_mul_u64 s[24:25], s[18:19], s[20:21]
	s_lshl_b64 s[22:23], s[20:21], 2
	v_add_co_u32 v2, vcc_lo, v2, v19
	s_delay_alu instid0(VALU_DEP_1) | instskip(NEXT) | instid1(VALU_DEP_3)
	v_add_co_ci_u32_e64 v3, null, 0, v3, vcc_lo
	v_add_co_u32 v15, vcc_lo, v17, v15
	v_cmp_gt_u32_e64 s0, 8, v19
	s_delay_alu instid0(VALU_DEP_3)
	v_lshlrev_b64_e32 v[4:5], 2, v[2:3]
	s_wait_alu 0xfffd
	v_add_co_ci_u32_e64 v16, null, v18, v16, vcc_lo
	v_mov_b32_e32 v17, 0
	s_lshl_b64 s[24:25], s[24:25], 1
	s_lshl_b64 s[18:19], s[18:19], 1
	s_branch .LBB114_7
.LBB114_5:                              ;   in Loop: Header=BB114_7 Depth=1
	s_or_b32 exec_lo, exec_lo, s26
.LBB114_6:                              ;   in Loop: Header=BB114_7 Depth=1
	s_wait_alu 0xfffe
	s_or_b32 exec_lo, exec_lo, s1
	v_add_co_u32 v20, vcc_lo, s4, v15
	s_wait_alu 0xfffd
	v_add_co_ci_u32_e64 v21, null, s5, v16, vcc_lo
	v_add_co_u32 v22, vcc_lo, s6, v15
	s_wait_alu 0xfffd
	v_add_co_ci_u32_e64 v23, null, s7, v16, vcc_lo
	;; [unrolled: 3-line block ×5, first 2 shown]
	global_load_u16 v30, v[20:21], off
	global_load_u16 v31, v[22:23], off
	;; [unrolled: 1-line block ×5, first 2 shown]
	v_add_co_u32 v20, vcc_lo, v26, s18
	s_wait_alu 0xfffd
	v_add_co_ci_u32_e64 v21, null, s19, v27, vcc_lo
	v_add_co_u32 v22, vcc_lo, v28, s18
	s_wait_alu 0xfffd
	v_add_co_ci_u32_e64 v23, null, s19, v29, vcc_lo
	;; [unrolled: 3-line block ×5, first 2 shown]
	global_load_u16 v35, v[20:21], off
	global_load_u16 v36, v[22:23], off
	;; [unrolled: 1-line block ×5, first 2 shown]
	v_add_co_u32 v20, vcc_lo, v26, s18
	s_wait_alu 0xfffd
	v_add_co_ci_u32_e64 v21, null, s19, v27, vcc_lo
	v_add_co_u32 v22, vcc_lo, v28, s18
	s_wait_alu 0xfffd
	v_add_co_ci_u32_e64 v23, null, s19, v29, vcc_lo
	;; [unrolled: 3-line block ×4, first 2 shown]
	global_load_u16 v28, v[20:21], off
	global_load_u16 v29, v[22:23], off
	;; [unrolled: 1-line block ×4, first 2 shown]
	v_add_co_u32 v20, vcc_lo, v26, s18
	s_wait_alu 0xfffd
	v_add_co_ci_u32_e64 v21, null, s19, v27, vcc_lo
	v_add_co_u32 v22, vcc_lo, v24, s18
	s_wait_alu 0xfffd
	v_add_co_ci_u32_e64 v23, null, s19, v25, vcc_lo
	global_load_u16 v20, v[20:21], off
	global_load_u16 v21, v[22:23], off
	s_wait_loadcnt 0x11
	ds_bpermute_b32 v25, v8, v18
	ds_bpermute_b32 v22, v1, v18
	s_wait_loadcnt 0x10
	ds_bpermute_b32 v23, v1, v19
	ds_bpermute_b32 v27, v9, v18
	;; [unrolled: 1-line block ×14, first 2 shown]
	v_add_co_u32 v4, vcc_lo, v4, s22
	s_add_nc_u64 s[2:3], s[2:3], s[20:21]
	s_wait_alu 0xfffd
	v_add_co_ci_u32_e64 v5, null, s23, v5, vcc_lo
	v_add_co_u32 v2, vcc_lo, v2, s20
	s_wait_alu 0xfffe
	v_cmp_lt_i64_e64 s1, s[2:3], s[16:17]
	s_wait_alu 0xfffd
	v_add_co_ci_u32_e64 v3, null, 0, v3, vcc_lo
	v_add_co_u32 v15, vcc_lo, v15, s24
	s_wait_alu 0xfffd
	v_add_co_ci_u32_e64 v16, null, s25, v16, vcc_lo
	s_and_b32 vcc_lo, exec_lo, s1
	s_wait_loadcnt 0xc
	v_lshlrev_b32_e32 v33, 16, v33
	s_wait_dscnt 0xf
	s_delay_alu instid0(VALU_DEP_1) | instskip(SKIP_1) | instid1(VALU_DEP_2)
	v_dual_sub_f32 v25, v33, v25 :: v_dual_lshlrev_b32 v30, 16, v30
	v_lshlrev_b32_e32 v31, 16, v31
	v_add_f32_e32 v17, v17, v30
	s_wait_dscnt 0xe
	s_delay_alu instid0(VALU_DEP_2) | instskip(NEXT) | instid1(VALU_DEP_1)
	v_sub_f32_e32 v22, v31, v22
	v_dual_mul_f32 v22, v22, v30 :: v_dual_lshlrev_b32 v31, 16, v32
	s_wait_loadcnt 0xa
	v_lshlrev_b32_e32 v32, 16, v35
	v_lshlrev_b32_e32 v30, 16, v34
	s_wait_dscnt 0xd
	v_fmac_f32_e32 v0, v22, v23
	s_wait_loadcnt 0x8
	v_dual_mul_f32 v22, v25, v31 :: v_dual_lshlrev_b32 v25, 16, v37
	s_wait_dscnt 0xc
	v_sub_f32_e32 v23, v32, v27
	v_add_f32_e32 v17, v17, v31
	v_lshlrev_b32_e32 v27, 16, v36
	s_wait_dscnt 0xb
	v_fmac_f32_e32 v0, v22, v24
	s_wait_loadcnt 0x6
	v_lshlrev_b32_e32 v24, 16, v39
	s_wait_dscnt 0xa
	v_dual_mul_f32 v22, v23, v30 :: v_dual_sub_f32 v23, v25, v43
	v_add_f32_e32 v17, v17, v30
	v_lshlrev_b32_e32 v25, 16, v38
	s_wait_dscnt 0x9
	s_delay_alu instid0(VALU_DEP_3)
	v_fmac_f32_e32 v0, v22, v26
	s_wait_dscnt 0x8
	v_dual_mul_f32 v22, v23, v27 :: v_dual_sub_f32 v23, v24, v45
	s_wait_loadcnt 0x5
	v_lshlrev_b32_e32 v26, 16, v28
	s_wait_loadcnt 0x4
	v_dual_add_f32 v17, v17, v27 :: v_dual_lshlrev_b32 v24, 16, v29
	s_wait_dscnt 0x7
	v_fmac_f32_e32 v0, v22, v42
	s_wait_dscnt 0x5
	s_delay_alu instid0(VALU_DEP_2) | instskip(SKIP_3) | instid1(VALU_DEP_3)
	v_dual_mul_f32 v22, v23, v25 :: v_dual_sub_f32 v23, v24, v47
	v_add_f32_e32 v17, v17, v25
	s_wait_loadcnt 0x3
	v_lshlrev_b32_e32 v25, 16, v40
	v_fmac_f32_e32 v0, v22, v44
	s_wait_loadcnt 0x2
	v_dual_add_f32 v17, v17, v26 :: v_dual_lshlrev_b32 v24, 16, v41
	v_mul_f32_e32 v22, v23, v26
	s_wait_loadcnt_dscnt 0x104
	s_delay_alu instid0(VALU_DEP_2)
	v_dual_sub_f32 v23, v24, v49 :: v_dual_lshlrev_b32 v20, 16, v20
	s_wait_loadcnt 0x0
	v_lshlrev_b32_e32 v21, 16, v21
	s_wait_dscnt 0x3
	v_dual_add_f32 v17, v17, v25 :: v_dual_fmac_f32 v0, v22, v46
	s_wait_dscnt 0x2
	v_sub_f32_e32 v18, v20, v18
	v_mul_f32_e32 v22, v23, v25
	s_delay_alu instid0(VALU_DEP_3) | instskip(NEXT) | instid1(VALU_DEP_3)
	v_add_f32_e32 v17, v17, v21
	v_mul_f32_e32 v18, v18, v21
	s_wait_dscnt 0x1
	s_delay_alu instid0(VALU_DEP_3) | instskip(SKIP_1) | instid1(VALU_DEP_1)
	v_fmac_f32_e32 v0, v22, v48
	s_wait_dscnt 0x0
	v_fmac_f32_e32 v0, v18, v19
	s_wait_alu 0xfffe
	s_cbranch_vccz .LBB114_10
.LBB114_7:                              ; =>This Inner Loop Header: Depth=1
	v_dual_mov_b32 v19, 0 :: v_dual_mov_b32 v18, 0
	s_and_saveexec_b32 s1, s0
	s_cbranch_execz .LBB114_6
; %bb.8:                                ;   in Loop: Header=BB114_7 Depth=1
	v_dual_mov_b32 v18, 0 :: v_dual_mov_b32 v19, 0
	s_mov_b32 s26, exec_lo
	v_cmpx_gt_i64_e64 s[16:17], v[2:3]
	s_cbranch_execz .LBB114_5
; %bb.9:                                ;   in Loop: Header=BB114_7 Depth=1
	v_add_co_u32 v18, vcc_lo, s8, v4
	s_wait_alu 0xfffd
	v_add_co_ci_u32_e64 v19, null, s9, v5, vcc_lo
	v_add_co_u32 v20, vcc_lo, s10, v4
	s_wait_alu 0xfffd
	v_add_co_ci_u32_e64 v21, null, s11, v5, vcc_lo
	global_load_b32 v18, v[18:19], off
	global_load_b32 v19, v[20:21], off
	s_branch .LBB114_5
.LBB114_10:
	v_mov_b32_e32 v1, v7
.LBB114_11:
	s_delay_alu instid0(VALU_DEP_1) | instskip(SKIP_2) | instid1(VALU_DEP_2)
	v_mad_u32_u24 v2, v1, 33, v6
	v_lshrrev_b32_e32 v3, 5, v6
	s_mov_b32 s0, exec_lo
	v_lshl_add_u32 v2, v2, 2, 0
	s_delay_alu instid0(VALU_DEP_2)
	v_add_nc_u32_e32 v1, v3, v1
	ds_store_b32 v2, v0
	ds_store_b32 v2, v17 offset:4224
	s_wait_dscnt 0x0
	s_barrier_signal -1
	s_barrier_wait -1
	global_inv scope:SCOPE_SE
	v_cmpx_gt_u32_e32 32, v1
	s_cbranch_execz .LBB114_17
; %bb.12:
	v_mbcnt_lo_u32_b32 v2, -1, 0
	s_delay_alu instid0(VALU_DEP_1) | instskip(SKIP_1) | instid1(VALU_DEP_2)
	v_xor_b32_e32 v4, 16, v2
	v_xor_b32_e32 v7, 8, v2
	v_cmp_gt_i32_e32 vcc_lo, 32, v4
	s_wait_alu 0xfffd
	v_cndmask_b32_e32 v4, v2, v4, vcc_lo
	s_delay_alu instid0(VALU_DEP_3) | instskip(SKIP_2) | instid1(VALU_DEP_1)
	v_cmp_gt_i32_e32 vcc_lo, 32, v7
	s_wait_alu 0xfffd
	v_dual_cndmask_b32 v7, v2, v7 :: v_dual_and_b32 v0, 31, v6
	v_mad_u32_u24 v0, v0, 33, v1
	s_delay_alu instid0(VALU_DEP_2) | instskip(NEXT) | instid1(VALU_DEP_2)
	v_lshlrev_b32_e32 v7, 2, v7
	v_lshl_add_u32 v0, v0, 2, 0
	ds_load_b32 v3, v0
	ds_load_b32 v0, v0 offset:4224
	v_lshlrev_b32_e32 v4, 2, v4
	s_wait_dscnt 0x1
	ds_bpermute_b32 v5, v4, v3
	s_wait_dscnt 0x0
	v_add_f32_e32 v3, v3, v5
	ds_bpermute_b32 v4, v4, v0
	s_wait_dscnt 0x0
	v_add_f32_e32 v0, v0, v4
	ds_bpermute_b32 v4, v7, v3
	ds_bpermute_b32 v5, v7, v0
	v_xor_b32_e32 v7, 4, v2
	s_delay_alu instid0(VALU_DEP_1) | instskip(SKIP_3) | instid1(VALU_DEP_1)
	v_cmp_gt_i32_e32 vcc_lo, 32, v7
	s_wait_alu 0xfffd
	v_cndmask_b32_e32 v7, v2, v7, vcc_lo
	s_wait_dscnt 0x0
	v_dual_add_f32 v0, v0, v5 :: v_dual_lshlrev_b32 v7, 2, v7
	ds_bpermute_b32 v5, v7, v0
	s_wait_dscnt 0x0
	v_dual_add_f32 v3, v3, v4 :: v_dual_add_f32 v0, v0, v5
	ds_bpermute_b32 v4, v7, v3
	v_xor_b32_e32 v7, 2, v2
	s_delay_alu instid0(VALU_DEP_1) | instskip(SKIP_4) | instid1(VALU_DEP_1)
	v_cmp_gt_i32_e32 vcc_lo, 32, v7
	s_wait_dscnt 0x0
	v_add_f32_e32 v3, v3, v4
	s_wait_alu 0xfffd
	v_cndmask_b32_e32 v7, v2, v7, vcc_lo
	v_lshlrev_b32_e32 v7, 2, v7
	ds_bpermute_b32 v4, v7, v3
	ds_bpermute_b32 v5, v7, v0
	v_xor_b32_e32 v7, 1, v2
	s_delay_alu instid0(VALU_DEP_1) | instskip(SKIP_4) | instid1(VALU_DEP_2)
	v_cmp_gt_i32_e32 vcc_lo, 32, v7
	s_wait_alu 0xfffd
	v_cndmask_b32_e32 v2, v2, v7, vcc_lo
	v_cmp_eq_u32_e32 vcc_lo, 0, v6
	s_wait_dscnt 0x1
	v_dual_add_f32 v4, v3, v4 :: v_dual_lshlrev_b32 v7, 2, v2
	s_wait_dscnt 0x0
	v_add_f32_e32 v2, v0, v5
	ds_bpermute_b32 v5, v7, v4
	ds_bpermute_b32 v3, v7, v2
	s_and_b32 exec_lo, exec_lo, vcc_lo
	s_cbranch_execz .LBB114_17
; %bb.13:
	s_wait_alu 0xfffe
	s_mov_b32 s0, ttmp9
	s_mov_b32 s1, 0
	s_wait_alu 0xfffe
	s_lshl_b64 s[0:1], s[0:1], 5
	s_wait_kmcnt 0x0
	s_cmp_eq_u64 s[12:13], 0
	s_wait_alu 0xfffe
	v_or_b32_e32 v0, s0, v1
	v_mov_b32_e32 v1, s1
	s_delay_alu instid0(VALU_DEP_1)
	v_lshlrev_b64_e32 v[0:1], 1, v[0:1]
	s_cbranch_scc1 .LBB114_15
; %bb.14:
	s_wait_dscnt 0x1
	v_add_f32_e32 v4, v4, v5
	s_delay_alu instid0(VALU_DEP_1) | instskip(SKIP_1) | instid1(VALU_DEP_2)
	v_bfe_u32 v5, v4, 16, 1
	v_cmp_o_f32_e32 vcc_lo, v4, v4
	v_add3_u32 v5, v4, v5, 0x7fff
	s_delay_alu instid0(VALU_DEP_1) | instskip(SKIP_1) | instid1(VALU_DEP_1)
	v_lshrrev_b32_e32 v5, 16, v5
	s_wait_alu 0xfffd
	v_cndmask_b32_e32 v6, 0x7fc0, v5, vcc_lo
	v_add_co_u32 v4, vcc_lo, s12, v0
	s_wait_alu 0xfffd
	v_add_co_ci_u32_e64 v5, null, s13, v1, vcc_lo
	global_store_b16 v[4:5], v6, off
.LBB114_15:
	s_cmp_eq_u64 s[14:15], 0
	s_cbranch_scc1 .LBB114_17
; %bb.16:
	s_wait_dscnt 0x0
	v_add_f32_e32 v2, v2, v3
	s_delay_alu instid0(VALU_DEP_1) | instskip(SKIP_1) | instid1(VALU_DEP_2)
	v_bfe_u32 v3, v2, 16, 1
	v_cmp_o_f32_e32 vcc_lo, v2, v2
	v_add3_u32 v3, v2, v3, 0x7fff
	s_delay_alu instid0(VALU_DEP_1) | instskip(SKIP_1) | instid1(VALU_DEP_1)
	v_lshrrev_b32_e32 v3, 16, v3
	s_wait_alu 0xfffd
	v_cndmask_b32_e32 v2, 0x7fc0, v3, vcc_lo
	v_add_co_u32 v0, vcc_lo, s14, v0
	s_wait_alu 0xfffd
	v_add_co_ci_u32_e64 v1, null, s15, v1, vcc_lo
	global_store_b16 v[0:1], v2, off
.LBB114_17:
	s_endpgm
	.section	.rodata,"a",@progbits
	.p2align	6, 0x0
	.amdhsa_kernel _ZN2at6native12_GLOBAL__N_135GammaBetaBackwardCUDAKernelTemplateIN3c108BFloat16EfLj32ELj32ELj256ELb0ELb1ELb0EEEvllPKT_S7_PKT0_SA_PS5_SB_
		.amdhsa_group_segment_fixed_size 0
		.amdhsa_private_segment_fixed_size 0
		.amdhsa_kernarg_size 320
		.amdhsa_user_sgpr_count 2
		.amdhsa_user_sgpr_dispatch_ptr 0
		.amdhsa_user_sgpr_queue_ptr 0
		.amdhsa_user_sgpr_kernarg_segment_ptr 1
		.amdhsa_user_sgpr_dispatch_id 0
		.amdhsa_user_sgpr_private_segment_size 0
		.amdhsa_wavefront_size32 1
		.amdhsa_uses_dynamic_stack 0
		.amdhsa_enable_private_segment 0
		.amdhsa_system_sgpr_workgroup_id_x 1
		.amdhsa_system_sgpr_workgroup_id_y 1
		.amdhsa_system_sgpr_workgroup_id_z 0
		.amdhsa_system_sgpr_workgroup_info 0
		.amdhsa_system_vgpr_workitem_id 1
		.amdhsa_next_free_vgpr 50
		.amdhsa_next_free_sgpr 27
		.amdhsa_reserve_vcc 1
		.amdhsa_float_round_mode_32 0
		.amdhsa_float_round_mode_16_64 0
		.amdhsa_float_denorm_mode_32 3
		.amdhsa_float_denorm_mode_16_64 3
		.amdhsa_fp16_overflow 0
		.amdhsa_workgroup_processor_mode 1
		.amdhsa_memory_ordered 1
		.amdhsa_forward_progress 1
		.amdhsa_inst_pref_size 18
		.amdhsa_round_robin_scheduling 0
		.amdhsa_exception_fp_ieee_invalid_op 0
		.amdhsa_exception_fp_denorm_src 0
		.amdhsa_exception_fp_ieee_div_zero 0
		.amdhsa_exception_fp_ieee_overflow 0
		.amdhsa_exception_fp_ieee_underflow 0
		.amdhsa_exception_fp_ieee_inexact 0
		.amdhsa_exception_int_div_zero 0
	.end_amdhsa_kernel
	.section	.text._ZN2at6native12_GLOBAL__N_135GammaBetaBackwardCUDAKernelTemplateIN3c108BFloat16EfLj32ELj32ELj256ELb0ELb1ELb0EEEvllPKT_S7_PKT0_SA_PS5_SB_,"axG",@progbits,_ZN2at6native12_GLOBAL__N_135GammaBetaBackwardCUDAKernelTemplateIN3c108BFloat16EfLj32ELj32ELj256ELb0ELb1ELb0EEEvllPKT_S7_PKT0_SA_PS5_SB_,comdat
.Lfunc_end114:
	.size	_ZN2at6native12_GLOBAL__N_135GammaBetaBackwardCUDAKernelTemplateIN3c108BFloat16EfLj32ELj32ELj256ELb0ELb1ELb0EEEvllPKT_S7_PKT0_SA_PS5_SB_, .Lfunc_end114-_ZN2at6native12_GLOBAL__N_135GammaBetaBackwardCUDAKernelTemplateIN3c108BFloat16EfLj32ELj32ELj256ELb0ELb1ELb0EEEvllPKT_S7_PKT0_SA_PS5_SB_
                                        ; -- End function
	.set _ZN2at6native12_GLOBAL__N_135GammaBetaBackwardCUDAKernelTemplateIN3c108BFloat16EfLj32ELj32ELj256ELb0ELb1ELb0EEEvllPKT_S7_PKT0_SA_PS5_SB_.num_vgpr, 50
	.set _ZN2at6native12_GLOBAL__N_135GammaBetaBackwardCUDAKernelTemplateIN3c108BFloat16EfLj32ELj32ELj256ELb0ELb1ELb0EEEvllPKT_S7_PKT0_SA_PS5_SB_.num_agpr, 0
	.set _ZN2at6native12_GLOBAL__N_135GammaBetaBackwardCUDAKernelTemplateIN3c108BFloat16EfLj32ELj32ELj256ELb0ELb1ELb0EEEvllPKT_S7_PKT0_SA_PS5_SB_.numbered_sgpr, 27
	.set _ZN2at6native12_GLOBAL__N_135GammaBetaBackwardCUDAKernelTemplateIN3c108BFloat16EfLj32ELj32ELj256ELb0ELb1ELb0EEEvllPKT_S7_PKT0_SA_PS5_SB_.num_named_barrier, 0
	.set _ZN2at6native12_GLOBAL__N_135GammaBetaBackwardCUDAKernelTemplateIN3c108BFloat16EfLj32ELj32ELj256ELb0ELb1ELb0EEEvllPKT_S7_PKT0_SA_PS5_SB_.private_seg_size, 0
	.set _ZN2at6native12_GLOBAL__N_135GammaBetaBackwardCUDAKernelTemplateIN3c108BFloat16EfLj32ELj32ELj256ELb0ELb1ELb0EEEvllPKT_S7_PKT0_SA_PS5_SB_.uses_vcc, 1
	.set _ZN2at6native12_GLOBAL__N_135GammaBetaBackwardCUDAKernelTemplateIN3c108BFloat16EfLj32ELj32ELj256ELb0ELb1ELb0EEEvllPKT_S7_PKT0_SA_PS5_SB_.uses_flat_scratch, 0
	.set _ZN2at6native12_GLOBAL__N_135GammaBetaBackwardCUDAKernelTemplateIN3c108BFloat16EfLj32ELj32ELj256ELb0ELb1ELb0EEEvllPKT_S7_PKT0_SA_PS5_SB_.has_dyn_sized_stack, 0
	.set _ZN2at6native12_GLOBAL__N_135GammaBetaBackwardCUDAKernelTemplateIN3c108BFloat16EfLj32ELj32ELj256ELb0ELb1ELb0EEEvllPKT_S7_PKT0_SA_PS5_SB_.has_recursion, 0
	.set _ZN2at6native12_GLOBAL__N_135GammaBetaBackwardCUDAKernelTemplateIN3c108BFloat16EfLj32ELj32ELj256ELb0ELb1ELb0EEEvllPKT_S7_PKT0_SA_PS5_SB_.has_indirect_call, 0
	.section	.AMDGPU.csdata,"",@progbits
; Kernel info:
; codeLenInByte = 2180
; TotalNumSgprs: 29
; NumVgprs: 50
; ScratchSize: 0
; MemoryBound: 0
; FloatMode: 240
; IeeeMode: 1
; LDSByteSize: 0 bytes/workgroup (compile time only)
; SGPRBlocks: 0
; VGPRBlocks: 6
; NumSGPRsForWavesPerEU: 29
; NumVGPRsForWavesPerEU: 50
; Occupancy: 16
; WaveLimiterHint : 0
; COMPUTE_PGM_RSRC2:SCRATCH_EN: 0
; COMPUTE_PGM_RSRC2:USER_SGPR: 2
; COMPUTE_PGM_RSRC2:TRAP_HANDLER: 0
; COMPUTE_PGM_RSRC2:TGID_X_EN: 1
; COMPUTE_PGM_RSRC2:TGID_Y_EN: 1
; COMPUTE_PGM_RSRC2:TGID_Z_EN: 0
; COMPUTE_PGM_RSRC2:TIDIG_COMP_CNT: 1
	.section	.text._ZN2at6native12_GLOBAL__N_135GammaBetaBackwardCUDAKernelTemplateIN3c108BFloat16EfLj32ELj32ELj256ELb0ELb0ELb0EEEvllPKT_S7_PKT0_SA_PS5_SB_,"axG",@progbits,_ZN2at6native12_GLOBAL__N_135GammaBetaBackwardCUDAKernelTemplateIN3c108BFloat16EfLj32ELj32ELj256ELb0ELb0ELb0EEEvllPKT_S7_PKT0_SA_PS5_SB_,comdat
	.globl	_ZN2at6native12_GLOBAL__N_135GammaBetaBackwardCUDAKernelTemplateIN3c108BFloat16EfLj32ELj32ELj256ELb0ELb0ELb0EEEvllPKT_S7_PKT0_SA_PS5_SB_ ; -- Begin function _ZN2at6native12_GLOBAL__N_135GammaBetaBackwardCUDAKernelTemplateIN3c108BFloat16EfLj32ELj32ELj256ELb0ELb0ELb0EEEvllPKT_S7_PKT0_SA_PS5_SB_
	.p2align	8
	.type	_ZN2at6native12_GLOBAL__N_135GammaBetaBackwardCUDAKernelTemplateIN3c108BFloat16EfLj32ELj32ELj256ELb0ELb0ELb0EEEvllPKT_S7_PKT0_SA_PS5_SB_,@function
_ZN2at6native12_GLOBAL__N_135GammaBetaBackwardCUDAKernelTemplateIN3c108BFloat16EfLj32ELj32ELj256ELb0ELb0ELb0EEEvllPKT_S7_PKT0_SA_PS5_SB_: ; @_ZN2at6native12_GLOBAL__N_135GammaBetaBackwardCUDAKernelTemplateIN3c108BFloat16EfLj32ELj32ELj256ELb0ELb0ELb0EEEvllPKT_S7_PKT0_SA_PS5_SB_
; %bb.0:
	s_clause 0x1
	s_load_b256 s[4:11], s[0:1], 0x0
	s_load_b128 s[12:15], s[0:1], 0x20
	s_lshl_b32 s30, ttmp9, 5
	s_mov_b32 s17, 0
	s_or_b32 s16, s30, 31
	s_wait_kmcnt 0x0
	v_cmp_le_i64_e64 s2, s[6:7], s[16:17]
	s_lshl_b32 s16, ttmp7, 8
	s_wait_alu 0xfffe
	v_cmp_gt_i64_e64 s31, s[4:5], s[16:17]
	s_and_b32 vcc_lo, exec_lo, s2
	v_cndmask_b32_e64 v1, 0, 1, s31
	s_delay_alu instid0(VALU_DEP_1)
	v_cmp_ne_u32_e64 s2, 1, v1
	s_cbranch_vccz .LBB115_49
; %bb.1:
	v_dual_mov_b32 v10, 0 :: v_dual_mov_b32 v55, 0
	s_and_b32 vcc_lo, exec_lo, s2
	s_cbranch_vccnz .LBB115_50
; %bb.2:
	v_bfe_u32 v20, v0, 10, 10
	v_dual_mov_b32 v1, 0 :: v_dual_and_b32 v22, 0x3ff, v0
	s_load_b32 s3, s[0:1], 0x44
	s_mov_b32 s19, 0
	s_delay_alu instid0(VALU_DEP_2) | instskip(NEXT) | instid1(VALU_DEP_2)
	v_dual_mov_b32 v56, 0 :: v_dual_lshlrev_b32 v21, 3, v20
	v_dual_mov_b32 v3, v1 :: v_dual_add_nc_u32 v2, s30, v22
	s_mov_b32 s23, s19
	s_delay_alu instid0(VALU_DEP_2) | instskip(NEXT) | instid1(VALU_DEP_1)
	v_add_co_u32 v10, s2, v21, s16
	v_add_co_ci_u32_e64 v11, null, 0, 0, s2
	s_delay_alu instid0(VALU_DEP_3) | instskip(NEXT) | instid1(VALU_DEP_3)
	v_cmp_gt_i64_e64 s2, s[6:7], v[2:3]
	v_mul_lo_u32 v6, s7, v10
	v_mad_co_u64_u32 v[4:5], null, s6, v10, 0
	s_delay_alu instid0(VALU_DEP_4) | instskip(SKIP_1) | instid1(VALU_DEP_1)
	v_mul_lo_u32 v7, s6, v11
	v_add_co_u32 v8, vcc_lo, v10, 7
	v_add_co_ci_u32_e64 v9, null, 0, v11, vcc_lo
	v_lshlrev_b64_e32 v[18:19], 1, v[2:3]
	s_delay_alu instid0(VALU_DEP_3)
	v_mul_lo_u32 v12, s7, v8
	s_wait_kmcnt 0x0
	s_lshl_b32 s22, s3, 8
	v_add3_u32 v5, v5, v7, v6
	v_mad_co_u64_u32 v[6:7], null, s6, v8, 0
	v_add_co_u32 v8, vcc_lo, v10, 6
	v_mul_lo_u32 v13, s6, v9
	s_wait_alu 0xfffd
	v_add_co_ci_u32_e64 v9, null, 0, v11, vcc_lo
	v_lshlrev_b64_e32 v[2:3], 1, v[4:5]
	v_mul_lo_u32 v14, s7, v8
	v_mov_b32_e32 v55, 0
	s_delay_alu instid0(VALU_DEP_4)
	v_mul_lo_u32 v15, s6, v9
	v_mad_co_u64_u32 v[8:9], null, s6, v8, 0
	v_add_co_u32 v23, vcc_lo, s8, v2
	s_wait_alu 0xfffd
	v_add_co_ci_u32_e64 v24, null, s9, v3, vcc_lo
	v_add_co_u32 v25, vcc_lo, s10, v2
	v_add3_u32 v7, v7, v13, v12
	s_wait_alu 0xfffd
	v_add_co_ci_u32_e64 v26, null, s11, v3, vcc_lo
	v_add_co_u32 v12, vcc_lo, v10, 5
	v_add3_u32 v9, v9, v15, v14
	s_wait_alu 0xfffd
	v_add_co_ci_u32_e64 v13, null, 0, v11, vcc_lo
	v_lshlrev_b64_e32 v[2:3], 1, v[6:7]
	v_mul_lo_u32 v14, s7, v12
	v_lshlrev_b64_e32 v[6:7], 1, v[8:9]
	s_delay_alu instid0(VALU_DEP_4)
	v_mul_lo_u32 v13, s6, v13
	v_mad_co_u64_u32 v[8:9], null, s6, v12, 0
	v_add_co_u32 v27, vcc_lo, s8, v2
	s_wait_alu 0xfffd
	v_add_co_ci_u32_e64 v28, null, s9, v3, vcc_lo
	v_add_co_u32 v29, vcc_lo, s10, v2
	s_wait_alu 0xfffd
	v_add_co_ci_u32_e64 v30, null, s11, v3, vcc_lo
	v_add_co_u32 v31, vcc_lo, s8, v6
	v_add3_u32 v9, v9, v13, v14
	s_wait_alu 0xfffd
	v_add_co_ci_u32_e64 v32, null, s9, v7, vcc_lo
	v_add_co_u32 v12, vcc_lo, v10, 4
	v_add_co_u32 v33, s3, s10, v6
	s_wait_alu 0xfffd
	v_add_co_ci_u32_e64 v6, null, 0, v11, vcc_lo
	v_lshlrev_b64_e32 v[2:3], 1, v[8:9]
	v_add_co_u32 v8, vcc_lo, v10, 3
	s_wait_alu 0xfffd
	v_add_co_ci_u32_e64 v9, null, 0, v11, vcc_lo
	s_wait_alu 0xf1ff
	v_add_co_ci_u32_e64 v34, null, s11, v7, s3
	v_mul_lo_u32 v13, s7, v12
	v_mul_lo_u32 v14, s6, v6
	v_mad_co_u64_u32 v[6:7], null, s6, v12, 0
	v_mul_lo_u32 v12, s7, v8
	v_mul_lo_u32 v15, s6, v9
	v_mad_co_u64_u32 v[8:9], null, s6, v8, 0
	v_add_co_u32 v35, vcc_lo, s8, v2
	s_wait_alu 0xfffd
	v_add_co_ci_u32_e64 v36, null, s9, v3, vcc_lo
	v_add3_u32 v7, v7, v14, v13
	v_add_co_u32 v37, vcc_lo, s10, v2
	s_wait_alu 0xfffd
	v_add_co_ci_u32_e64 v38, null, s11, v3, vcc_lo
	v_add_co_u32 v10, vcc_lo, v10, 2
	v_add3_u32 v9, v9, v15, v12
	s_wait_alu 0xfffd
	v_add_co_ci_u32_e64 v11, null, 0, v11, vcc_lo
	v_lshlrev_b64_e32 v[2:3], 1, v[6:7]
	v_mul_lo_u32 v12, s7, v10
	v_lshlrev_b64_e32 v[6:7], 1, v[8:9]
	s_delay_alu instid0(VALU_DEP_4)
	v_mul_lo_u32 v11, s6, v11
	v_mad_co_u64_u32 v[8:9], null, s6, v10, 0
	v_add_co_u32 v39, vcc_lo, s8, v2
	s_wait_alu 0xfffd
	v_add_co_ci_u32_e64 v40, null, s9, v3, vcc_lo
	v_add_co_u32 v41, vcc_lo, s10, v2
	s_wait_alu 0xfffd
	v_add_co_ci_u32_e64 v42, null, s11, v3, vcc_lo
	;; [unrolled: 3-line block ×3, first 2 shown]
	v_add3_u32 v9, v9, v11, v12
	v_add_co_u32 v45, vcc_lo, s10, v6
	s_wait_alu 0xfffd
	v_add_co_ci_u32_e64 v46, null, s11, v7, vcc_lo
	v_add_co_u32 v4, vcc_lo, v4, s6
	s_wait_alu 0xfffd
	v_add_co_ci_u32_e64 v5, null, s7, v5, vcc_lo
	v_lshlrev_b64_e32 v[2:3], 1, v[8:9]
	s_mul_u64 s[24:25], s[6:7], s[22:23]
	s_add_nc_u64 s[20:21], s[0:1], 64
	s_delay_alu instid0(VALU_DEP_2)
	v_lshlrev_b64_e32 v[4:5], 1, v[4:5]
	s_lshl_b64 s[24:25], s[24:25], 1
	s_add_nc_u64 s[26:27], s[16:17], 0xff
	v_add_co_u32 v47, vcc_lo, s8, v2
	s_wait_alu 0xfffd
	v_add_co_ci_u32_e64 v48, null, s9, v3, vcc_lo
	v_add_co_u32 v49, vcc_lo, s10, v2
	s_wait_alu 0xfffd
	v_add_co_ci_u32_e64 v50, null, s11, v3, vcc_lo
	;; [unrolled: 3-line block ×4, first 2 shown]
	s_mov_b64 s[28:29], s[16:17]
.LBB115_3:                              ; =>This Inner Loop Header: Depth=1
	v_cmp_ge_i64_e64 s3, s[26:27], s[4:5]
	v_add_co_u32 v57, s18, v21, s26
	s_wait_alu 0xf1ff
	v_add_co_ci_u32_e64 v58, null, 0, s27, s18
                                        ; implicit-def: $vgpr10_vgpr11_vgpr12_vgpr13_vgpr14_vgpr15_vgpr16_vgpr17
                                        ; implicit-def: $vgpr2_vgpr3_vgpr4_vgpr5_vgpr6_vgpr7_vgpr8_vgpr9
                                        ; implicit-def: $vgpr60
                                        ; implicit-def: $vgpr2
	s_and_b32 vcc_lo, exec_lo, s3
	s_mov_b32 s3, -1
                                        ; implicit-def: $vgpr10
                                        ; implicit-def: $vgpr3
	s_wait_alu 0xfffe
	s_cbranch_vccz .LBB115_25
; %bb.4:                                ;   in Loop: Header=BB115_3 Depth=1
	s_load_b32 s3, s[20:21], 0xc
	v_dual_mov_b32 v60, 0 :: v_dual_mov_b32 v59, 0
	s_wait_kmcnt 0x0
	s_and_b32 s3, s3, 0xffff
	s_wait_alu 0xfffe
	v_mad_u32_u24 v2, v20, s3, v22
	s_mov_b32 s3, exec_lo
	s_delay_alu instid0(VALU_DEP_1) | instskip(NEXT) | instid1(VALU_DEP_1)
	v_and_b32_e32 v2, 31, v2
	v_cmpx_gt_u32_e32 8, v2
	s_cbranch_execz .LBB115_8
; %bb.5:                                ;   in Loop: Header=BB115_3 Depth=1
	v_add_co_u32 v2, vcc_lo, v57, v2
	s_wait_alu 0xfffd
	v_add_co_ci_u32_e64 v3, null, 0, v58, vcc_lo
	v_dual_mov_b32 v59, 0 :: v_dual_mov_b32 v60, 0
	s_delay_alu instid0(VALU_DEP_3) | instskip(SKIP_1) | instid1(VALU_DEP_3)
	v_add_co_u32 v2, vcc_lo, 0xffffff01, v2
	s_wait_alu 0xfffd
	v_add_co_ci_u32_e64 v3, null, -1, v3, vcc_lo
	s_mov_b32 s18, exec_lo
	v_cmpx_gt_i64_e64 s[4:5], v[2:3]
	s_cbranch_execz .LBB115_7
; %bb.6:                                ;   in Loop: Header=BB115_3 Depth=1
	v_lshlrev_b64_e32 v[2:3], 2, v[2:3]
	s_delay_alu instid0(VALU_DEP_1) | instskip(SKIP_1) | instid1(VALU_DEP_2)
	v_add_co_u32 v4, vcc_lo, s12, v2
	s_wait_alu 0xfffd
	v_add_co_ci_u32_e64 v5, null, s13, v3, vcc_lo
	v_add_co_u32 v2, vcc_lo, s14, v2
	s_wait_alu 0xfffd
	v_add_co_ci_u32_e64 v3, null, s15, v3, vcc_lo
	global_load_b32 v59, v[4:5], off
	global_load_b32 v60, v[2:3], off
.LBB115_7:                              ;   in Loop: Header=BB115_3 Depth=1
	s_wait_alu 0xfffe
	s_or_b32 exec_lo, exec_lo, s18
.LBB115_8:                              ;   in Loop: Header=BB115_3 Depth=1
	s_wait_alu 0xfffe
	s_or_b32 exec_lo, exec_lo, s3
	v_add_co_u32 v9, vcc_lo, 0xffffff01, v57
	s_wait_alu 0xfffd
	v_add_co_ci_u32_e64 v10, null, -1, v58, vcc_lo
	v_mov_b32_e32 v8, v1
	v_dual_mov_b32 v2, v1 :: v_dual_mov_b32 v3, v1
	v_dual_mov_b32 v4, v1 :: v_dual_mov_b32 v5, v1
	;; [unrolled: 1-line block ×3, first 2 shown]
	v_cmp_gt_i64_e32 vcc_lo, s[4:5], v[9:10]
	s_delay_alu instid0(VALU_DEP_3) | instskip(NEXT) | instid1(VALU_DEP_3)
	v_dual_mov_b32 v17, v8 :: v_dual_mov_b32 v14, v5
	v_dual_mov_b32 v15, v6 :: v_dual_mov_b32 v16, v7
	;; [unrolled: 1-line block ×4, first 2 shown]
	v_mov_b32_e32 v9, v8
	v_mov_b32_e32 v8, v7
	;; [unrolled: 1-line block ×8, first 2 shown]
	s_and_b32 s18, s2, vcc_lo
	s_wait_alu 0xfffe
	s_and_saveexec_b32 s3, s18
	s_cbranch_execz .LBB115_10
; %bb.9:                                ;   in Loop: Header=BB115_3 Depth=1
	v_add_co_u32 v2, vcc_lo, v23, v18
	s_wait_alu 0xfffd
	v_add_co_ci_u32_e64 v3, null, v24, v19, vcc_lo
	v_add_co_u32 v4, vcc_lo, v25, v18
	s_wait_alu 0xfffd
	v_add_co_ci_u32_e64 v5, null, v26, v19, vcc_lo
	global_load_u16 v2, v[2:3], off
	global_load_u16 v10, v[4:5], off
	v_dual_mov_b32 v3, v1 :: v_dual_mov_b32 v4, v1
	v_dual_mov_b32 v5, v1 :: v_dual_mov_b32 v6, v1
	;; [unrolled: 1-line block ×6, first 2 shown]
	v_mov_b32_e32 v15, v1
	s_wait_loadcnt 0x1
	v_dual_mov_b32 v17, v1 :: v_dual_lshlrev_b32 v2, 16, v2
	s_wait_loadcnt 0x0
	v_lshlrev_b32_e32 v10, 16, v10
.LBB115_10:                             ;   in Loop: Header=BB115_3 Depth=1
	s_wait_alu 0xfffe
	s_or_b32 exec_lo, exec_lo, s3
	v_add_co_u32 v61, vcc_lo, 0xffffff02, v57
	s_wait_alu 0xfffd
	v_add_co_ci_u32_e64 v62, null, -1, v58, vcc_lo
	s_delay_alu instid0(VALU_DEP_1)
	v_cmp_gt_i64_e32 vcc_lo, s[4:5], v[61:62]
	s_and_b32 s18, s2, vcc_lo
	s_wait_alu 0xfffe
	s_and_saveexec_b32 s3, s18
	s_cbranch_execz .LBB115_12
; %bb.11:                               ;   in Loop: Header=BB115_3 Depth=1
	v_add_co_u32 v61, vcc_lo, v51, v18
	s_wait_alu 0xfffd
	v_add_co_ci_u32_e64 v62, null, v52, v19, vcc_lo
	v_add_co_u32 v63, vcc_lo, v53, v18
	s_wait_alu 0xfffd
	v_add_co_ci_u32_e64 v64, null, v54, v19, vcc_lo
	global_load_u16 v3, v[61:62], off
	global_load_u16 v11, v[63:64], off
	s_wait_loadcnt 0x1
	v_lshlrev_b32_e32 v3, 16, v3
	s_wait_loadcnt 0x0
	v_lshlrev_b32_e32 v11, 16, v11
.LBB115_12:                             ;   in Loop: Header=BB115_3 Depth=1
	s_wait_alu 0xfffe
	s_or_b32 exec_lo, exec_lo, s3
	v_add_co_u32 v61, vcc_lo, 0xffffff03, v57
	s_wait_alu 0xfffd
	v_add_co_ci_u32_e64 v62, null, -1, v58, vcc_lo
	s_delay_alu instid0(VALU_DEP_1)
	v_cmp_gt_i64_e32 vcc_lo, s[4:5], v[61:62]
	s_and_b32 s18, s2, vcc_lo
	s_wait_alu 0xfffe
	s_and_saveexec_b32 s3, s18
	s_cbranch_execz .LBB115_14
; %bb.13:                               ;   in Loop: Header=BB115_3 Depth=1
	v_add_co_u32 v61, vcc_lo, v47, v18
	s_wait_alu 0xfffd
	v_add_co_ci_u32_e64 v62, null, v48, v19, vcc_lo
	v_add_co_u32 v63, vcc_lo, v49, v18
	s_wait_alu 0xfffd
	v_add_co_ci_u32_e64 v64, null, v50, v19, vcc_lo
	global_load_u16 v4, v[61:62], off
	global_load_u16 v12, v[63:64], off
	s_wait_loadcnt 0x1
	v_lshlrev_b32_e32 v4, 16, v4
	s_wait_loadcnt 0x0
	v_lshlrev_b32_e32 v12, 16, v12
.LBB115_14:                             ;   in Loop: Header=BB115_3 Depth=1
	;; [unrolled: 25-line block ×7, first 2 shown]
	s_wait_alu 0xfffe
	s_or_b32 exec_lo, exec_lo, s3
	s_wait_loadcnt 0x1
	ds_bpermute_b32 v61, v1, v59
	ds_bpermute_b32 v62, v1, v59 offset:4
	ds_bpermute_b32 v63, v1, v59 offset:8
	s_wait_loadcnt 0x0
	ds_bpermute_b32 v64, v1, v60
	ds_bpermute_b32 v65, v1, v59 offset:12
	ds_bpermute_b32 v66, v1, v60 offset:4
	;; [unrolled: 1-line block ×7, first 2 shown]
	s_mov_b32 s3, 0
	s_wait_dscnt 0xa
	v_dual_sub_f32 v10, v10, v61 :: v_dual_add_f32 v61, v55, v2
	s_wait_dscnt 0x8
	v_dual_sub_f32 v11, v11, v62 :: v_dual_sub_f32 v12, v12, v63
	ds_bpermute_b32 v62, v1, v60 offset:16
	v_mul_f32_e32 v2, v2, v10
	ds_bpermute_b32 v63, v1, v60 offset:20
	v_dual_mul_f32 v11, v3, v11 :: v_dual_mul_f32 v12, v4, v12
	v_add_f32_e32 v3, v3, v61
	s_wait_dscnt 0x9
	v_fma_f32 v10, v2, v64, v56
	s_wait_dscnt 0x8
	v_sub_f32_e32 v2, v13, v65
	ds_bpermute_b32 v64, v1, v60 offset:24
	ds_bpermute_b32 v60, v1, v60 offset:28
	s_wait_dscnt 0x9
	v_dual_add_f32 v3, v4, v3 :: v_dual_fmac_f32 v10, v11, v66
	s_wait_dscnt 0x8
	v_sub_f32_e32 v11, v14, v67
	v_mul_f32_e32 v13, v5, v2
	ds_bpermute_b32 v2, v1, v59 offset:28
	s_wait_dscnt 0x6
	v_sub_f32_e32 v4, v15, v70
	v_dual_fmac_f32 v10, v12, v68 :: v_dual_mul_f32 v11, v6, v11
	v_add_f32_e32 v3, v5, v3
	s_wait_dscnt 0x5
	s_delay_alu instid0(VALU_DEP_3) | instskip(NEXT) | instid1(VALU_DEP_2)
	v_dual_sub_f32 v5, v16, v71 :: v_dual_mul_f32 v4, v7, v4
	v_dual_fmac_f32 v10, v13, v69 :: v_dual_add_f32 v3, v6, v3
	s_wait_dscnt 0x4
	s_delay_alu instid0(VALU_DEP_1) | instskip(SKIP_1) | instid1(VALU_DEP_1)
	v_dual_mul_f32 v5, v8, v5 :: v_dual_fmac_f32 v10, v11, v62
	s_wait_dscnt 0x3
	v_fmac_f32_e32 v10, v4, v63
	s_wait_dscnt 0x2
	s_delay_alu instid0(VALU_DEP_1) | instskip(NEXT) | instid1(VALU_DEP_1)
	v_dual_add_f32 v3, v7, v3 :: v_dual_fmac_f32 v10, v5, v64
	v_add_f32_e32 v3, v8, v3
.LBB115_25:                             ;   in Loop: Header=BB115_3 Depth=1
	s_wait_alu 0xfffe
	s_and_b32 vcc_lo, exec_lo, s3
	s_wait_alu 0xfffe
	s_cbranch_vccz .LBB115_40
; %bb.26:                               ;   in Loop: Header=BB115_3 Depth=1
	s_load_b32 s3, s[20:21], 0x0
	s_wait_dscnt 0x1
	v_dual_mov_b32 v60, 0 :: v_dual_mov_b32 v59, 0
	s_wait_kmcnt 0x0
	s_cmp_lt_u32 ttmp9, s3
	s_cselect_b32 s18, 12, 18
	s_wait_alu 0xfffe
	s_add_nc_u64 s[34:35], s[20:21], s[18:19]
	s_load_u16 s3, s[34:35], 0x0
	s_wait_dscnt 0x0
	s_wait_kmcnt 0x0
	v_mad_u32_u24 v2, v20, s3, v22
	s_mov_b32 s3, exec_lo
	s_delay_alu instid0(VALU_DEP_1) | instskip(NEXT) | instid1(VALU_DEP_1)
	v_and_b32_e32 v2, 31, v2
	v_cmpx_gt_u32_e32 8, v2
	s_cbranch_execz .LBB115_30
; %bb.27:                               ;   in Loop: Header=BB115_3 Depth=1
	v_add_co_u32 v2, vcc_lo, v57, v2
	s_wait_alu 0xfffd
	v_add_co_ci_u32_e64 v3, null, 0, v58, vcc_lo
	v_dual_mov_b32 v59, 0 :: v_dual_mov_b32 v60, 0
	s_delay_alu instid0(VALU_DEP_3) | instskip(SKIP_1) | instid1(VALU_DEP_3)
	v_add_co_u32 v2, vcc_lo, 0xffffff01, v2
	s_wait_alu 0xfffd
	v_add_co_ci_u32_e64 v3, null, -1, v3, vcc_lo
	s_mov_b32 s18, exec_lo
	v_cmpx_gt_i64_e64 s[4:5], v[2:3]
	s_cbranch_execz .LBB115_29
; %bb.28:                               ;   in Loop: Header=BB115_3 Depth=1
	v_lshlrev_b64_e32 v[2:3], 2, v[2:3]
	s_delay_alu instid0(VALU_DEP_1) | instskip(SKIP_1) | instid1(VALU_DEP_2)
	v_add_co_u32 v4, vcc_lo, s12, v2
	s_wait_alu 0xfffd
	v_add_co_ci_u32_e64 v5, null, s13, v3, vcc_lo
	v_add_co_u32 v2, vcc_lo, s14, v2
	s_wait_alu 0xfffd
	v_add_co_ci_u32_e64 v3, null, s15, v3, vcc_lo
	global_load_b32 v59, v[4:5], off
	global_load_b32 v60, v[2:3], off
.LBB115_29:                             ;   in Loop: Header=BB115_3 Depth=1
	s_wait_alu 0xfffe
	s_or_b32 exec_lo, exec_lo, s18
.LBB115_30:                             ;   in Loop: Header=BB115_3 Depth=1
	s_wait_alu 0xfffe
	s_or_b32 exec_lo, exec_lo, s3
	v_mov_b32_e32 v8, v1
	v_dual_mov_b32 v2, v1 :: v_dual_mov_b32 v3, v1
	v_dual_mov_b32 v4, v1 :: v_dual_mov_b32 v5, v1
	;; [unrolled: 1-line block ×3, first 2 shown]
	s_delay_alu instid0(VALU_DEP_4) | instskip(NEXT) | instid1(VALU_DEP_3)
	v_mov_b32_e32 v17, v8
	v_dual_mov_b32 v13, v4 :: v_dual_mov_b32 v12, v3
	s_delay_alu instid0(VALU_DEP_3) | instskip(NEXT) | instid1(VALU_DEP_4)
	v_dual_mov_b32 v15, v6 :: v_dual_mov_b32 v14, v5
	v_dual_mov_b32 v16, v7 :: v_dual_mov_b32 v11, v2
	;; [unrolled: 1-line block ×3, first 2 shown]
	v_mov_b32_e32 v8, v7
	v_mov_b32_e32 v7, v6
	;; [unrolled: 1-line block ×7, first 2 shown]
	s_and_saveexec_b32 s3, s2
	s_cbranch_execnz .LBB115_42
; %bb.31:                               ;   in Loop: Header=BB115_3 Depth=1
	s_wait_alu 0xfffe
	s_or_b32 exec_lo, exec_lo, s3
	s_and_saveexec_b32 s3, s2
	s_cbranch_execnz .LBB115_43
.LBB115_32:                             ;   in Loop: Header=BB115_3 Depth=1
	s_wait_alu 0xfffe
	s_or_b32 exec_lo, exec_lo, s3
	s_and_saveexec_b32 s3, s2
	s_cbranch_execnz .LBB115_44
.LBB115_33:                             ;   in Loop: Header=BB115_3 Depth=1
	s_wait_alu 0xfffe
	s_or_b32 exec_lo, exec_lo, s3
	s_and_saveexec_b32 s3, s2
	s_cbranch_execnz .LBB115_45
.LBB115_34:                             ;   in Loop: Header=BB115_3 Depth=1
	s_wait_alu 0xfffe
	s_or_b32 exec_lo, exec_lo, s3
	s_and_saveexec_b32 s3, s2
	s_cbranch_execnz .LBB115_46
.LBB115_35:                             ;   in Loop: Header=BB115_3 Depth=1
	s_wait_alu 0xfffe
	s_or_b32 exec_lo, exec_lo, s3
	s_and_saveexec_b32 s3, s2
	s_cbranch_execnz .LBB115_47
.LBB115_36:                             ;   in Loop: Header=BB115_3 Depth=1
	s_wait_alu 0xfffe
	s_or_b32 exec_lo, exec_lo, s3
	s_and_saveexec_b32 s3, s2
	s_cbranch_execnz .LBB115_48
.LBB115_37:                             ;   in Loop: Header=BB115_3 Depth=1
	s_wait_alu 0xfffe
	s_or_b32 exec_lo, exec_lo, s3
	s_and_saveexec_b32 s3, s2
	s_cbranch_execz .LBB115_39
.LBB115_38:                             ;   in Loop: Header=BB115_3 Depth=1
	v_add_co_u32 v57, vcc_lo, v27, v18
	s_wait_alu 0xfffd
	v_add_co_ci_u32_e64 v58, null, v28, v19, vcc_lo
	v_add_co_u32 v61, vcc_lo, v29, v18
	s_wait_alu 0xfffd
	v_add_co_ci_u32_e64 v62, null, v30, v19, vcc_lo
	global_load_u16 v9, v[57:58], off
	global_load_u16 v17, v[61:62], off
	s_wait_loadcnt 0x1
	v_lshlrev_b32_e32 v9, 16, v9
	s_wait_loadcnt 0x0
	v_lshlrev_b32_e32 v17, 16, v17
.LBB115_39:                             ;   in Loop: Header=BB115_3 Depth=1
	s_wait_alu 0xfffe
	s_or_b32 exec_lo, exec_lo, s3
	s_wait_loadcnt 0x1
	ds_bpermute_b32 v57, v1, v59
	ds_bpermute_b32 v58, v1, v59 offset:4
	ds_bpermute_b32 v61, v1, v59 offset:8
	s_wait_loadcnt 0x0
	ds_bpermute_b32 v62, v1, v60
	ds_bpermute_b32 v63, v1, v59 offset:12
	ds_bpermute_b32 v64, v1, v60 offset:4
	;; [unrolled: 1-line block ×5, first 2 shown]
	s_wait_dscnt 0x7
	v_dual_sub_f32 v10, v10, v57 :: v_dual_sub_f32 v11, v11, v58
	ds_bpermute_b32 v57, v1, v60 offset:12
	s_wait_dscnt 0x7
	v_sub_f32_e32 v12, v12, v61
	ds_bpermute_b32 v58, v1, v60 offset:20
	v_dual_mul_f32 v10, v2, v10 :: v_dual_mul_f32 v11, v3, v11
	s_wait_dscnt 0x6
	v_dual_add_f32 v2, v55, v2 :: v_dual_sub_f32 v13, v13, v63
	ds_bpermute_b32 v55, v1, v60 offset:16
	v_fmac_f32_e32 v56, v10, v62
	ds_bpermute_b32 v10, v1, v59 offset:24
	s_wait_dscnt 0x6
	v_dual_add_f32 v2, v3, v2 :: v_dual_sub_f32 v3, v14, v65
	v_dual_fmac_f32 v56, v11, v64 :: v_dual_mul_f32 v11, v5, v13
	s_wait_dscnt 0x5
	v_dual_sub_f32 v13, v15, v67 :: v_dual_mul_f32 v12, v4, v12
	s_wait_dscnt 0x4
	s_delay_alu instid0(VALU_DEP_1)
	v_dual_mul_f32 v3, v6, v3 :: v_dual_fmac_f32 v56, v12, v66
	ds_bpermute_b32 v12, v1, v60 offset:24
	ds_bpermute_b32 v60, v1, v60 offset:28
	s_wait_dscnt 0x5
	v_fmac_f32_e32 v56, v11, v57
	s_wait_dscnt 0x2
	s_delay_alu instid0(VALU_DEP_1) | instskip(NEXT) | instid1(VALU_DEP_1)
	v_dual_fmac_f32 v56, v3, v55 :: v_dual_sub_f32 v3, v16, v10
	v_mul_f32_e32 v3, v8, v3
	v_add_f32_e32 v4, v4, v2
	ds_bpermute_b32 v2, v1, v59 offset:28
	v_dual_add_f32 v4, v5, v4 :: v_dual_mul_f32 v5, v7, v13
	s_delay_alu instid0(VALU_DEP_1) | instskip(NEXT) | instid1(VALU_DEP_2)
	v_add_f32_e32 v4, v6, v4
	v_fmac_f32_e32 v56, v5, v58
	s_delay_alu instid0(VALU_DEP_2) | instskip(SKIP_1) | instid1(VALU_DEP_2)
	v_add_f32_e32 v4, v7, v4
	s_wait_dscnt 0x2
	v_fmac_f32_e32 v56, v3, v12
	s_delay_alu instid0(VALU_DEP_2) | instskip(NEXT) | instid1(VALU_DEP_2)
	v_add_f32_e32 v3, v8, v4
	v_mov_b32_e32 v10, v56
.LBB115_40:                             ;   in Loop: Header=BB115_3 Depth=1
	v_add_co_u32 v23, vcc_lo, v23, s24
	s_wait_alu 0xfffd
	v_add_co_ci_u32_e64 v24, null, s25, v24, vcc_lo
	v_add_co_u32 v25, vcc_lo, v25, s24
	s_wait_alu 0xfffd
	v_add_co_ci_u32_e64 v26, null, s25, v26, vcc_lo
	;; [unrolled: 3-line block ×10, first 2 shown]
	v_add_co_u32 v43, vcc_lo, v43, s24
	s_wait_dscnt 0x0
	v_dual_sub_f32 v2, v17, v2 :: v_dual_add_f32 v55, v3, v9
	s_wait_alu 0xfffd
	v_add_co_ci_u32_e64 v44, null, s25, v44, vcc_lo
	v_add_co_u32 v45, vcc_lo, v45, s24
	s_wait_alu 0xfffd
	v_add_co_ci_u32_e64 v46, null, s25, v46, vcc_lo
	v_add_co_u32 v47, vcc_lo, v47, s24
	;; [unrolled: 3-line block ×3, first 2 shown]
	s_add_nc_u64 s[28:29], s[28:29], s[22:23]
	v_mul_f32_e32 v2, v9, v2
	s_wait_alu 0xfffd
	v_add_co_ci_u32_e64 v50, null, s25, v50, vcc_lo
	v_add_co_u32 v51, vcc_lo, v51, s24
	s_wait_alu 0xfffe
	v_cmp_lt_i64_e64 s3, s[28:29], s[4:5]
	s_wait_alu 0xfffd
	v_add_co_ci_u32_e64 v52, null, s25, v52, vcc_lo
	v_add_co_u32 v53, vcc_lo, v53, s24
	v_fmac_f32_e32 v10, v2, v60
	s_wait_alu 0xfffd
	v_add_co_ci_u32_e64 v54, null, s25, v54, vcc_lo
	s_and_b32 vcc_lo, exec_lo, s3
	s_add_nc_u64 s[26:27], s[26:27], s[22:23]
	s_wait_alu 0xfffe
	s_cbranch_vccz .LBB115_50
; %bb.41:                               ;   in Loop: Header=BB115_3 Depth=1
	v_mov_b32_e32 v56, v10
	s_branch .LBB115_3
.LBB115_42:                             ;   in Loop: Header=BB115_3 Depth=1
	v_add_co_u32 v2, vcc_lo, v23, v18
	s_wait_alu 0xfffd
	v_add_co_ci_u32_e64 v3, null, v24, v19, vcc_lo
	v_add_co_u32 v4, vcc_lo, v25, v18
	s_wait_alu 0xfffd
	v_add_co_ci_u32_e64 v5, null, v26, v19, vcc_lo
	global_load_u16 v2, v[2:3], off
	global_load_u16 v10, v[4:5], off
	v_dual_mov_b32 v3, v1 :: v_dual_mov_b32 v4, v1
	v_dual_mov_b32 v5, v1 :: v_dual_mov_b32 v6, v1
	;; [unrolled: 1-line block ×6, first 2 shown]
	v_mov_b32_e32 v15, v1
	s_wait_loadcnt 0x1
	v_dual_mov_b32 v17, v1 :: v_dual_lshlrev_b32 v2, 16, v2
	s_wait_loadcnt 0x0
	v_lshlrev_b32_e32 v10, 16, v10
	s_wait_alu 0xfffe
	s_or_b32 exec_lo, exec_lo, s3
	s_and_saveexec_b32 s3, s2
	s_cbranch_execz .LBB115_32
.LBB115_43:                             ;   in Loop: Header=BB115_3 Depth=1
	v_add_co_u32 v57, vcc_lo, v51, v18
	s_wait_alu 0xfffd
	v_add_co_ci_u32_e64 v58, null, v52, v19, vcc_lo
	v_add_co_u32 v61, vcc_lo, v53, v18
	s_wait_alu 0xfffd
	v_add_co_ci_u32_e64 v62, null, v54, v19, vcc_lo
	global_load_u16 v3, v[57:58], off
	global_load_u16 v11, v[61:62], off
	s_wait_loadcnt 0x1
	v_lshlrev_b32_e32 v3, 16, v3
	s_wait_loadcnt 0x0
	v_lshlrev_b32_e32 v11, 16, v11
	s_wait_alu 0xfffe
	s_or_b32 exec_lo, exec_lo, s3
	s_and_saveexec_b32 s3, s2
	s_cbranch_execz .LBB115_33
.LBB115_44:                             ;   in Loop: Header=BB115_3 Depth=1
	v_add_co_u32 v57, vcc_lo, v47, v18
	s_wait_alu 0xfffd
	v_add_co_ci_u32_e64 v58, null, v48, v19, vcc_lo
	v_add_co_u32 v61, vcc_lo, v49, v18
	s_wait_alu 0xfffd
	v_add_co_ci_u32_e64 v62, null, v50, v19, vcc_lo
	global_load_u16 v4, v[57:58], off
	global_load_u16 v12, v[61:62], off
	s_wait_loadcnt 0x1
	v_lshlrev_b32_e32 v4, 16, v4
	s_wait_loadcnt 0x0
	v_lshlrev_b32_e32 v12, 16, v12
	s_wait_alu 0xfffe
	s_or_b32 exec_lo, exec_lo, s3
	s_and_saveexec_b32 s3, s2
	s_cbranch_execz .LBB115_34
.LBB115_45:                             ;   in Loop: Header=BB115_3 Depth=1
	v_add_co_u32 v57, vcc_lo, v43, v18
	s_wait_alu 0xfffd
	v_add_co_ci_u32_e64 v58, null, v44, v19, vcc_lo
	v_add_co_u32 v61, vcc_lo, v45, v18
	s_wait_alu 0xfffd
	v_add_co_ci_u32_e64 v62, null, v46, v19, vcc_lo
	global_load_u16 v5, v[57:58], off
	global_load_u16 v13, v[61:62], off
	s_wait_loadcnt 0x1
	v_lshlrev_b32_e32 v5, 16, v5
	s_wait_loadcnt 0x0
	v_lshlrev_b32_e32 v13, 16, v13
	s_wait_alu 0xfffe
	s_or_b32 exec_lo, exec_lo, s3
	s_and_saveexec_b32 s3, s2
	s_cbranch_execz .LBB115_35
.LBB115_46:                             ;   in Loop: Header=BB115_3 Depth=1
	v_add_co_u32 v57, vcc_lo, v39, v18
	s_wait_alu 0xfffd
	v_add_co_ci_u32_e64 v58, null, v40, v19, vcc_lo
	v_add_co_u32 v61, vcc_lo, v41, v18
	s_wait_alu 0xfffd
	v_add_co_ci_u32_e64 v62, null, v42, v19, vcc_lo
	global_load_u16 v6, v[57:58], off
	global_load_u16 v14, v[61:62], off
	s_wait_loadcnt 0x1
	v_lshlrev_b32_e32 v6, 16, v6
	s_wait_loadcnt 0x0
	v_lshlrev_b32_e32 v14, 16, v14
	s_wait_alu 0xfffe
	s_or_b32 exec_lo, exec_lo, s3
	s_and_saveexec_b32 s3, s2
	s_cbranch_execz .LBB115_36
.LBB115_47:                             ;   in Loop: Header=BB115_3 Depth=1
	v_add_co_u32 v57, vcc_lo, v35, v18
	s_wait_alu 0xfffd
	v_add_co_ci_u32_e64 v58, null, v36, v19, vcc_lo
	v_add_co_u32 v61, vcc_lo, v37, v18
	s_wait_alu 0xfffd
	v_add_co_ci_u32_e64 v62, null, v38, v19, vcc_lo
	global_load_u16 v7, v[57:58], off
	global_load_u16 v15, v[61:62], off
	s_wait_loadcnt 0x1
	v_lshlrev_b32_e32 v7, 16, v7
	s_wait_loadcnt 0x0
	v_lshlrev_b32_e32 v15, 16, v15
	s_wait_alu 0xfffe
	s_or_b32 exec_lo, exec_lo, s3
	s_and_saveexec_b32 s3, s2
	s_cbranch_execz .LBB115_37
.LBB115_48:                             ;   in Loop: Header=BB115_3 Depth=1
	v_add_co_u32 v57, vcc_lo, v31, v18
	s_wait_alu 0xfffd
	v_add_co_ci_u32_e64 v58, null, v32, v19, vcc_lo
	v_add_co_u32 v61, vcc_lo, v33, v18
	s_wait_alu 0xfffd
	v_add_co_ci_u32_e64 v62, null, v34, v19, vcc_lo
	global_load_u16 v8, v[57:58], off
	global_load_u16 v16, v[61:62], off
	s_wait_loadcnt 0x1
	v_lshlrev_b32_e32 v8, 16, v8
	s_wait_loadcnt 0x0
	v_lshlrev_b32_e32 v16, 16, v16
	s_wait_alu 0xfffe
	s_or_b32 exec_lo, exec_lo, s3
	s_and_saveexec_b32 s3, s2
	s_cbranch_execnz .LBB115_38
	s_branch .LBB115_39
.LBB115_49:
                                        ; implicit-def: $vgpr10
                                        ; implicit-def: $vgpr55
	s_branch .LBB115_51
.LBB115_50:
	s_cbranch_execnz .LBB115_83
.LBB115_51:
	v_dual_mov_b32 v10, 0 :: v_dual_mov_b32 v55, 0
	s_and_not1_b32 vcc_lo, exec_lo, s31
	s_wait_alu 0xfffe
	s_cbranch_vccnz .LBB115_83
; %bb.52:
	v_bfe_u32 v48, v0, 10, 10
	v_dual_mov_b32 v1, 0 :: v_dual_and_b32 v50, 0x3ff, v0
	s_lshl_b64 s[20:21], s[16:17], 1
	s_mov_b32 s3, 0
	s_delay_alu instid0(VALU_DEP_2) | instskip(SKIP_2) | instid1(VALU_DEP_3)
	v_dual_mov_b32 v84, 0 :: v_dual_lshlrev_b32 v49, 3, v48
	v_dual_mov_b32 v85, 0 :: v_dual_lshlrev_b32 v8, 4, v48
	v_dual_mov_b32 v5, v1 :: v_dual_add_nc_u32 v4, s30, v50
	v_add_co_u32 v10, s2, v49, s16
	s_wait_alu 0xf1ff
	v_add_co_ci_u32_e64 v11, null, 0, 0, s2
	s_delay_alu instid0(VALU_DEP_3) | instskip(NEXT) | instid1(VALU_DEP_3)
	v_lshlrev_b64_e32 v[18:19], 1, v[4:5]
	v_mul_lo_u32 v6, s7, v10
	v_mad_co_u64_u32 v[2:3], null, s6, v10, 0
	s_delay_alu instid0(VALU_DEP_4) | instskip(SKIP_2) | instid1(VALU_DEP_1)
	v_mul_lo_u32 v7, s6, v11
	s_load_b32 s2, s[0:1], 0x44
	s_mov_b32 s19, s3
	v_add3_u32 v3, v3, v7, v6
	v_add_co_u32 v6, s18, v8, s20
	s_wait_alu 0xf1ff
	v_add_co_ci_u32_e64 v7, null, 0, s21, s18
	s_delay_alu instid0(VALU_DEP_3) | instskip(NEXT) | instid1(VALU_DEP_3)
	v_lshlrev_b64_e32 v[4:5], 1, v[2:3]
	v_add_co_u32 v8, vcc_lo, v6, 2
	s_wait_alu 0xfffd
	s_delay_alu instid0(VALU_DEP_3) | instskip(NEXT) | instid1(VALU_DEP_3)
	v_add_co_ci_u32_e64 v9, null, 0, v7, vcc_lo
	v_add_co_u32 v51, vcc_lo, s8, v4
	s_wait_alu 0xfffd
	v_add_co_ci_u32_e64 v52, null, s9, v5, vcc_lo
	v_add_co_u32 v53, vcc_lo, s10, v4
	s_wait_alu 0xfffd
	;; [unrolled: 3-line block ×5, first 2 shown]
	v_add_co_ci_u32_e64 v28, null, 0, v7, vcc_lo
	v_add_co_u32 v42, vcc_lo, v6, 10
	v_mad_co_u64_u32 v[22:23], null, s6, v4, s[8:9]
	v_mul_lo_u32 v5, s6, v5
	v_mul_lo_u32 v15, s7, v4
	v_mad_co_u64_u32 v[36:37], null, s6, v4, s[10:11]
	s_wait_alu 0xfffd
	v_add_co_ci_u32_e64 v30, null, 0, v7, vcc_lo
	v_add_co_u32 v44, vcc_lo, v6, 12
	s_wait_alu 0xfffd
	v_add_co_ci_u32_e64 v32, null, 0, v7, vcc_lo
	v_add_co_u32 v6, vcc_lo, v6, 14
	v_mad_co_u64_u32 v[20:21], null, s6, v8, s[8:9]
	v_mul_lo_u32 v9, s6, v9
	v_mul_lo_u32 v12, s7, v8
	v_mad_co_u64_u32 v[34:35], null, s6, v8, s[10:11]
	s_wait_alu 0xfffd
	v_add_co_ci_u32_e64 v7, null, 0, v7, vcc_lo
	v_add_co_u32 v4, vcc_lo, v10, 7
	v_add3_u32 v23, v15, v23, v5
	v_add3_u32 v37, v15, v37, v5
	s_wait_alu 0xfffd
	v_add_co_ci_u32_e64 v5, null, 0, v11, vcc_lo
	v_mul_lo_u32 v61, s6, v7
	v_add_co_u32 v7, vcc_lo, v10, 6
	v_add3_u32 v21, v12, v21, v9
	v_add3_u32 v35, v12, v35, v9
	s_wait_alu 0xfffd
	v_add_co_ci_u32_e64 v12, null, 0, v11, vcc_lo
	v_mul_lo_u32 v8, s7, v4
	v_mul_lo_u32 v9, s6, v5
	v_mad_co_u64_u32 v[4:5], null, s6, v4, 0
	v_mad_co_u64_u32 v[24:25], null, s6, v13, s[8:9]
	v_mul_lo_u32 v17, s7, v13
	v_mul_lo_u32 v59, s6, v32
	v_mad_co_u64_u32 v[32:33], null, s6, v6, s[8:9]
	v_mul_lo_u32 v62, s7, v6
	v_mad_co_u64_u32 v[38:39], null, s6, v13, s[10:11]
	v_mad_co_u64_u32 v[46:47], null, s6, v6, s[10:11]
	v_mul_lo_u32 v13, s7, v7
	v_mul_lo_u32 v12, s6, v12
	v_mad_co_u64_u32 v[6:7], null, s6, v7, 0
	v_add3_u32 v5, v5, v9, v8
	v_add_co_u32 v8, vcc_lo, v10, 5
	v_mad_co_u64_u32 v[26:27], null, s6, v16, s[8:9]
	v_mul_lo_u32 v55, s6, v28
	v_mul_lo_u32 v56, s7, v16
	v_mad_co_u64_u32 v[40:41], null, s6, v16, s[10:11]
	s_wait_alu 0xfffd
	v_add_co_ci_u32_e64 v9, null, 0, v11, vcc_lo
	v_add3_u32 v7, v7, v12, v13
	v_mad_co_u64_u32 v[28:29], null, s6, v42, s[8:9]
	v_mul_lo_u32 v57, s6, v30
	v_mul_lo_u32 v58, s7, v42
	v_mad_co_u64_u32 v[42:43], null, s6, v42, s[10:11]
	v_lshlrev_b64_e32 v[4:5], 1, v[4:5]
	v_mad_co_u64_u32 v[30:31], null, s6, v44, s[8:9]
	v_mul_lo_u32 v60, s7, v44
	v_mad_co_u64_u32 v[44:45], null, s6, v44, s[10:11]
	v_mul_lo_u32 v12, s7, v8
	v_mul_lo_u32 v13, s6, v9
	v_mad_co_u64_u32 v[8:9], null, s6, v8, 0
	v_lshlrev_b64_e32 v[6:7], 1, v[6:7]
	v_add3_u32 v27, v56, v27, v55
	v_add3_u32 v41, v56, v41, v55
	v_add_co_u32 v56, vcc_lo, s8, v4
	v_add3_u32 v29, v58, v29, v57
	v_add3_u32 v43, v58, v43, v57
	s_wait_alu 0xfffd
	v_add_co_ci_u32_e64 v57, null, s9, v5, vcc_lo
	v_add_co_u32 v58, vcc_lo, s10, v4
	v_add3_u32 v31, v60, v31, v59
	v_add3_u32 v45, v60, v45, v59
	s_wait_alu 0xfffd
	v_add_co_ci_u32_e64 v59, null, s11, v5, vcc_lo
	v_add_co_u32 v60, vcc_lo, s8, v6
	v_mul_lo_u32 v14, s6, v14
	v_add3_u32 v9, v9, v13, v12
	v_add3_u32 v33, v62, v33, v61
	;; [unrolled: 1-line block ×3, first 2 shown]
	s_wait_alu 0xfffd
	v_add_co_ci_u32_e64 v61, null, s9, v7, vcc_lo
	v_add_co_u32 v12, vcc_lo, v10, 4
	s_wait_kmcnt 0x0
	s_lshl_b32 s18, s2, 8
	v_add_co_u32 v62, s2, s10, v6
	s_wait_alu 0xfffd
	v_add_co_ci_u32_e64 v6, null, 0, v11, vcc_lo
	v_lshlrev_b64_e32 v[4:5], 1, v[8:9]
	v_add_co_u32 v8, vcc_lo, v10, 3
	s_wait_alu 0xfffd
	v_add_co_ci_u32_e64 v9, null, 0, v11, vcc_lo
	v_add3_u32 v25, v17, v25, v14
	v_add3_u32 v39, v17, v39, v14
	s_wait_alu 0xf1ff
	v_add_co_ci_u32_e64 v63, null, s11, v7, s2
	v_mul_lo_u32 v13, s7, v12
	v_mul_lo_u32 v14, s6, v6
	v_mad_co_u64_u32 v[6:7], null, s6, v12, 0
	v_mul_lo_u32 v12, s7, v8
	v_mul_lo_u32 v15, s6, v9
	v_mad_co_u64_u32 v[8:9], null, s6, v8, 0
	v_add_co_u32 v64, vcc_lo, s8, v4
	s_wait_alu 0xfffd
	v_add_co_ci_u32_e64 v65, null, s9, v5, vcc_lo
	v_add3_u32 v7, v7, v14, v13
	v_add_co_u32 v66, vcc_lo, s10, v4
	s_wait_alu 0xfffd
	v_add_co_ci_u32_e64 v67, null, s11, v5, vcc_lo
	v_add_co_u32 v10, vcc_lo, v10, 2
	v_add3_u32 v9, v9, v15, v12
	s_wait_alu 0xfffd
	v_add_co_ci_u32_e64 v11, null, 0, v11, vcc_lo
	v_lshlrev_b64_e32 v[4:5], 1, v[6:7]
	v_mul_lo_u32 v12, s7, v10
	v_lshlrev_b64_e32 v[6:7], 1, v[8:9]
	s_delay_alu instid0(VALU_DEP_4)
	v_mul_lo_u32 v11, s6, v11
	v_mad_co_u64_u32 v[8:9], null, s6, v10, 0
	v_add_co_u32 v68, vcc_lo, s8, v4
	s_wait_alu 0xfffd
	v_add_co_ci_u32_e64 v69, null, s9, v5, vcc_lo
	v_add_co_u32 v70, vcc_lo, s10, v4
	s_wait_alu 0xfffd
	v_add_co_ci_u32_e64 v71, null, s11, v5, vcc_lo
	;; [unrolled: 3-line block ×3, first 2 shown]
	v_add3_u32 v9, v9, v11, v12
	v_add_co_u32 v74, vcc_lo, s10, v6
	s_wait_alu 0xfffd
	v_add_co_ci_u32_e64 v75, null, s11, v7, vcc_lo
	v_add_co_u32 v2, vcc_lo, v2, s6
	s_wait_alu 0xfffd
	v_add_co_ci_u32_e64 v3, null, s7, v3, vcc_lo
	v_lshlrev_b64_e32 v[4:5], 1, v[8:9]
	s_wait_alu 0xfffe
	s_mul_u64 s[20:21], s[6:7], s[18:19]
	s_delay_alu instid0(VALU_DEP_2) | instskip(NEXT) | instid1(VALU_DEP_2)
	v_lshlrev_b64_e32 v[2:3], 1, v[2:3]
	v_add_co_u32 v76, vcc_lo, s8, v4
	s_wait_alu 0xfffd
	v_add_co_ci_u32_e64 v77, null, s9, v5, vcc_lo
	v_add_co_u32 v78, vcc_lo, s10, v4
	s_wait_alu 0xfffd
	v_add_co_ci_u32_e64 v79, null, s11, v5, vcc_lo
	v_add_co_u32 v80, vcc_lo, s8, v2
	s_wait_alu 0xfffd
	v_add_co_ci_u32_e64 v81, null, s9, v3, vcc_lo
	v_add_co_u32 v82, vcc_lo, s10, v2
	s_wait_alu 0xfffd
	v_add_co_ci_u32_e64 v83, null, s11, v3, vcc_lo
	s_add_nc_u64 s[8:9], s[0:1], 64
	s_wait_alu 0xfffe
	s_lshl_b64 s[10:11], s[20:21], 1
	s_add_nc_u64 s[20:21], s[16:17], 0xff
.LBB115_53:                             ; =>This Inner Loop Header: Depth=1
	s_wait_alu 0xfffe
	v_cmp_ge_i64_e64 s2, s[20:21], s[4:5]
	v_add_co_u32 v86, s22, v49, s20
	s_wait_alu 0xf1ff
	v_add_co_ci_u32_e64 v87, null, 0, s21, s22
                                        ; implicit-def: $vgpr55
                                        ; implicit-def: $vgpr10
	s_and_b32 vcc_lo, exec_lo, s2
	s_mov_b32 s2, -1
	s_wait_alu 0xfffe
	s_cbranch_vccz .LBB115_75
; %bb.54:                               ;   in Loop: Header=BB115_53 Depth=1
	s_load_b32 s2, s[8:9], 0xc
	v_dual_mov_b32 v88, 0 :: v_dual_mov_b32 v55, 0
	s_wait_kmcnt 0x0
	s_and_b32 s2, s2, 0xffff
	s_wait_alu 0xfffe
	v_mad_u32_u24 v2, v48, s2, v50
	s_mov_b32 s2, exec_lo
	s_delay_alu instid0(VALU_DEP_1) | instskip(NEXT) | instid1(VALU_DEP_1)
	v_and_b32_e32 v2, 31, v2
	v_cmpx_gt_u32_e32 8, v2
	s_cbranch_execz .LBB115_58
; %bb.55:                               ;   in Loop: Header=BB115_53 Depth=1
	v_add_co_u32 v2, vcc_lo, v86, v2
	s_wait_alu 0xfffd
	v_add_co_ci_u32_e64 v3, null, 0, v87, vcc_lo
	v_dual_mov_b32 v55, 0 :: v_dual_mov_b32 v88, 0
	s_delay_alu instid0(VALU_DEP_3) | instskip(SKIP_1) | instid1(VALU_DEP_3)
	v_add_co_u32 v2, vcc_lo, 0xffffff01, v2
	s_wait_alu 0xfffd
	v_add_co_ci_u32_e64 v3, null, -1, v3, vcc_lo
	s_mov_b32 s22, exec_lo
	v_cmpx_gt_i64_e64 s[4:5], v[2:3]
	s_cbranch_execz .LBB115_57
; %bb.56:                               ;   in Loop: Header=BB115_53 Depth=1
	v_lshlrev_b64_e32 v[2:3], 2, v[2:3]
	s_delay_alu instid0(VALU_DEP_1) | instskip(SKIP_1) | instid1(VALU_DEP_2)
	v_add_co_u32 v4, vcc_lo, s12, v2
	s_wait_alu 0xfffd
	v_add_co_ci_u32_e64 v5, null, s13, v3, vcc_lo
	v_add_co_u32 v2, vcc_lo, s14, v2
	s_wait_alu 0xfffd
	v_add_co_ci_u32_e64 v3, null, s15, v3, vcc_lo
	global_load_b32 v55, v[4:5], off
	global_load_b32 v88, v[2:3], off
.LBB115_57:                             ;   in Loop: Header=BB115_53 Depth=1
	s_wait_alu 0xfffe
	s_or_b32 exec_lo, exec_lo, s22
.LBB115_58:                             ;   in Loop: Header=BB115_53 Depth=1
	s_wait_alu 0xfffe
	s_or_b32 exec_lo, exec_lo, s2
	v_add_co_u32 v9, vcc_lo, 0xffffff01, v86
	s_wait_alu 0xfffd
	v_add_co_ci_u32_e64 v10, null, -1, v87, vcc_lo
	v_mov_b32_e32 v8, v1
	v_dual_mov_b32 v2, v1 :: v_dual_mov_b32 v3, v1
	v_dual_mov_b32 v4, v1 :: v_dual_mov_b32 v5, v1
	;; [unrolled: 1-line block ×3, first 2 shown]
	v_cmp_gt_i64_e32 vcc_lo, s[4:5], v[9:10]
	s_delay_alu instid0(VALU_DEP_3) | instskip(NEXT) | instid1(VALU_DEP_3)
	v_dual_mov_b32 v17, v8 :: v_dual_mov_b32 v14, v5
	v_dual_mov_b32 v15, v6 :: v_dual_mov_b32 v16, v7
	;; [unrolled: 1-line block ×4, first 2 shown]
	v_mov_b32_e32 v9, v8
	v_mov_b32_e32 v8, v7
	;; [unrolled: 1-line block ×8, first 2 shown]
	s_and_saveexec_b32 s2, vcc_lo
	s_cbranch_execz .LBB115_60
; %bb.59:                               ;   in Loop: Header=BB115_53 Depth=1
	v_add_co_u32 v2, vcc_lo, v51, v18
	s_wait_alu 0xfffd
	v_add_co_ci_u32_e64 v3, null, v52, v19, vcc_lo
	v_add_co_u32 v4, vcc_lo, v53, v18
	s_wait_alu 0xfffd
	v_add_co_ci_u32_e64 v5, null, v54, v19, vcc_lo
	global_load_u16 v2, v[2:3], off
	global_load_u16 v10, v[4:5], off
	v_dual_mov_b32 v3, v1 :: v_dual_mov_b32 v4, v1
	v_dual_mov_b32 v5, v1 :: v_dual_mov_b32 v6, v1
	;; [unrolled: 1-line block ×6, first 2 shown]
	v_mov_b32_e32 v15, v1
	s_wait_loadcnt 0x1
	v_dual_mov_b32 v17, v1 :: v_dual_lshlrev_b32 v2, 16, v2
	s_wait_loadcnt 0x0
	v_lshlrev_b32_e32 v10, 16, v10
.LBB115_60:                             ;   in Loop: Header=BB115_53 Depth=1
	s_wait_alu 0xfffe
	s_or_b32 exec_lo, exec_lo, s2
	v_add_co_u32 v89, vcc_lo, 0xffffff02, v86
	s_wait_alu 0xfffd
	v_add_co_ci_u32_e64 v90, null, -1, v87, vcc_lo
	s_mov_b32 s2, exec_lo
	v_cmpx_gt_i64_e64 s[4:5], v[89:90]
	s_cbranch_execz .LBB115_62
; %bb.61:                               ;   in Loop: Header=BB115_53 Depth=1
	v_add_co_u32 v89, vcc_lo, v80, v18
	s_wait_alu 0xfffd
	v_add_co_ci_u32_e64 v90, null, v81, v19, vcc_lo
	v_add_co_u32 v91, vcc_lo, v82, v18
	s_wait_alu 0xfffd
	v_add_co_ci_u32_e64 v92, null, v83, v19, vcc_lo
	global_load_u16 v3, v[89:90], off
	global_load_u16 v11, v[91:92], off
	s_wait_loadcnt 0x1
	v_lshlrev_b32_e32 v3, 16, v3
	s_wait_loadcnt 0x0
	v_lshlrev_b32_e32 v11, 16, v11
.LBB115_62:                             ;   in Loop: Header=BB115_53 Depth=1
	s_wait_alu 0xfffe
	s_or_b32 exec_lo, exec_lo, s2
	v_add_co_u32 v89, vcc_lo, 0xffffff03, v86
	s_wait_alu 0xfffd
	v_add_co_ci_u32_e64 v90, null, -1, v87, vcc_lo
	s_mov_b32 s2, exec_lo
	v_cmpx_gt_i64_e64 s[4:5], v[89:90]
	s_cbranch_execz .LBB115_64
; %bb.63:                               ;   in Loop: Header=BB115_53 Depth=1
	v_add_co_u32 v89, vcc_lo, v76, v18
	s_wait_alu 0xfffd
	v_add_co_ci_u32_e64 v90, null, v77, v19, vcc_lo
	v_add_co_u32 v91, vcc_lo, v78, v18
	s_wait_alu 0xfffd
	v_add_co_ci_u32_e64 v92, null, v79, v19, vcc_lo
	global_load_u16 v4, v[89:90], off
	global_load_u16 v12, v[91:92], off
	s_wait_loadcnt 0x1
	v_lshlrev_b32_e32 v4, 16, v4
	s_wait_loadcnt 0x0
	v_lshlrev_b32_e32 v12, 16, v12
.LBB115_64:                             ;   in Loop: Header=BB115_53 Depth=1
	;; [unrolled: 22-line block ×7, first 2 shown]
	s_wait_alu 0xfffe
	s_or_b32 exec_lo, exec_lo, s2
	s_wait_loadcnt 0x1
	ds_bpermute_b32 v90, v1, v55
	s_wait_loadcnt 0x0
	ds_bpermute_b32 v89, v1, v88
	s_mov_b32 s2, 0
	s_wait_dscnt 0x1
	v_sub_f32_e32 v10, v10, v90
	ds_bpermute_b32 v90, v1, v55 offset:4
	s_wait_dscnt 0x0
	v_sub_f32_e32 v11, v11, v90
	s_delay_alu instid0(VALU_DEP_1) | instskip(NEXT) | instid1(VALU_DEP_1)
	v_dual_mul_f32 v11, v3, v11 :: v_dual_mul_f32 v10, v2, v10
	v_fma_f32 v10, v10, v89, v84
	ds_bpermute_b32 v89, v1, v88 offset:4
	s_wait_dscnt 0x0
	v_fmac_f32_e32 v10, v11, v89
	ds_bpermute_b32 v11, v1, v55 offset:8
	s_wait_dscnt 0x0
	v_dual_sub_f32 v11, v12, v11 :: v_dual_add_f32 v2, v85, v2
	s_delay_alu instid0(VALU_DEP_1) | instskip(SKIP_4) | instid1(VALU_DEP_1)
	v_dual_mul_f32 v11, v4, v11 :: v_dual_add_f32 v2, v3, v2
	ds_bpermute_b32 v3, v1, v88 offset:8
	v_add_f32_e32 v2, v4, v2
	ds_bpermute_b32 v4, v1, v55 offset:12
	v_add_f32_e32 v2, v5, v2
	v_add_f32_e32 v2, v6, v2
	s_delay_alu instid0(VALU_DEP_1)
	v_add_f32_e32 v2, v7, v2
	s_wait_dscnt 0x1
	v_fmac_f32_e32 v10, v11, v3
	ds_bpermute_b32 v3, v1, v88 offset:12
	v_add_f32_e32 v2, v8, v2
	s_wait_dscnt 0x1
	v_sub_f32_e32 v4, v13, v4
	s_delay_alu instid0(VALU_DEP_1) | instskip(SKIP_1) | instid1(VALU_DEP_1)
	v_mul_f32_e32 v4, v5, v4
	s_wait_dscnt 0x0
	v_fmac_f32_e32 v10, v4, v3
	ds_bpermute_b32 v4, v1, v55 offset:16
	ds_bpermute_b32 v3, v1, v88 offset:16
	s_wait_dscnt 0x1
	v_sub_f32_e32 v4, v14, v4
	s_delay_alu instid0(VALU_DEP_1) | instskip(SKIP_1) | instid1(VALU_DEP_1)
	v_mul_f32_e32 v4, v6, v4
	s_wait_dscnt 0x0
	v_fmac_f32_e32 v10, v4, v3
	ds_bpermute_b32 v4, v1, v55 offset:20
	ds_bpermute_b32 v3, v1, v88 offset:20
	;; [unrolled: 8-line block ×4, first 2 shown]
	v_add_f32_e32 v55, v9, v2
	s_wait_dscnt 0x1
	v_sub_f32_e32 v4, v17, v4
	s_delay_alu instid0(VALU_DEP_1) | instskip(SKIP_1) | instid1(VALU_DEP_1)
	v_mul_f32_e32 v4, v9, v4
	s_wait_dscnt 0x0
	v_fmac_f32_e32 v10, v4, v3
.LBB115_75:                             ;   in Loop: Header=BB115_53 Depth=1
	s_wait_alu 0xfffe
	s_and_b32 vcc_lo, exec_lo, s2
	s_wait_alu 0xfffe
	s_cbranch_vccz .LBB115_81
; %bb.76:                               ;   in Loop: Header=BB115_53 Depth=1
	s_load_b32 s2, s[8:9], 0x0
	v_dual_mov_b32 v4, 0 :: v_dual_mov_b32 v5, 0
	s_wait_kmcnt 0x0
	s_cmp_lt_u32 ttmp9, s2
	s_cselect_b32 s2, 12, 18
	s_wait_alu 0xfffe
	s_add_nc_u64 s[22:23], s[8:9], s[2:3]
	s_load_u16 s2, s[22:23], 0x0
	s_wait_kmcnt 0x0
	v_mad_u32_u24 v2, v48, s2, v50
	s_mov_b32 s2, exec_lo
	s_delay_alu instid0(VALU_DEP_1) | instskip(NEXT) | instid1(VALU_DEP_1)
	v_and_b32_e32 v2, 31, v2
	v_cmpx_gt_u32_e32 8, v2
	s_cbranch_execz .LBB115_80
; %bb.77:                               ;   in Loop: Header=BB115_53 Depth=1
	v_add_co_u32 v2, vcc_lo, v86, v2
	s_wait_alu 0xfffd
	v_add_co_ci_u32_e64 v3, null, 0, v87, vcc_lo
	v_dual_mov_b32 v4, 0 :: v_dual_mov_b32 v5, 0
	s_delay_alu instid0(VALU_DEP_3) | instskip(SKIP_1) | instid1(VALU_DEP_3)
	v_add_co_u32 v2, vcc_lo, 0xffffff01, v2
	s_wait_alu 0xfffd
	v_add_co_ci_u32_e64 v3, null, -1, v3, vcc_lo
	s_mov_b32 s22, exec_lo
	v_cmpx_gt_i64_e64 s[4:5], v[2:3]
	s_cbranch_execz .LBB115_79
; %bb.78:                               ;   in Loop: Header=BB115_53 Depth=1
	v_lshlrev_b64_e32 v[2:3], 2, v[2:3]
	s_delay_alu instid0(VALU_DEP_1) | instskip(SKIP_1) | instid1(VALU_DEP_2)
	v_add_co_u32 v4, vcc_lo, s12, v2
	s_wait_alu 0xfffd
	v_add_co_ci_u32_e64 v5, null, s13, v3, vcc_lo
	v_add_co_u32 v2, vcc_lo, s14, v2
	s_wait_alu 0xfffd
	v_add_co_ci_u32_e64 v3, null, s15, v3, vcc_lo
	global_load_b32 v4, v[4:5], off
	global_load_b32 v5, v[2:3], off
.LBB115_79:                             ;   in Loop: Header=BB115_53 Depth=1
	s_wait_alu 0xfffe
	s_or_b32 exec_lo, exec_lo, s22
.LBB115_80:                             ;   in Loop: Header=BB115_53 Depth=1
	s_wait_alu 0xfffe
	s_or_b32 exec_lo, exec_lo, s2
	v_add_co_u32 v2, vcc_lo, v51, v18
	s_wait_alu 0xfffd
	v_add_co_ci_u32_e64 v3, null, v52, v19, vcc_lo
	s_wait_loadcnt 0x1
	ds_bpermute_b32 v88, v1, v4
	global_load_u16 v2, v[2:3], off
	s_wait_loadcnt 0x0
	v_lshlrev_b32_e32 v6, 16, v2
	v_add_co_u32 v2, vcc_lo, v53, v18
	s_wait_alu 0xfffd
	v_add_co_ci_u32_e64 v3, null, v54, v19, vcc_lo
	global_load_u16 v2, v[2:3], off
	s_wait_loadcnt 0x0
	v_lshlrev_b32_e32 v7, 16, v2
	v_add_co_u32 v2, vcc_lo, v20, v18
	s_wait_alu 0xfffd
	v_add_co_ci_u32_e64 v3, null, v21, v19, vcc_lo
	s_wait_dscnt 0x0
	v_sub_f32_e32 v7, v7, v88
	global_load_u16 v2, v[2:3], off
	v_mul_f32_e32 v7, v7, v6
	s_wait_loadcnt 0x0
	v_lshlrev_b32_e32 v8, 16, v2
	v_add_co_u32 v2, vcc_lo, v34, v18
	s_wait_alu 0xfffd
	v_add_co_ci_u32_e64 v3, null, v35, v19, vcc_lo
	global_load_u16 v2, v[2:3], off
	s_wait_loadcnt 0x0
	v_lshlrev_b32_e32 v9, 16, v2
	v_add_co_u32 v2, vcc_lo, v22, v18
	s_wait_alu 0xfffd
	v_add_co_ci_u32_e64 v3, null, v23, v19, vcc_lo
	global_load_u16 v2, v[2:3], off
	;; [unrolled: 6-line block ×13, first 2 shown]
	ds_bpermute_b32 v3, v1, v5
	s_wait_dscnt 0x0
	v_fmac_f32_e32 v84, v7, v3
	ds_bpermute_b32 v7, v1, v4 offset:4
	v_add_f32_e32 v3, v85, v6
	ds_bpermute_b32 v6, v1, v5 offset:4
	s_wait_dscnt 0x1
	v_sub_f32_e32 v7, v9, v7
	v_add_f32_e32 v3, v3, v8
	s_delay_alu instid0(VALU_DEP_2) | instskip(NEXT) | instid1(VALU_DEP_2)
	v_mul_f32_e32 v7, v7, v8
	v_add_f32_e32 v3, v3, v10
	s_wait_dscnt 0x0
	s_delay_alu instid0(VALU_DEP_2)
	v_fmac_f32_e32 v84, v7, v6
	ds_bpermute_b32 v7, v1, v4 offset:8
	ds_bpermute_b32 v6, v1, v5 offset:8
	v_add_f32_e32 v3, v3, v12
	s_wait_dscnt 0x1
	v_sub_f32_e32 v7, v11, v7
	s_delay_alu instid0(VALU_DEP_2) | instskip(NEXT) | instid1(VALU_DEP_2)
	v_add_f32_e32 v3, v3, v14
	v_mul_f32_e32 v7, v7, v10
	s_wait_dscnt 0x0
	s_delay_alu instid0(VALU_DEP_1)
	v_fmac_f32_e32 v84, v7, v6
	ds_bpermute_b32 v7, v1, v4 offset:12
	ds_bpermute_b32 v6, v1, v5 offset:12
	s_wait_dscnt 0x1
	v_sub_f32_e32 v7, v13, v7
	v_add_f32_e32 v3, v3, v16
	s_delay_alu instid0(VALU_DEP_2) | instskip(NEXT) | instid1(VALU_DEP_2)
	v_mul_f32_e32 v7, v7, v12
	v_add_f32_e32 v3, v3, v55
	s_wait_dscnt 0x0
	s_delay_alu instid0(VALU_DEP_2) | instskip(SKIP_4) | instid1(VALU_DEP_1)
	v_fmac_f32_e32 v84, v7, v6
	ds_bpermute_b32 v7, v1, v4 offset:16
	ds_bpermute_b32 v6, v1, v5 offset:16
	s_wait_dscnt 0x1
	v_sub_f32_e32 v7, v15, v7
	v_mul_f32_e32 v7, v7, v14
	s_wait_dscnt 0x0
	s_delay_alu instid0(VALU_DEP_1) | instskip(SKIP_4) | instid1(VALU_DEP_1)
	v_fmac_f32_e32 v84, v7, v6
	ds_bpermute_b32 v7, v1, v4 offset:20
	ds_bpermute_b32 v6, v1, v5 offset:20
	s_wait_dscnt 0x1
	v_sub_f32_e32 v7, v17, v7
	v_mul_f32_e32 v7, v7, v16
	s_wait_dscnt 0x0
	s_delay_alu instid0(VALU_DEP_1)
	v_fmac_f32_e32 v84, v7, v6
	ds_bpermute_b32 v7, v1, v4 offset:24
	ds_bpermute_b32 v4, v1, v4 offset:28
	;; [unrolled: 1-line block ×4, first 2 shown]
	s_wait_dscnt 0x3
	v_sub_f32_e32 v7, v86, v7
	s_delay_alu instid0(VALU_DEP_1) | instskip(SKIP_2) | instid1(VALU_DEP_2)
	v_mul_f32_e32 v7, v7, v55
	v_add_f32_e32 v55, v3, v87
	s_wait_dscnt 0x1
	v_fmac_f32_e32 v84, v7, v6
	s_wait_loadcnt 0x0
	v_lshlrev_b32_e32 v2, 16, v2
	s_delay_alu instid0(VALU_DEP_1) | instskip(NEXT) | instid1(VALU_DEP_1)
	v_sub_f32_e32 v2, v2, v4
	v_mul_f32_e32 v2, v2, v87
	s_wait_dscnt 0x0
	s_delay_alu instid0(VALU_DEP_1) | instskip(NEXT) | instid1(VALU_DEP_1)
	v_fmac_f32_e32 v84, v2, v5
	v_mov_b32_e32 v10, v84
.LBB115_81:                             ;   in Loop: Header=BB115_53 Depth=1
	v_add_co_u32 v51, vcc_lo, v51, s10
	s_wait_alu 0xfffd
	v_add_co_ci_u32_e64 v52, null, s11, v52, vcc_lo
	v_add_co_u32 v53, vcc_lo, v53, s10
	s_wait_alu 0xfffd
	v_add_co_ci_u32_e64 v54, null, s11, v54, vcc_lo
	;; [unrolled: 3-line block ×27, first 2 shown]
	v_add_co_u32 v78, vcc_lo, v78, s10
	s_add_nc_u64 s[16:17], s[16:17], s[18:19]
	s_wait_alu 0xfffd
	v_add_co_ci_u32_e64 v79, null, s11, v79, vcc_lo
	v_add_co_u32 v80, vcc_lo, v80, s10
	s_wait_alu 0xfffe
	v_cmp_ge_i64_e64 s2, s[16:17], s[4:5]
	s_wait_alu 0xfffd
	v_add_co_ci_u32_e64 v81, null, s11, v81, vcc_lo
	v_add_co_u32 v82, vcc_lo, v82, s10
	s_wait_alu 0xfffd
	v_add_co_ci_u32_e64 v83, null, s11, v83, vcc_lo
	s_and_b32 vcc_lo, exec_lo, s2
	s_add_nc_u64 s[20:21], s[20:21], s[18:19]
	s_wait_alu 0xfffe
	s_cbranch_vccnz .LBB115_83
; %bb.82:                               ;   in Loop: Header=BB115_53 Depth=1
	v_dual_mov_b32 v85, v55 :: v_dual_mov_b32 v84, v10
	s_branch .LBB115_53
.LBB115_83:
	v_and_b32_e32 v2, 0x3ff, v0
	v_bfe_u32 v1, v0, 10, 10
	v_bfe_u32 v0, v0, 5, 5
	s_mov_b32 s3, 0
	s_mov_b32 s2, exec_lo
	s_delay_alu instid0(VALU_DEP_2) | instskip(NEXT) | instid1(VALU_DEP_2)
	v_mad_u32_u24 v3, v1, 33, v2
	v_add_nc_u32_e32 v0, v0, v1
	s_delay_alu instid0(VALU_DEP_2)
	v_lshl_add_u32 v1, v3, 2, 0
	ds_store_b32 v1, v10
	ds_store_b32 v1, v55 offset:4224
	s_wait_dscnt 0x0
	s_barrier_signal -1
	s_barrier_wait -1
	global_inv scope:SCOPE_SE
	v_cmpx_gt_u32_e32 32, v0
	s_cbranch_execz .LBB115_89
; %bb.84:
	v_and_b32_e32 v1, 31, v2
	v_mbcnt_lo_u32_b32 v3, -1, 0
	s_mov_b32 s2, ttmp9
	s_wait_alu 0xfffe
	s_lshl_b64 s[2:3], s[2:3], 5
	v_mad_u32_u24 v1, v1, 33, v0
	v_xor_b32_e32 v5, 16, v3
	v_xor_b32_e32 v7, 8, v3
	s_wait_alu 0xfffe
	v_or_b32_e32 v0, s2, v0
	v_cmp_eq_u32_e64 s2, 0, v2
	v_lshl_add_u32 v1, v1, 2, 0
	v_cmp_gt_i32_e32 vcc_lo, 32, v5
	ds_load_b32 v4, v1
	ds_load_b32 v1, v1 offset:4224
	s_wait_alu 0xfffd
	v_cndmask_b32_e32 v5, v3, v5, vcc_lo
	v_cmp_gt_i32_e32 vcc_lo, 32, v7
	s_delay_alu instid0(VALU_DEP_2) | instskip(SKIP_2) | instid1(VALU_DEP_1)
	v_lshlrev_b32_e32 v5, 2, v5
	s_wait_alu 0xfffd
	v_cndmask_b32_e32 v7, v3, v7, vcc_lo
	v_lshlrev_b32_e32 v7, 2, v7
	s_wait_dscnt 0x1
	ds_bpermute_b32 v6, v5, v4
	s_wait_dscnt 0x1
	ds_bpermute_b32 v5, v5, v1
	s_wait_dscnt 0x0
	v_dual_add_f32 v4, v4, v6 :: v_dual_add_f32 v1, v1, v5
	ds_bpermute_b32 v5, v7, v4
	ds_bpermute_b32 v6, v7, v1
	v_xor_b32_e32 v7, 4, v3
	s_delay_alu instid0(VALU_DEP_1) | instskip(SKIP_3) | instid1(VALU_DEP_1)
	v_cmp_gt_i32_e32 vcc_lo, 32, v7
	s_wait_alu 0xfffd
	v_cndmask_b32_e32 v7, v3, v7, vcc_lo
	s_wait_dscnt 0x1
	v_dual_add_f32 v4, v4, v5 :: v_dual_lshlrev_b32 v7, 2, v7
	s_wait_dscnt 0x0
	v_add_f32_e32 v1, v1, v6
	ds_bpermute_b32 v5, v7, v4
	ds_bpermute_b32 v6, v7, v1
	v_xor_b32_e32 v7, 2, v3
	s_delay_alu instid0(VALU_DEP_1) | instskip(SKIP_3) | instid1(VALU_DEP_1)
	v_cmp_gt_i32_e32 vcc_lo, 32, v7
	s_wait_alu 0xfffd
	v_cndmask_b32_e32 v7, v3, v7, vcc_lo
	s_wait_dscnt 0x1
	v_dual_add_f32 v4, v4, v5 :: v_dual_lshlrev_b32 v7, 2, v7
	s_wait_dscnt 0x0
	v_add_f32_e32 v1, v1, v6
	ds_bpermute_b32 v5, v7, v4
	ds_bpermute_b32 v6, v7, v1
	v_xor_b32_e32 v7, 1, v3
	s_delay_alu instid0(VALU_DEP_1) | instskip(SKIP_2) | instid1(VALU_DEP_1)
	v_cmp_gt_i32_e32 vcc_lo, 32, v7
	s_wait_alu 0xfffd
	v_cndmask_b32_e32 v3, v3, v7, vcc_lo
	v_lshlrev_b32_e32 v7, 2, v3
	s_wait_dscnt 0x1
	v_add_f32_e32 v5, v4, v5
	s_wait_dscnt 0x0
	v_add_f32_e32 v3, v1, v6
	v_mov_b32_e32 v1, s3
	ds_bpermute_b32 v6, v7, v5
	ds_bpermute_b32 v4, v7, v3
	v_cmp_gt_i64_e32 vcc_lo, s[6:7], v[0:1]
	s_and_b32 s2, s2, vcc_lo
	s_wait_alu 0xfffe
	s_and_b32 exec_lo, exec_lo, s2
	s_cbranch_execz .LBB115_89
; %bb.85:
	s_load_b128 s[0:3], s[0:1], 0x30
	v_lshlrev_b64_e32 v[0:1], 1, v[0:1]
	s_wait_kmcnt 0x0
	s_cmp_eq_u64 s[0:1], 0
	s_cbranch_scc1 .LBB115_87
; %bb.86:
	s_wait_dscnt 0x1
	v_add_f32_e32 v2, v5, v6
	s_delay_alu instid0(VALU_DEP_1) | instskip(SKIP_1) | instid1(VALU_DEP_2)
	v_bfe_u32 v5, v2, 16, 1
	v_cmp_o_f32_e32 vcc_lo, v2, v2
	v_add3_u32 v5, v2, v5, 0x7fff
	s_delay_alu instid0(VALU_DEP_1) | instskip(SKIP_1) | instid1(VALU_DEP_1)
	v_lshrrev_b32_e32 v5, 16, v5
	s_wait_alu 0xfffd
	v_cndmask_b32_e32 v2, 0x7fc0, v5, vcc_lo
	v_add_co_u32 v5, vcc_lo, s0, v0
	s_wait_alu 0xfffd
	v_add_co_ci_u32_e64 v6, null, s1, v1, vcc_lo
	global_store_b16 v[5:6], v2, off
.LBB115_87:
	s_cmp_eq_u64 s[2:3], 0
	s_cbranch_scc1 .LBB115_89
; %bb.88:
	s_wait_dscnt 0x0
	v_add_f32_e32 v2, v3, v4
	s_delay_alu instid0(VALU_DEP_1) | instskip(SKIP_1) | instid1(VALU_DEP_2)
	v_bfe_u32 v3, v2, 16, 1
	v_cmp_o_f32_e32 vcc_lo, v2, v2
	v_add3_u32 v3, v2, v3, 0x7fff
	s_delay_alu instid0(VALU_DEP_1) | instskip(SKIP_1) | instid1(VALU_DEP_1)
	v_lshrrev_b32_e32 v3, 16, v3
	s_wait_alu 0xfffd
	v_cndmask_b32_e32 v2, 0x7fc0, v3, vcc_lo
	v_add_co_u32 v0, vcc_lo, s2, v0
	s_wait_alu 0xfffd
	v_add_co_ci_u32_e64 v1, null, s3, v1, vcc_lo
	global_store_b16 v[0:1], v2, off
.LBB115_89:
	s_endpgm
	.section	.rodata,"a",@progbits
	.p2align	6, 0x0
	.amdhsa_kernel _ZN2at6native12_GLOBAL__N_135GammaBetaBackwardCUDAKernelTemplateIN3c108BFloat16EfLj32ELj32ELj256ELb0ELb0ELb0EEEvllPKT_S7_PKT0_SA_PS5_SB_
		.amdhsa_group_segment_fixed_size 0
		.amdhsa_private_segment_fixed_size 0
		.amdhsa_kernarg_size 320
		.amdhsa_user_sgpr_count 2
		.amdhsa_user_sgpr_dispatch_ptr 0
		.amdhsa_user_sgpr_queue_ptr 0
		.amdhsa_user_sgpr_kernarg_segment_ptr 1
		.amdhsa_user_sgpr_dispatch_id 0
		.amdhsa_user_sgpr_private_segment_size 0
		.amdhsa_wavefront_size32 1
		.amdhsa_uses_dynamic_stack 0
		.amdhsa_enable_private_segment 0
		.amdhsa_system_sgpr_workgroup_id_x 1
		.amdhsa_system_sgpr_workgroup_id_y 1
		.amdhsa_system_sgpr_workgroup_id_z 0
		.amdhsa_system_sgpr_workgroup_info 0
		.amdhsa_system_vgpr_workitem_id 1
		.amdhsa_next_free_vgpr 93
		.amdhsa_next_free_sgpr 36
		.amdhsa_reserve_vcc 1
		.amdhsa_float_round_mode_32 0
		.amdhsa_float_round_mode_16_64 0
		.amdhsa_float_denorm_mode_32 3
		.amdhsa_float_denorm_mode_16_64 3
		.amdhsa_fp16_overflow 0
		.amdhsa_workgroup_processor_mode 1
		.amdhsa_memory_ordered 1
		.amdhsa_forward_progress 1
		.amdhsa_inst_pref_size 83
		.amdhsa_round_robin_scheduling 0
		.amdhsa_exception_fp_ieee_invalid_op 0
		.amdhsa_exception_fp_denorm_src 0
		.amdhsa_exception_fp_ieee_div_zero 0
		.amdhsa_exception_fp_ieee_overflow 0
		.amdhsa_exception_fp_ieee_underflow 0
		.amdhsa_exception_fp_ieee_inexact 0
		.amdhsa_exception_int_div_zero 0
	.end_amdhsa_kernel
	.section	.text._ZN2at6native12_GLOBAL__N_135GammaBetaBackwardCUDAKernelTemplateIN3c108BFloat16EfLj32ELj32ELj256ELb0ELb0ELb0EEEvllPKT_S7_PKT0_SA_PS5_SB_,"axG",@progbits,_ZN2at6native12_GLOBAL__N_135GammaBetaBackwardCUDAKernelTemplateIN3c108BFloat16EfLj32ELj32ELj256ELb0ELb0ELb0EEEvllPKT_S7_PKT0_SA_PS5_SB_,comdat
.Lfunc_end115:
	.size	_ZN2at6native12_GLOBAL__N_135GammaBetaBackwardCUDAKernelTemplateIN3c108BFloat16EfLj32ELj32ELj256ELb0ELb0ELb0EEEvllPKT_S7_PKT0_SA_PS5_SB_, .Lfunc_end115-_ZN2at6native12_GLOBAL__N_135GammaBetaBackwardCUDAKernelTemplateIN3c108BFloat16EfLj32ELj32ELj256ELb0ELb0ELb0EEEvllPKT_S7_PKT0_SA_PS5_SB_
                                        ; -- End function
	.set _ZN2at6native12_GLOBAL__N_135GammaBetaBackwardCUDAKernelTemplateIN3c108BFloat16EfLj32ELj32ELj256ELb0ELb0ELb0EEEvllPKT_S7_PKT0_SA_PS5_SB_.num_vgpr, 93
	.set _ZN2at6native12_GLOBAL__N_135GammaBetaBackwardCUDAKernelTemplateIN3c108BFloat16EfLj32ELj32ELj256ELb0ELb0ELb0EEEvllPKT_S7_PKT0_SA_PS5_SB_.num_agpr, 0
	.set _ZN2at6native12_GLOBAL__N_135GammaBetaBackwardCUDAKernelTemplateIN3c108BFloat16EfLj32ELj32ELj256ELb0ELb0ELb0EEEvllPKT_S7_PKT0_SA_PS5_SB_.numbered_sgpr, 36
	.set _ZN2at6native12_GLOBAL__N_135GammaBetaBackwardCUDAKernelTemplateIN3c108BFloat16EfLj32ELj32ELj256ELb0ELb0ELb0EEEvllPKT_S7_PKT0_SA_PS5_SB_.num_named_barrier, 0
	.set _ZN2at6native12_GLOBAL__N_135GammaBetaBackwardCUDAKernelTemplateIN3c108BFloat16EfLj32ELj32ELj256ELb0ELb0ELb0EEEvllPKT_S7_PKT0_SA_PS5_SB_.private_seg_size, 0
	.set _ZN2at6native12_GLOBAL__N_135GammaBetaBackwardCUDAKernelTemplateIN3c108BFloat16EfLj32ELj32ELj256ELb0ELb0ELb0EEEvllPKT_S7_PKT0_SA_PS5_SB_.uses_vcc, 1
	.set _ZN2at6native12_GLOBAL__N_135GammaBetaBackwardCUDAKernelTemplateIN3c108BFloat16EfLj32ELj32ELj256ELb0ELb0ELb0EEEvllPKT_S7_PKT0_SA_PS5_SB_.uses_flat_scratch, 0
	.set _ZN2at6native12_GLOBAL__N_135GammaBetaBackwardCUDAKernelTemplateIN3c108BFloat16EfLj32ELj32ELj256ELb0ELb0ELb0EEEvllPKT_S7_PKT0_SA_PS5_SB_.has_dyn_sized_stack, 0
	.set _ZN2at6native12_GLOBAL__N_135GammaBetaBackwardCUDAKernelTemplateIN3c108BFloat16EfLj32ELj32ELj256ELb0ELb0ELb0EEEvllPKT_S7_PKT0_SA_PS5_SB_.has_recursion, 0
	.set _ZN2at6native12_GLOBAL__N_135GammaBetaBackwardCUDAKernelTemplateIN3c108BFloat16EfLj32ELj32ELj256ELb0ELb0ELb0EEEvllPKT_S7_PKT0_SA_PS5_SB_.has_indirect_call, 0
	.section	.AMDGPU.csdata,"",@progbits
; Kernel info:
; codeLenInByte = 10548
; TotalNumSgprs: 38
; NumVgprs: 93
; ScratchSize: 0
; MemoryBound: 0
; FloatMode: 240
; IeeeMode: 1
; LDSByteSize: 0 bytes/workgroup (compile time only)
; SGPRBlocks: 0
; VGPRBlocks: 11
; NumSGPRsForWavesPerEU: 38
; NumVGPRsForWavesPerEU: 93
; Occupancy: 16
; WaveLimiterHint : 0
; COMPUTE_PGM_RSRC2:SCRATCH_EN: 0
; COMPUTE_PGM_RSRC2:USER_SGPR: 2
; COMPUTE_PGM_RSRC2:TRAP_HANDLER: 0
; COMPUTE_PGM_RSRC2:TGID_X_EN: 1
; COMPUTE_PGM_RSRC2:TGID_Y_EN: 1
; COMPUTE_PGM_RSRC2:TGID_Z_EN: 0
; COMPUTE_PGM_RSRC2:TIDIG_COMP_CNT: 1
	.section	.text._ZN2at6native12_GLOBAL__N_118cuComputeGradInputIddLb1EEEvPKT_S5_llPKT0_S8_S5_PS3_,"axG",@progbits,_ZN2at6native12_GLOBAL__N_118cuComputeGradInputIddLb1EEEvPKT_S5_llPKT0_S8_S5_PS3_,comdat
	.globl	_ZN2at6native12_GLOBAL__N_118cuComputeGradInputIddLb1EEEvPKT_S5_llPKT0_S8_S5_PS3_ ; -- Begin function _ZN2at6native12_GLOBAL__N_118cuComputeGradInputIddLb1EEEvPKT_S5_llPKT0_S8_S5_PS3_
	.p2align	8
	.type	_ZN2at6native12_GLOBAL__N_118cuComputeGradInputIddLb1EEEvPKT_S5_llPKT0_S8_S5_PS3_,@function
_ZN2at6native12_GLOBAL__N_118cuComputeGradInputIddLb1EEEvPKT_S5_llPKT0_S8_S5_PS3_: ; @_ZN2at6native12_GLOBAL__N_118cuComputeGradInputIddLb1EEEvPKT_S5_llPKT0_S8_S5_PS3_
; %bb.0:
	s_load_b128 s[8:11], s[0:1], 0x10
	s_mov_b32 s4, ttmp7
	s_ashr_i32 s5, ttmp7, 31
	s_wait_kmcnt 0x0
	v_cmp_le_i64_e64 s2, s[8:9], s[4:5]
	s_and_b32 vcc_lo, exec_lo, s2
	s_cbranch_vccnz .LBB116_47
; %bb.1:
	v_cvt_f64_i32_e32 v[1:2], s11
	v_cvt_f64_u32_e32 v[3:4], s10
	s_clause 0x2
	s_load_b32 s2, s[0:1], 0x4c
	s_load_b128 s[12:15], s[0:1], 0x30
	s_load_b32 s29, s[0:1], 0x44
	v_and_b32_e32 v19, 0x3ff, v0
	v_bfe_u32 v0, v0, 10, 10
	s_clause 0x1
	s_load_b128 s[16:19], s[0:1], 0x0
	s_load_b64 s[6:7], s[0:1], 0x28
	v_cmp_gt_i64_e64 s38, s[10:11], 0
	v_mbcnt_lo_u32_b32 v22, -1, 0
	s_mov_b32 s28, ttmp7
	v_cmp_eq_u32_e64 s0, 0, v0
	v_cmp_ne_u32_e64 s1, 0, v0
	v_cndmask_b32_e64 v20, 0, 1, s38
	s_wait_kmcnt 0x0
	s_and_b32 s31, s2, 0xffff
	s_lshr_b32 s30, s2, 16
	s_cmp_lg_u64 s[12:13], 0
	s_mul_i32 s35, s30, s31
	s_cselect_b32 s33, -1, 0
	s_cmp_gt_u32 s31, 1
	s_cselect_b32 s34, -1, 0
	s_cmp_gt_u32 s30, 1
	s_cselect_b32 s36, -1, 0
	s_ashr_i32 s37, s35, 31
	v_ldexp_f64 v[1:2], v[1:2], 32
	s_delay_alu instid0(VALU_DEP_1) | instskip(NEXT) | instid1(VALU_DEP_1)
	v_add_f64_e32 v[1:2], v[1:2], v[3:4]
	v_div_scale_f64 v[3:4], null, v[1:2], v[1:2], 1.0
	s_delay_alu instid0(VALU_DEP_1) | instskip(NEXT) | instid1(TRANS32_DEP_1)
	v_rcp_f64_e32 v[5:6], v[3:4]
	v_fma_f64 v[7:8], -v[3:4], v[5:6], 1.0
	s_delay_alu instid0(VALU_DEP_1) | instskip(NEXT) | instid1(VALU_DEP_1)
	v_fma_f64 v[5:6], v[5:6], v[7:8], v[5:6]
	v_fma_f64 v[7:8], -v[3:4], v[5:6], 1.0
	s_delay_alu instid0(VALU_DEP_1) | instskip(SKIP_1) | instid1(VALU_DEP_1)
	v_fma_f64 v[5:6], v[5:6], v[7:8], v[5:6]
	v_div_scale_f64 v[7:8], vcc_lo, 1.0, v[1:2], 1.0
	v_mul_f64_e32 v[9:10], v[7:8], v[5:6]
	s_delay_alu instid0(VALU_DEP_1) | instskip(NEXT) | instid1(VALU_DEP_1)
	v_fma_f64 v[3:4], -v[3:4], v[9:10], v[7:8]
	v_div_fmas_f64 v[3:4], v[3:4], v[5:6], v[9:10]
	v_mov_b32_e32 v6, 0
	v_mad_u32_u24 v5, v0, s31, v19
	v_lshlrev_b32_e32 v10, 4, v19
	s_delay_alu instid0(VALU_DEP_2) | instskip(SKIP_2) | instid1(VALU_DEP_4)
	v_add_nc_u32_e32 v7, s35, v5
	v_lshlrev_b32_e32 v9, 4, v5
	v_cmp_gt_i64_e64 s2, s[10:11], v[5:6]
	v_add_nc_u32_e32 v23, 0, v10
	s_delay_alu instid0(VALU_DEP_4) | instskip(SKIP_3) | instid1(VALU_DEP_3)
	v_ashrrev_i32_e32 v8, 31, v7
	v_sub_co_u32 v7, vcc_lo, v7, s35
	v_add_nc_u32_e32 v21, 0, v9
	s_wait_alu 0xfffd
	v_subrev_co_ci_u32_e64 v8, null, s37, v8, vcc_lo
	v_div_fixup_f64 v[3:4], v[3:4], v[1:2], 1.0
	s_branch .LBB116_4
.LBB116_2:                              ;   in Loop: Header=BB116_4 Depth=1
	s_or_b32 exec_lo, exec_lo, s26
.LBB116_3:                              ;   in Loop: Header=BB116_4 Depth=1
	s_add_co_i32 s4, s29, s28
	s_wait_storecnt 0x0
	s_wait_loadcnt_dscnt 0x0
	s_wait_alu 0xfffe
	s_ashr_i32 s5, s4, 31
	s_mov_b32 s28, s4
	s_wait_alu 0xfffe
	v_cmp_le_i64_e64 s3, s[8:9], s[4:5]
	s_barrier_signal -1
	s_barrier_wait -1
	global_inv scope:SCOPE_SE
	s_and_b32 vcc_lo, exec_lo, s3
	s_wait_alu 0xfffe
	s_cbranch_vccnz .LBB116_47
.LBB116_4:                              ; =>This Loop Header: Depth=1
                                        ;     Child Loop BB116_8 Depth 2
                                        ;     Child Loop BB116_19 Depth 2
	;; [unrolled: 1-line block ×6, first 2 shown]
	s_lshl_b64 s[20:21], s[4:5], 3
	s_mul_u64 s[4:5], s[4:5], s[10:11]
	s_wait_alu 0xfffe
	s_add_nc_u64 s[20:21], s[6:7], s[20:21]
	v_cmp_ne_u32_e64 s3, 1, v20
	s_load_b64 s[20:21], s[20:21], 0x0
	s_lshl_b64 s[26:27], s[4:5], 3
	s_and_not1_b32 vcc_lo, exec_lo, s33
	s_add_nc_u64 s[22:23], s[18:19], s[26:27]
	s_add_nc_u64 s[24:25], s[16:17], s[26:27]
	s_mov_b32 s4, -1
                                        ; implicit-def: $vgpr9_vgpr10
	s_wait_alu 0xfffe
	s_cbranch_vccnz .LBB116_15
; %bb.5:                                ;   in Loop: Header=BB116_4 Depth=1
	v_mov_b32_e32 v9, 0
	v_mov_b32_e32 v10, 0
	s_and_b32 vcc_lo, exec_lo, s3
	s_wait_alu 0xfffe
	s_cbranch_vccnz .LBB116_14
; %bb.6:                                ;   in Loop: Header=BB116_4 Depth=1
	s_mov_b32 s4, 0
	s_branch .LBB116_8
.LBB116_7:                              ;   in Loop: Header=BB116_8 Depth=2
	s_wait_alu 0xfffe
	s_or_b32 exec_lo, exec_lo, s3
	s_wait_loadcnt 0x0
	v_mul_f64_e32 v[11:12], v[11:12], v[17:18]
	s_add_co_i32 s4, s4, s35
	s_wait_alu 0xfffe
	s_ashr_i32 s5, s4, 31
	s_wait_alu 0xfffe
	v_cmp_le_i64_e64 s3, s[10:11], s[4:5]
	s_and_b32 vcc_lo, exec_lo, s3
	v_mul_f64_e32 v[11:12], v[15:16], v[11:12]
	s_wait_kmcnt 0x0
	s_delay_alu instid0(VALU_DEP_1)
	v_fma_f64 v[9:10], s[20:21], v[11:12], v[9:10]
	s_wait_alu 0xfffe
	s_cbranch_vccnz .LBB116_14
.LBB116_8:                              ;   Parent Loop BB116_4 Depth=1
                                        ; =>  This Inner Loop Header: Depth=2
	s_wait_alu 0xfffe
	v_add_nc_u32_e32 v11, s4, v5
	s_delay_alu instid0(VALU_DEP_1) | instskip(NEXT) | instid1(VALU_DEP_1)
	v_ashrrev_i32_e32 v12, 31, v11
	v_cmp_gt_i64_e32 vcc_lo, s[10:11], v[11:12]
	v_lshlrev_b64_e32 v[13:14], 3, v[11:12]
	v_mov_b32_e32 v11, 0
	v_mov_b32_e32 v12, 0
	s_and_saveexec_b32 s5, vcc_lo
	s_cbranch_execz .LBB116_10
; %bb.9:                                ;   in Loop: Header=BB116_8 Depth=2
	s_delay_alu instid0(VALU_DEP_3)
	v_add_co_u32 v11, s3, s12, v13
	s_wait_alu 0xf1ff
	v_add_co_ci_u32_e64 v12, null, s13, v14, s3
	global_load_b64 v[11:12], v[11:12], off
.LBB116_10:                             ;   in Loop: Header=BB116_8 Depth=2
	s_wait_alu 0xfffe
	s_or_b32 exec_lo, exec_lo, s5
	v_mov_b32_e32 v17, 0
	v_dual_mov_b32 v18, 0 :: v_dual_mov_b32 v15, 0
	v_mov_b32_e32 v16, 0
	s_and_saveexec_b32 s5, vcc_lo
	s_cbranch_execz .LBB116_12
; %bb.11:                               ;   in Loop: Header=BB116_8 Depth=2
	v_add_co_u32 v15, s3, s22, v13
	s_wait_alu 0xf1ff
	v_add_co_ci_u32_e64 v16, null, s23, v14, s3
	global_load_b64 v[15:16], v[15:16], off
.LBB116_12:                             ;   in Loop: Header=BB116_8 Depth=2
	s_wait_alu 0xfffe
	s_or_b32 exec_lo, exec_lo, s5
	s_and_saveexec_b32 s3, vcc_lo
	s_cbranch_execz .LBB116_7
; %bb.13:                               ;   in Loop: Header=BB116_8 Depth=2
	v_add_co_u32 v13, vcc_lo, s24, v13
	s_wait_alu 0xfffd
	v_add_co_ci_u32_e64 v14, null, s25, v14, vcc_lo
	global_load_b64 v[17:18], v[13:14], off
	s_branch .LBB116_7
.LBB116_14:                             ;   in Loop: Header=BB116_4 Depth=1
	s_mov_b32 s4, 0
.LBB116_15:                             ;   in Loop: Header=BB116_4 Depth=1
	s_wait_alu 0xfffe
	s_and_not1_b32 vcc_lo, exec_lo, s4
	s_wait_alu 0xfffe
	s_cbranch_vccnz .LBB116_23
; %bb.16:                               ;   in Loop: Header=BB116_4 Depth=1
	v_mov_b32_e32 v9, 0
	v_mov_b32_e32 v10, 0
	s_and_not1_b32 vcc_lo, exec_lo, s38
	s_wait_alu 0xfffe
	s_cbranch_vccnz .LBB116_23
; %bb.17:                               ;   in Loop: Header=BB116_4 Depth=1
	s_mov_b32 s4, 0
	s_branch .LBB116_19
.LBB116_18:                             ;   in Loop: Header=BB116_19 Depth=2
	s_wait_alu 0xfffe
	s_or_b32 exec_lo, exec_lo, s3
	s_wait_loadcnt 0x0
	v_mul_f64_e32 v[11:12], v[11:12], v[15:16]
	s_add_co_i32 s4, s4, s35
	s_wait_alu 0xfffe
	s_ashr_i32 s5, s4, 31
	s_wait_alu 0xfffe
	v_cmp_le_i64_e64 s3, s[10:11], s[4:5]
	s_and_b32 vcc_lo, exec_lo, s3
	s_wait_kmcnt 0x0
	v_fma_f64 v[9:10], s[20:21], v[11:12], v[9:10]
	s_wait_alu 0xfffe
	s_cbranch_vccnz .LBB116_23
.LBB116_19:                             ;   Parent Loop BB116_4 Depth=1
                                        ; =>  This Inner Loop Header: Depth=2
	s_wait_alu 0xfffe
	v_add_nc_u32_e32 v11, s4, v5
	s_delay_alu instid0(VALU_DEP_1) | instskip(NEXT) | instid1(VALU_DEP_1)
	v_ashrrev_i32_e32 v12, 31, v11
	v_cmp_gt_i64_e32 vcc_lo, s[10:11], v[11:12]
	v_lshlrev_b64_e32 v[13:14], 3, v[11:12]
	v_mov_b32_e32 v11, 0
	v_mov_b32_e32 v12, 0
	s_and_saveexec_b32 s5, vcc_lo
	s_cbranch_execz .LBB116_21
; %bb.20:                               ;   in Loop: Header=BB116_19 Depth=2
	s_delay_alu instid0(VALU_DEP_3)
	v_add_co_u32 v11, s3, s22, v13
	s_wait_alu 0xf1ff
	v_add_co_ci_u32_e64 v12, null, s23, v14, s3
	global_load_b64 v[11:12], v[11:12], off
.LBB116_21:                             ;   in Loop: Header=BB116_19 Depth=2
	s_wait_alu 0xfffe
	s_or_b32 exec_lo, exec_lo, s5
	v_mov_b32_e32 v15, 0
	v_mov_b32_e32 v16, 0
	s_and_saveexec_b32 s3, vcc_lo
	s_cbranch_execz .LBB116_18
; %bb.22:                               ;   in Loop: Header=BB116_19 Depth=2
	v_add_co_u32 v13, vcc_lo, s24, v13
	s_wait_alu 0xfffd
	v_add_co_ci_u32_e64 v14, null, s25, v14, vcc_lo
	global_load_b64 v[15:16], v[13:14], off
	s_branch .LBB116_18
.LBB116_23:                             ;   in Loop: Header=BB116_4 Depth=1
	s_and_not1_b32 vcc_lo, exec_lo, s34
	s_wait_alu 0xfffe
	s_cbranch_vccnz .LBB116_26
; %bb.24:                               ;   in Loop: Header=BB116_4 Depth=1
	s_mov_b32 s3, s31
.LBB116_25:                             ;   Parent Loop BB116_4 Depth=1
                                        ; =>  This Inner Loop Header: Depth=2
	s_wait_alu 0xfffe
	s_lshr_b32 s4, s3, 1
	s_cmp_lt_u32 s3, 4
	s_wait_alu 0xfffe
	v_xor_b32_e32 v11, s4, v22
	s_mov_b32 s3, s4
	s_delay_alu instid0(VALU_DEP_1) | instskip(SKIP_2) | instid1(VALU_DEP_1)
	v_cmp_gt_i32_e32 vcc_lo, 32, v11
	s_wait_alu 0xfffd
	v_cndmask_b32_e32 v11, v22, v11, vcc_lo
	v_lshlrev_b32_e32 v12, 2, v11
	ds_bpermute_b32 v11, v12, v9
	ds_bpermute_b32 v12, v12, v10
	s_wait_dscnt 0x0
	v_add_f64_e32 v[9:10], v[9:10], v[11:12]
	s_cbranch_scc0 .LBB116_25
.LBB116_26:                             ;   in Loop: Header=BB116_4 Depth=1
	s_and_not1_b32 vcc_lo, exec_lo, s36
	s_mov_b32 s5, s30
	s_wait_alu 0xfffe
	s_cbranch_vccnz .LBB116_38
.LBB116_27:                             ;   Parent Loop BB116_4 Depth=1
                                        ; =>  This Inner Loop Header: Depth=2
	s_wait_alu 0xfffe
	s_lshr_b32 s39, s5, 1
	s_and_b32 s4, s5, 0xfffe
	s_wait_alu 0xfffe
	v_cmp_le_u32_e64 s3, s39, v0
	v_cmp_gt_u32_e64 s4, s4, v0
	v_cmp_gt_u32_e32 vcc_lo, s39, v0
	s_and_b32 s4, s3, s4
	s_wait_alu 0xfffe
	s_and_saveexec_b32 s3, s4
	s_cbranch_execz .LBB116_29
; %bb.28:                               ;   in Loop: Header=BB116_27 Depth=2
	v_subrev_nc_u32_e32 v11, s39, v0
	s_delay_alu instid0(VALU_DEP_1) | instskip(NEXT) | instid1(VALU_DEP_1)
	v_mad_u32_u24 v11, v11, s31, v19
	v_lshl_add_u32 v11, v11, 4, 0
	ds_store_b64 v11, v[9:10] offset:8
.LBB116_29:                             ;   in Loop: Header=BB116_27 Depth=2
	s_wait_alu 0xfffe
	s_or_b32 exec_lo, exec_lo, s3
	s_wait_dscnt 0x0
	s_barrier_signal -1
	s_barrier_wait -1
	global_inv scope:SCOPE_SE
	s_and_saveexec_b32 s3, vcc_lo
	s_cbranch_execz .LBB116_31
; %bb.30:                               ;   in Loop: Header=BB116_27 Depth=2
	ds_load_b64 v[11:12], v21 offset:8
	s_wait_dscnt 0x0
	v_add_f64_e32 v[9:10], v[9:10], v[11:12]
.LBB116_31:                             ;   in Loop: Header=BB116_27 Depth=2
	s_wait_alu 0xfffe
	s_or_b32 exec_lo, exec_lo, s3
	s_cmp_lt_u32 s5, 4
	s_wait_loadcnt 0x0
	s_barrier_signal -1
	s_barrier_wait -1
	global_inv scope:SCOPE_SE
	s_cbranch_scc1 .LBB116_33
; %bb.32:                               ;   in Loop: Header=BB116_27 Depth=2
	s_mov_b32 s5, s39
	s_branch .LBB116_27
.LBB116_33:                             ;   in Loop: Header=BB116_4 Depth=1
	s_and_saveexec_b32 s3, s0
; %bb.34:                               ;   in Loop: Header=BB116_4 Depth=1
	ds_store_b64 v23, v[9:10] offset:8
; %bb.35:                               ;   in Loop: Header=BB116_4 Depth=1
	s_wait_alu 0xfffe
	s_or_b32 exec_lo, exec_lo, s3
	s_wait_loadcnt_dscnt 0x0
	s_barrier_signal -1
	s_barrier_wait -1
	global_inv scope:SCOPE_SE
	s_and_saveexec_b32 s3, s1
; %bb.36:                               ;   in Loop: Header=BB116_4 Depth=1
	ds_load_b64 v[9:10], v23 offset:8
; %bb.37:                               ;   in Loop: Header=BB116_4 Depth=1
	s_wait_alu 0xfffe
	s_or_b32 exec_lo, exec_lo, s3
.LBB116_38:                             ;   in Loop: Header=BB116_4 Depth=1
	s_wait_kmcnt 0x0
	v_mul_f64_e32 v[11:12], s[20:21], v[3:4]
	s_and_not1_b32 vcc_lo, exec_lo, s33
	s_add_nc_u64 s[4:5], s[14:15], s[26:27]
	s_wait_alu 0xfffe
	s_cbranch_vccnz .LBB116_43
; %bb.39:                               ;   in Loop: Header=BB116_4 Depth=1
	s_and_saveexec_b32 s26, s2
	s_cbranch_execz .LBB116_42
; %bb.40:                               ;   in Loop: Header=BB116_4 Depth=1
	v_dual_mov_b32 v14, v8 :: v_dual_mov_b32 v13, v7
	v_dual_mov_b32 v16, v6 :: v_dual_mov_b32 v15, v5
	s_mov_b32 s27, 0
.LBB116_41:                             ;   Parent Loop BB116_4 Depth=1
                                        ; =>  This Inner Loop Header: Depth=2
	s_delay_alu instid0(VALU_DEP_1) | instskip(NEXT) | instid1(VALU_DEP_1)
	v_lshlrev_b64_e32 v[17:18], 3, v[15:16]
	v_add_co_u32 v15, vcc_lo, s22, v17
	s_wait_alu 0xfffd
	s_delay_alu instid0(VALU_DEP_2)
	v_add_co_ci_u32_e64 v16, null, s23, v18, vcc_lo
	v_add_co_u32 v24, vcc_lo, s24, v17
	s_wait_alu 0xfffd
	v_add_co_ci_u32_e64 v25, null, s25, v18, vcc_lo
	global_load_b64 v[15:16], v[15:16], off
	v_add_co_u32 v26, vcc_lo, s12, v17
	global_load_b64 v[24:25], v[24:25], off
	s_wait_alu 0xfffd
	v_add_co_ci_u32_e64 v27, null, s13, v18, vcc_lo
	v_add_co_u32 v13, vcc_lo, v13, s35
	s_wait_alu 0xfffd
	v_add_co_ci_u32_e64 v14, null, s37, v14, vcc_lo
	global_load_b64 v[26:27], v[26:27], off
	v_add_co_u32 v17, s3, s4, v17
	v_cmp_le_i64_e32 vcc_lo, s[10:11], v[13:14]
	s_wait_alu 0xf1ff
	v_add_co_ci_u32_e64 v18, null, s5, v18, s3
	s_or_b32 s27, vcc_lo, s27
	s_wait_loadcnt 0x2
	v_mul_f64_e32 v[15:16], s[20:21], v[15:16]
	s_wait_loadcnt 0x1
	v_mul_f64_e32 v[24:25], v[24:25], v[1:2]
	s_wait_dscnt 0x0
	s_delay_alu instid0(VALU_DEP_2) | instskip(SKIP_1) | instid1(VALU_DEP_1)
	v_mul_f64_e32 v[15:16], v[9:10], v[15:16]
	s_wait_loadcnt 0x0
	v_fma_f64 v[15:16], v[24:25], v[26:27], -v[15:16]
	s_delay_alu instid0(VALU_DEP_1)
	v_mul_f64_e32 v[24:25], v[11:12], v[15:16]
	v_ashrrev_i32_e32 v16, 31, v13
	v_mov_b32_e32 v15, v13
	global_store_b64 v[17:18], v[24:25], off
	s_and_not1_b32 exec_lo, exec_lo, s27
	s_cbranch_execnz .LBB116_41
.LBB116_42:                             ;   in Loop: Header=BB116_4 Depth=1
	s_or_b32 exec_lo, exec_lo, s26
	s_cbranch_execnz .LBB116_3
	s_branch .LBB116_44
.LBB116_43:                             ;   in Loop: Header=BB116_4 Depth=1
.LBB116_44:                             ;   in Loop: Header=BB116_4 Depth=1
	s_and_saveexec_b32 s26, s2
	s_cbranch_execz .LBB116_2
; %bb.45:                               ;   in Loop: Header=BB116_4 Depth=1
	v_dual_mov_b32 v14, v8 :: v_dual_mov_b32 v13, v7
	v_dual_mov_b32 v16, v6 :: v_dual_mov_b32 v15, v5
	s_mov_b32 s27, 0
.LBB116_46:                             ;   Parent Loop BB116_4 Depth=1
                                        ; =>  This Inner Loop Header: Depth=2
	s_delay_alu instid0(VALU_DEP_1) | instskip(NEXT) | instid1(VALU_DEP_1)
	v_lshlrev_b64_e32 v[17:18], 3, v[15:16]
	v_add_co_u32 v15, vcc_lo, s22, v17
	s_wait_alu 0xfffd
	s_delay_alu instid0(VALU_DEP_2)
	v_add_co_ci_u32_e64 v16, null, s23, v18, vcc_lo
	v_add_co_u32 v24, vcc_lo, s24, v17
	s_wait_alu 0xfffd
	v_add_co_ci_u32_e64 v25, null, s25, v18, vcc_lo
	global_load_b64 v[15:16], v[15:16], off
	v_add_co_u32 v13, vcc_lo, v13, s35
	global_load_b64 v[24:25], v[24:25], off
	s_wait_alu 0xfffd
	v_add_co_ci_u32_e64 v14, null, s37, v14, vcc_lo
	v_add_co_u32 v17, s3, s4, v17
	s_wait_alu 0xf1ff
	v_add_co_ci_u32_e64 v18, null, s5, v18, s3
	s_delay_alu instid0(VALU_DEP_3) | instskip(SKIP_4) | instid1(VALU_DEP_1)
	v_cmp_le_i64_e32 vcc_lo, s[10:11], v[13:14]
	s_or_b32 s27, vcc_lo, s27
	s_wait_loadcnt 0x1
	v_mul_f64_e32 v[15:16], s[20:21], v[15:16]
	s_wait_dscnt 0x0
	v_mul_f64_e32 v[15:16], v[9:10], v[15:16]
	s_wait_loadcnt 0x0
	s_delay_alu instid0(VALU_DEP_1) | instskip(NEXT) | instid1(VALU_DEP_1)
	v_fma_f64 v[15:16], v[24:25], v[1:2], -v[15:16]
	v_mul_f64_e32 v[24:25], v[11:12], v[15:16]
	v_ashrrev_i32_e32 v16, 31, v13
	v_mov_b32_e32 v15, v13
	global_store_b64 v[17:18], v[24:25], off
	s_and_not1_b32 exec_lo, exec_lo, s27
	s_cbranch_execnz .LBB116_46
	s_branch .LBB116_2
.LBB116_47:
	s_endpgm
	.section	.rodata,"a",@progbits
	.p2align	6, 0x0
	.amdhsa_kernel _ZN2at6native12_GLOBAL__N_118cuComputeGradInputIddLb1EEEvPKT_S5_llPKT0_S8_S5_PS3_
		.amdhsa_group_segment_fixed_size 0
		.amdhsa_private_segment_fixed_size 0
		.amdhsa_kernarg_size 320
		.amdhsa_user_sgpr_count 2
		.amdhsa_user_sgpr_dispatch_ptr 0
		.amdhsa_user_sgpr_queue_ptr 0
		.amdhsa_user_sgpr_kernarg_segment_ptr 1
		.amdhsa_user_sgpr_dispatch_id 0
		.amdhsa_user_sgpr_private_segment_size 0
		.amdhsa_wavefront_size32 1
		.amdhsa_uses_dynamic_stack 0
		.amdhsa_enable_private_segment 0
		.amdhsa_system_sgpr_workgroup_id_x 1
		.amdhsa_system_sgpr_workgroup_id_y 1
		.amdhsa_system_sgpr_workgroup_id_z 0
		.amdhsa_system_sgpr_workgroup_info 0
		.amdhsa_system_vgpr_workitem_id 1
		.amdhsa_next_free_vgpr 28
		.amdhsa_next_free_sgpr 40
		.amdhsa_reserve_vcc 1
		.amdhsa_float_round_mode_32 0
		.amdhsa_float_round_mode_16_64 0
		.amdhsa_float_denorm_mode_32 3
		.amdhsa_float_denorm_mode_16_64 3
		.amdhsa_fp16_overflow 0
		.amdhsa_workgroup_processor_mode 1
		.amdhsa_memory_ordered 1
		.amdhsa_forward_progress 1
		.amdhsa_inst_pref_size 16
		.amdhsa_round_robin_scheduling 0
		.amdhsa_exception_fp_ieee_invalid_op 0
		.amdhsa_exception_fp_denorm_src 0
		.amdhsa_exception_fp_ieee_div_zero 0
		.amdhsa_exception_fp_ieee_overflow 0
		.amdhsa_exception_fp_ieee_underflow 0
		.amdhsa_exception_fp_ieee_inexact 0
		.amdhsa_exception_int_div_zero 0
	.end_amdhsa_kernel
	.section	.text._ZN2at6native12_GLOBAL__N_118cuComputeGradInputIddLb1EEEvPKT_S5_llPKT0_S8_S5_PS3_,"axG",@progbits,_ZN2at6native12_GLOBAL__N_118cuComputeGradInputIddLb1EEEvPKT_S5_llPKT0_S8_S5_PS3_,comdat
.Lfunc_end116:
	.size	_ZN2at6native12_GLOBAL__N_118cuComputeGradInputIddLb1EEEvPKT_S5_llPKT0_S8_S5_PS3_, .Lfunc_end116-_ZN2at6native12_GLOBAL__N_118cuComputeGradInputIddLb1EEEvPKT_S5_llPKT0_S8_S5_PS3_
                                        ; -- End function
	.set _ZN2at6native12_GLOBAL__N_118cuComputeGradInputIddLb1EEEvPKT_S5_llPKT0_S8_S5_PS3_.num_vgpr, 28
	.set _ZN2at6native12_GLOBAL__N_118cuComputeGradInputIddLb1EEEvPKT_S5_llPKT0_S8_S5_PS3_.num_agpr, 0
	.set _ZN2at6native12_GLOBAL__N_118cuComputeGradInputIddLb1EEEvPKT_S5_llPKT0_S8_S5_PS3_.numbered_sgpr, 40
	.set _ZN2at6native12_GLOBAL__N_118cuComputeGradInputIddLb1EEEvPKT_S5_llPKT0_S8_S5_PS3_.num_named_barrier, 0
	.set _ZN2at6native12_GLOBAL__N_118cuComputeGradInputIddLb1EEEvPKT_S5_llPKT0_S8_S5_PS3_.private_seg_size, 0
	.set _ZN2at6native12_GLOBAL__N_118cuComputeGradInputIddLb1EEEvPKT_S5_llPKT0_S8_S5_PS3_.uses_vcc, 1
	.set _ZN2at6native12_GLOBAL__N_118cuComputeGradInputIddLb1EEEvPKT_S5_llPKT0_S8_S5_PS3_.uses_flat_scratch, 0
	.set _ZN2at6native12_GLOBAL__N_118cuComputeGradInputIddLb1EEEvPKT_S5_llPKT0_S8_S5_PS3_.has_dyn_sized_stack, 0
	.set _ZN2at6native12_GLOBAL__N_118cuComputeGradInputIddLb1EEEvPKT_S5_llPKT0_S8_S5_PS3_.has_recursion, 0
	.set _ZN2at6native12_GLOBAL__N_118cuComputeGradInputIddLb1EEEvPKT_S5_llPKT0_S8_S5_PS3_.has_indirect_call, 0
	.section	.AMDGPU.csdata,"",@progbits
; Kernel info:
; codeLenInByte = 1944
; TotalNumSgprs: 42
; NumVgprs: 28
; ScratchSize: 0
; MemoryBound: 0
; FloatMode: 240
; IeeeMode: 1
; LDSByteSize: 0 bytes/workgroup (compile time only)
; SGPRBlocks: 0
; VGPRBlocks: 3
; NumSGPRsForWavesPerEU: 42
; NumVGPRsForWavesPerEU: 28
; Occupancy: 16
; WaveLimiterHint : 0
; COMPUTE_PGM_RSRC2:SCRATCH_EN: 0
; COMPUTE_PGM_RSRC2:USER_SGPR: 2
; COMPUTE_PGM_RSRC2:TRAP_HANDLER: 0
; COMPUTE_PGM_RSRC2:TGID_X_EN: 1
; COMPUTE_PGM_RSRC2:TGID_Y_EN: 1
; COMPUTE_PGM_RSRC2:TGID_Z_EN: 0
; COMPUTE_PGM_RSRC2:TIDIG_COMP_CNT: 1
	.section	.text._ZN2at6native12_GLOBAL__N_128layer_norm_grad_input_kernelIddLb1EEEvPKT_S5_PKT0_S8_S5_PS3_i,"axG",@progbits,_ZN2at6native12_GLOBAL__N_128layer_norm_grad_input_kernelIddLb1EEEvPKT_S5_PKT0_S8_S5_PS3_i,comdat
	.globl	_ZN2at6native12_GLOBAL__N_128layer_norm_grad_input_kernelIddLb1EEEvPKT_S5_PKT0_S8_S5_PS3_i ; -- Begin function _ZN2at6native12_GLOBAL__N_128layer_norm_grad_input_kernelIddLb1EEEvPKT_S5_PKT0_S8_S5_PS3_i
	.p2align	8
	.type	_ZN2at6native12_GLOBAL__N_128layer_norm_grad_input_kernelIddLb1EEEvPKT_S5_PKT0_S8_S5_PS3_i,@function
_ZN2at6native12_GLOBAL__N_128layer_norm_grad_input_kernelIddLb1EEEvPKT_S5_PKT0_S8_S5_PS3_i: ; @_ZN2at6native12_GLOBAL__N_128layer_norm_grad_input_kernelIddLb1EEEvPKT_S5_PKT0_S8_S5_PS3_i
; %bb.0:
	s_clause 0x1
	s_load_b128 s[4:7], s[0:1], 0x18
	s_load_b32 s12, s[0:1], 0x30
	s_mov_b32 s2, ttmp9
	s_mov_b32 s3, 0
	s_load_b128 s[8:11], s[0:1], 0x0
	s_lshl_b64 s[14:15], s[2:3], 3
	v_lshlrev_b32_e32 v1, 2, v0
	v_mov_b32_e32 v3, 0
	v_mov_b32_e32 v4, 0
	s_delay_alu instid0(VALU_DEP_3)
	v_or_b32_e32 v2, 3, v1
	s_wait_kmcnt 0x0
	s_add_nc_u64 s[4:5], s[4:5], s[14:15]
	s_ashr_i32 s13, s12, 31
	s_load_b64 s[4:5], s[4:5], 0x0
	s_mul_u64 s[14:15], s[12:13], s[2:3]
	s_mov_b32 s2, exec_lo
	s_lshl_b64 s[18:19], s[14:15], 3
	s_delay_alu instid0(SALU_CYCLE_1)
	s_add_nc_u64 s[14:15], s[10:11], s[18:19]
	s_add_nc_u64 s[16:17], s[8:9], s[18:19]
	v_cmpx_gt_u32_e64 s12, v2
	s_cbranch_execz .LBB117_12
; %bb.1:
	s_load_b32 s20, s[0:1], 0x44
	s_cmp_lg_u64 s[6:7], 0
	v_dual_mov_b32 v3, 0 :: v_dual_mov_b32 v2, 0
	v_mov_b32_e32 v4, 0
	s_cselect_b32 s13, -1, 0
	s_wait_kmcnt 0x0
	s_and_b32 s20, s20, 0xffff
	s_delay_alu instid0(SALU_CYCLE_1)
	s_lshl_b32 s20, s20, 2
	s_branch .LBB117_3
.LBB117_2:                              ;   in Loop: Header=BB117_3 Depth=1
	global_load_b64 v[11:12], v[15:16], off offset:24
	global_load_b64 v[9:10], v[9:10], off offset:24
	s_wait_loadcnt 0x6
	v_mul_f64_e32 v[7:8], v[7:8], v[17:18]
	s_wait_loadcnt 0x4
	v_mul_f64_e32 v[5:6], v[5:6], v[21:22]
	v_add_nc_u32_e32 v1, s20, v1
	s_delay_alu instid0(VALU_DEP_3) | instskip(NEXT) | instid1(VALU_DEP_3)
	v_mul_f64_e32 v[7:8], v[13:14], v[7:8]
	v_mul_f64_e32 v[5:6], v[19:20], v[5:6]
	s_delay_alu instid0(VALU_DEP_2) | instskip(SKIP_2) | instid1(VALU_DEP_2)
	v_fma_f64 v[3:4], s[4:5], v[7:8], v[3:4]
	s_wait_loadcnt 0x2
	v_mul_f64_e32 v[7:8], v[25:26], v[29:30]
	v_fma_f64 v[3:4], s[4:5], v[5:6], v[3:4]
	s_delay_alu instid0(VALU_DEP_2) | instskip(NEXT) | instid1(VALU_DEP_1)
	v_mul_f64_e32 v[5:6], v[27:28], v[7:8]
	v_fma_f64 v[3:4], s[4:5], v[5:6], v[3:4]
	s_wait_loadcnt 0x1
	v_mul_f64_e32 v[7:8], v[23:24], v[11:12]
	s_wait_loadcnt 0x0
	s_delay_alu instid0(VALU_DEP_1) | instskip(NEXT) | instid1(VALU_DEP_1)
	v_mul_f64_e32 v[5:6], v[9:10], v[7:8]
	v_fma_f64 v[3:4], s[4:5], v[5:6], v[3:4]
	v_add_nc_u32_e32 v5, 3, v1
	s_delay_alu instid0(VALU_DEP_1) | instskip(SKIP_1) | instid1(SALU_CYCLE_1)
	v_cmp_le_u32_e32 vcc_lo, s12, v5
	s_or_b32 s3, vcc_lo, s3
	s_and_not1_b32 exec_lo, exec_lo, s3
	s_cbranch_execz .LBB117_11
.LBB117_3:                              ; =>This Inner Loop Header: Depth=1
	v_mov_b32_e32 v5, 0
	v_dual_mov_b32 v6, 0x3ff00000 :: v_dual_mov_b32 v7, 0
	v_lshlrev_b64_e32 v[11:12], 3, v[1:2]
	v_mov_b32_e32 v8, 0x3ff00000
	s_wait_alu 0xfffe
	s_and_b32 vcc_lo, exec_lo, s13
	s_wait_alu 0xfffe
	s_cbranch_vccz .LBB117_5
; %bb.4:                                ;   in Loop: Header=BB117_3 Depth=1
	v_add_co_u32 v7, vcc_lo, s6, v11
	s_wait_alu 0xfffd
	v_add_co_ci_u32_e64 v8, null, s7, v12, vcc_lo
	global_load_b64 v[7:8], v[7:8], off
.LBB117_5:                              ;   in Loop: Header=BB117_3 Depth=1
	v_add_co_u32 v9, vcc_lo, s14, v11
	s_wait_alu 0xfffd
	v_add_co_ci_u32_e64 v10, null, s15, v12, vcc_lo
	v_add_co_u32 v15, vcc_lo, s16, v11
	s_wait_alu 0xfffd
	v_add_co_ci_u32_e64 v16, null, s17, v12, vcc_lo
	global_load_b64 v[13:14], v[9:10], off
	global_load_b64 v[17:18], v[15:16], off
	s_and_not1_b32 vcc_lo, exec_lo, s13
	s_wait_alu 0xfffe
	s_cbranch_vccnz .LBB117_7
; %bb.6:                                ;   in Loop: Header=BB117_3 Depth=1
	v_add_co_u32 v5, vcc_lo, s6, v11
	s_wait_alu 0xfffd
	v_add_co_ci_u32_e64 v6, null, s7, v12, vcc_lo
	global_load_b64 v[5:6], v[5:6], off offset:8
.LBB117_7:                              ;   in Loop: Header=BB117_3 Depth=1
	global_load_b64 v[19:20], v[9:10], off offset:8
	global_load_b64 v[21:22], v[15:16], off offset:8
	v_mov_b32_e32 v23, 0
	v_dual_mov_b32 v24, 0x3ff00000 :: v_dual_mov_b32 v25, 0
	v_mov_b32_e32 v26, 0x3ff00000
	s_and_not1_b32 vcc_lo, exec_lo, s13
	s_wait_alu 0xfffe
	s_cbranch_vccnz .LBB117_9
; %bb.8:                                ;   in Loop: Header=BB117_3 Depth=1
	v_add_co_u32 v25, vcc_lo, s6, v11
	s_wait_alu 0xfffd
	v_add_co_ci_u32_e64 v26, null, s7, v12, vcc_lo
	global_load_b64 v[25:26], v[25:26], off offset:16
.LBB117_9:                              ;   in Loop: Header=BB117_3 Depth=1
	global_load_b64 v[27:28], v[9:10], off offset:16
	global_load_b64 v[29:30], v[15:16], off offset:16
	s_and_not1_b32 vcc_lo, exec_lo, s13
	s_wait_alu 0xfffe
	s_cbranch_vccnz .LBB117_2
; %bb.10:                               ;   in Loop: Header=BB117_3 Depth=1
	v_add_co_u32 v11, vcc_lo, s6, v11
	s_wait_alu 0xfffd
	v_add_co_ci_u32_e64 v12, null, s7, v12, vcc_lo
	global_load_b64 v[23:24], v[11:12], off offset:24
	s_branch .LBB117_2
.LBB117_11:
	s_or_b32 exec_lo, exec_lo, s3
.LBB117_12:
	s_delay_alu instid0(SALU_CYCLE_1) | instskip(NEXT) | instid1(SALU_CYCLE_1)
	s_or_b32 exec_lo, exec_lo, s2
	s_mov_b32 s3, exec_lo
	v_cmpx_gt_u32_e64 s12, v1
	s_cbranch_execz .LBB117_19
; %bb.13:
	v_mov_b32_e32 v2, 0
	s_cmp_lg_u64 s[6:7], 0
	s_delay_alu instid0(VALU_DEP_1) | instskip(NEXT) | instid1(VALU_DEP_1)
	v_lshlrev_b64_e32 v[5:6], 3, v[1:2]
	v_add_co_u32 v2, vcc_lo, s18, v5
	s_wait_alu 0xfffd
	s_delay_alu instid0(VALU_DEP_2)
	v_add_co_ci_u32_e64 v10, null, s19, v6, vcc_lo
	v_add_co_u32 v5, vcc_lo, s6, v5
	s_wait_alu 0xfffd
	v_add_co_ci_u32_e64 v6, null, s7, v6, vcc_lo
	v_add_co_u32 v7, vcc_lo, s10, v2
	s_wait_alu 0xfffd
	;; [unrolled: 3-line block ×3, first 2 shown]
	v_add_co_ci_u32_e64 v10, null, s9, v10, vcc_lo
	s_cselect_b32 s8, -1, 0
	s_mov_b32 s9, 0
	s_branch .LBB117_16
.LBB117_14:                             ;   in Loop: Header=BB117_16 Depth=1
	global_load_b64 v[11:12], v[5:6], off
.LBB117_15:                             ;   in Loop: Header=BB117_16 Depth=1
	global_load_b64 v[13:14], v[9:10], off
	global_load_b64 v[15:16], v[7:8], off
	v_add_nc_u32_e32 v1, 1, v1
	v_add_co_u32 v5, vcc_lo, v5, 8
	s_wait_alu 0xfffd
	v_add_co_ci_u32_e64 v6, null, 0, v6, vcc_lo
	v_add_co_u32 v7, vcc_lo, v7, 8
	s_wait_alu 0xfffd
	v_add_co_ci_u32_e64 v8, null, 0, v8, vcc_lo
	v_cmp_le_u32_e32 vcc_lo, s12, v1
	v_add_co_u32 v9, s2, v9, 8
	s_wait_alu 0xf1ff
	v_add_co_ci_u32_e64 v10, null, 0, v10, s2
	s_or_b32 s9, vcc_lo, s9
	s_wait_loadcnt 0x1
	v_mul_f64_e32 v[11:12], v[11:12], v[13:14]
	s_wait_loadcnt 0x0
	s_delay_alu instid0(VALU_DEP_1) | instskip(SKIP_1) | instid1(VALU_DEP_1)
	v_mul_f64_e32 v[11:12], v[15:16], v[11:12]
	s_wait_kmcnt 0x0
	v_fma_f64 v[3:4], s[4:5], v[11:12], v[3:4]
	s_wait_alu 0xfffe
	s_and_not1_b32 exec_lo, exec_lo, s9
	s_cbranch_execz .LBB117_18
.LBB117_16:                             ; =>This Inner Loop Header: Depth=1
	s_wait_alu 0xfffe
	s_and_not1_b32 vcc_lo, exec_lo, s8
	s_wait_alu 0xfffe
	s_cbranch_vccz .LBB117_14
; %bb.17:                               ;   in Loop: Header=BB117_16 Depth=1
	v_mov_b32_e32 v11, 0
	v_mov_b32_e32 v12, 0x3ff00000
	s_branch .LBB117_15
.LBB117_18:
	s_or_b32 exec_lo, exec_lo, s9
.LBB117_19:
	s_delay_alu instid0(SALU_CYCLE_1) | instskip(SKIP_4) | instid1(VALU_DEP_2)
	s_or_b32 exec_lo, exec_lo, s3
	v_mbcnt_lo_u32_b32 v9, -1, 0
	v_and_b32_e32 v10, 31, v0
	s_mov_b32 s2, exec_lo
	s_barrier_signal -1
	v_lshl_or_b32 v5, v9, 2, 64
	v_cmp_gt_u32_e32 vcc_lo, 24, v9
	s_barrier_wait -1
	global_inv scope:SCOPE_SE
	ds_bpermute_b32 v1, v5, v3
	ds_bpermute_b32 v2, v5, v4
	s_wait_dscnt 0x0
	v_add_f64_e32 v[1:2], v[3:4], v[1:2]
	s_wait_alu 0xfffd
	v_cndmask_b32_e64 v3, 0, 8, vcc_lo
	v_cmp_gt_u32_e32 vcc_lo, 28, v9
	s_delay_alu instid0(VALU_DEP_2)
	v_add_lshl_u32 v6, v3, v9, 2
	ds_bpermute_b32 v3, v6, v1
	ds_bpermute_b32 v4, v6, v2
	s_wait_dscnt 0x0
	v_add_f64_e32 v[1:2], v[1:2], v[3:4]
	s_wait_alu 0xfffd
	v_cndmask_b32_e64 v3, 0, 4, vcc_lo
	v_cmp_gt_u32_e32 vcc_lo, 30, v9
	s_delay_alu instid0(VALU_DEP_2)
	v_add_lshl_u32 v7, v3, v9, 2
	ds_bpermute_b32 v3, v7, v1
	ds_bpermute_b32 v4, v7, v2
	s_wait_dscnt 0x0
	v_add_f64_e32 v[1:2], v[1:2], v[3:4]
	s_wait_alu 0xfffd
	v_cndmask_b32_e64 v3, 0, 2, vcc_lo
	v_cmp_ne_u32_e32 vcc_lo, 31, v9
	s_delay_alu instid0(VALU_DEP_2)
	v_add_lshl_u32 v8, v3, v9, 2
	ds_bpermute_b32 v3, v8, v1
	ds_bpermute_b32 v4, v8, v2
	s_wait_dscnt 0x0
	v_add_f64_e32 v[1:2], v[1:2], v[3:4]
	s_wait_alu 0xfffd
	v_add_co_ci_u32_e64 v3, null, 0, v9, vcc_lo
	s_delay_alu instid0(VALU_DEP_1)
	v_lshlrev_b32_e32 v9, 2, v3
	ds_bpermute_b32 v3, v9, v1
	ds_bpermute_b32 v4, v9, v2
	v_cmpx_eq_u32_e32 0, v10
	s_cbranch_execz .LBB117_21
; %bb.20:
	s_wait_dscnt 0x0
	v_add_f64_e32 v[1:2], v[1:2], v[3:4]
	v_lshrrev_b32_e32 v3, 2, v0
	s_delay_alu instid0(VALU_DEP_1)
	v_add_nc_u32_e32 v3, 0, v3
	ds_store_b64 v3, v[1:2]
.LBB117_21:
	s_wait_alu 0xfffe
	s_or_b32 exec_lo, exec_lo, s2
	s_wait_loadcnt_dscnt 0x0
	s_barrier_signal -1
	s_barrier_wait -1
	global_inv scope:SCOPE_SE
	s_load_b32 s2, s[0:1], 0x44
	v_mov_b32_e32 v1, 0
	v_mov_b32_e32 v2, 0
	s_wait_kmcnt 0x0
	s_bfe_u32 s3, s2, 0xb0005
	s_wait_alu 0xfffe
	v_cmp_gt_u32_e32 vcc_lo, s3, v0
	s_and_saveexec_b32 s3, vcc_lo
; %bb.22:
	v_lshl_add_u32 v1, v10, 3, 0
	ds_load_b64 v[1:2], v1
; %bb.23:
	s_wait_alu 0xfffe
	s_or_b32 exec_lo, exec_lo, s3
	s_delay_alu instid0(SALU_CYCLE_1)
	s_mov_b32 s3, exec_lo
	v_cmpx_gt_u32_e32 32, v0
	s_cbranch_execz .LBB117_25
; %bb.24:
	s_wait_dscnt 0x0
	ds_bpermute_b32 v3, v5, v1
	ds_bpermute_b32 v4, v5, v2
	s_wait_dscnt 0x0
	v_add_f64_e32 v[1:2], v[1:2], v[3:4]
	ds_bpermute_b32 v3, v6, v1
	ds_bpermute_b32 v4, v6, v2
	s_wait_dscnt 0x0
	v_add_f64_e32 v[1:2], v[1:2], v[3:4]
	;; [unrolled: 4-line block ×5, first 2 shown]
.LBB117_25:
	s_wait_alu 0xfffe
	s_or_b32 exec_lo, exec_lo, s3
	s_delay_alu instid0(SALU_CYCLE_1)
	s_mov_b32 s3, exec_lo
	v_cmpx_eq_u32_e32 0, v0
	s_cbranch_execz .LBB117_27
; %bb.26:
	v_mov_b32_e32 v3, 0
	s_wait_dscnt 0x0
	ds_store_b64 v3, v[1:2] offset:8
.LBB117_27:
	s_wait_alu 0xfffe
	s_or_b32 exec_lo, exec_lo, s3
	s_wait_loadcnt_dscnt 0x0
	s_barrier_signal -1
	s_barrier_wait -1
	global_inv scope:SCOPE_SE
	s_mov_b32 s3, exec_lo
	v_cmpx_gt_i32_e64 s12, v0
	s_cbranch_execz .LBB117_33
; %bb.28:
	v_cvt_f64_i32_e32 v[2:3], s12
	v_mov_b32_e32 v1, 0
	s_load_b64 s[10:11], s[0:1], 0x28
	s_and_b32 s1, 0xffff, s2
	s_cmp_lg_u64 s[6:7], 0
	s_mov_b32 s9, 0
	s_cselect_b32 s8, -1, 0
	s_wait_kmcnt 0x0
	s_add_nc_u64 s[2:3], s[10:11], s[18:19]
	s_delay_alu instid0(VALU_DEP_2) | instskip(NEXT) | instid1(VALU_DEP_1)
	v_div_scale_f64 v[4:5], null, v[2:3], v[2:3], 1.0
	v_rcp_f64_e32 v[6:7], v[4:5]
	s_delay_alu instid0(TRANS32_DEP_1) | instskip(NEXT) | instid1(VALU_DEP_1)
	v_fma_f64 v[8:9], -v[4:5], v[6:7], 1.0
	v_fma_f64 v[6:7], v[6:7], v[8:9], v[6:7]
	s_delay_alu instid0(VALU_DEP_1) | instskip(NEXT) | instid1(VALU_DEP_1)
	v_fma_f64 v[8:9], -v[4:5], v[6:7], 1.0
	v_fma_f64 v[6:7], v[6:7], v[8:9], v[6:7]
	v_div_scale_f64 v[8:9], vcc_lo, 1.0, v[2:3], 1.0
	s_delay_alu instid0(VALU_DEP_1) | instskip(NEXT) | instid1(VALU_DEP_1)
	v_mul_f64_e32 v[10:11], v[8:9], v[6:7]
	v_fma_f64 v[4:5], -v[4:5], v[10:11], v[8:9]
	s_wait_alu 0xfffd
	s_delay_alu instid0(VALU_DEP_1) | instskip(SKIP_2) | instid1(VALU_DEP_1)
	v_div_fmas_f64 v[4:5], v[4:5], v[6:7], v[10:11]
	ds_load_b64 v[6:7], v1 offset:8
	v_div_fixup_f64 v[4:5], v[4:5], v[2:3], 1.0
	v_mul_f64_e32 v[4:5], s[4:5], v[4:5]
	s_branch .LBB117_31
.LBB117_29:                             ;   in Loop: Header=BB117_31 Depth=1
	v_add_co_u32 v14, vcc_lo, s6, v8
	s_wait_alu 0xfffd
	v_add_co_ci_u32_e64 v15, null, s7, v9, vcc_lo
	global_load_b64 v[14:15], v[14:15], off
.LBB117_30:                             ;   in Loop: Header=BB117_31 Depth=1
	s_wait_loadcnt 0x1
	v_mul_f64_e32 v[10:11], s[4:5], v[10:11]
	s_wait_loadcnt 0x0
	v_mul_f64_e32 v[14:15], v[14:15], v[2:3]
	v_add_nc_u32_e32 v0, s1, v0
	v_add_co_u32 v8, s0, s2, v8
	s_wait_alu 0xf1ff
	v_add_co_ci_u32_e64 v9, null, s3, v9, s0
	s_delay_alu instid0(VALU_DEP_3) | instskip(SKIP_3) | instid1(VALU_DEP_1)
	v_cmp_le_i32_e32 vcc_lo, s12, v0
	s_or_b32 s9, vcc_lo, s9
	s_wait_dscnt 0x0
	v_mul_f64_e32 v[10:11], v[6:7], v[10:11]
	v_fma_f64 v[10:11], v[12:13], v[14:15], -v[10:11]
	s_delay_alu instid0(VALU_DEP_1)
	v_mul_f64_e32 v[10:11], v[4:5], v[10:11]
	global_store_b64 v[8:9], v[10:11], off
	s_wait_alu 0xfffe
	s_and_not1_b32 exec_lo, exec_lo, s9
	s_cbranch_execz .LBB117_33
.LBB117_31:                             ; =>This Inner Loop Header: Depth=1
	v_ashrrev_i32_e32 v1, 31, v0
	s_delay_alu instid0(VALU_DEP_1) | instskip(NEXT) | instid1(VALU_DEP_1)
	v_lshlrev_b64_e32 v[8:9], 3, v[0:1]
	v_add_co_u32 v10, vcc_lo, s14, v8
	s_wait_alu 0xfffd
	s_delay_alu instid0(VALU_DEP_2)
	v_add_co_ci_u32_e64 v11, null, s15, v9, vcc_lo
	v_add_co_u32 v12, vcc_lo, s16, v8
	s_wait_alu 0xfffd
	v_add_co_ci_u32_e64 v13, null, s17, v9, vcc_lo
	global_load_b64 v[10:11], v[10:11], off
	global_load_b64 v[12:13], v[12:13], off
	s_wait_alu 0xfffe
	s_and_not1_b32 vcc_lo, exec_lo, s8
	s_wait_alu 0xfffe
	s_cbranch_vccz .LBB117_29
; %bb.32:                               ;   in Loop: Header=BB117_31 Depth=1
	v_mov_b32_e32 v14, 0
	v_mov_b32_e32 v15, 0x3ff00000
	s_branch .LBB117_30
.LBB117_33:
	s_endpgm
	.section	.rodata,"a",@progbits
	.p2align	6, 0x0
	.amdhsa_kernel _ZN2at6native12_GLOBAL__N_128layer_norm_grad_input_kernelIddLb1EEEvPKT_S5_PKT0_S8_S5_PS3_i
		.amdhsa_group_segment_fixed_size 0
		.amdhsa_private_segment_fixed_size 0
		.amdhsa_kernarg_size 312
		.amdhsa_user_sgpr_count 2
		.amdhsa_user_sgpr_dispatch_ptr 0
		.amdhsa_user_sgpr_queue_ptr 0
		.amdhsa_user_sgpr_kernarg_segment_ptr 1
		.amdhsa_user_sgpr_dispatch_id 0
		.amdhsa_user_sgpr_private_segment_size 0
		.amdhsa_wavefront_size32 1
		.amdhsa_uses_dynamic_stack 0
		.amdhsa_enable_private_segment 0
		.amdhsa_system_sgpr_workgroup_id_x 1
		.amdhsa_system_sgpr_workgroup_id_y 0
		.amdhsa_system_sgpr_workgroup_id_z 0
		.amdhsa_system_sgpr_workgroup_info 0
		.amdhsa_system_vgpr_workitem_id 0
		.amdhsa_next_free_vgpr 31
		.amdhsa_next_free_sgpr 21
		.amdhsa_reserve_vcc 1
		.amdhsa_float_round_mode_32 0
		.amdhsa_float_round_mode_16_64 0
		.amdhsa_float_denorm_mode_32 3
		.amdhsa_float_denorm_mode_16_64 3
		.amdhsa_fp16_overflow 0
		.amdhsa_workgroup_processor_mode 1
		.amdhsa_memory_ordered 1
		.amdhsa_forward_progress 1
		.amdhsa_inst_pref_size 16
		.amdhsa_round_robin_scheduling 0
		.amdhsa_exception_fp_ieee_invalid_op 0
		.amdhsa_exception_fp_denorm_src 0
		.amdhsa_exception_fp_ieee_div_zero 0
		.amdhsa_exception_fp_ieee_overflow 0
		.amdhsa_exception_fp_ieee_underflow 0
		.amdhsa_exception_fp_ieee_inexact 0
		.amdhsa_exception_int_div_zero 0
	.end_amdhsa_kernel
	.section	.text._ZN2at6native12_GLOBAL__N_128layer_norm_grad_input_kernelIddLb1EEEvPKT_S5_PKT0_S8_S5_PS3_i,"axG",@progbits,_ZN2at6native12_GLOBAL__N_128layer_norm_grad_input_kernelIddLb1EEEvPKT_S5_PKT0_S8_S5_PS3_i,comdat
.Lfunc_end117:
	.size	_ZN2at6native12_GLOBAL__N_128layer_norm_grad_input_kernelIddLb1EEEvPKT_S5_PKT0_S8_S5_PS3_i, .Lfunc_end117-_ZN2at6native12_GLOBAL__N_128layer_norm_grad_input_kernelIddLb1EEEvPKT_S5_PKT0_S8_S5_PS3_i
                                        ; -- End function
	.set _ZN2at6native12_GLOBAL__N_128layer_norm_grad_input_kernelIddLb1EEEvPKT_S5_PKT0_S8_S5_PS3_i.num_vgpr, 31
	.set _ZN2at6native12_GLOBAL__N_128layer_norm_grad_input_kernelIddLb1EEEvPKT_S5_PKT0_S8_S5_PS3_i.num_agpr, 0
	.set _ZN2at6native12_GLOBAL__N_128layer_norm_grad_input_kernelIddLb1EEEvPKT_S5_PKT0_S8_S5_PS3_i.numbered_sgpr, 21
	.set _ZN2at6native12_GLOBAL__N_128layer_norm_grad_input_kernelIddLb1EEEvPKT_S5_PKT0_S8_S5_PS3_i.num_named_barrier, 0
	.set _ZN2at6native12_GLOBAL__N_128layer_norm_grad_input_kernelIddLb1EEEvPKT_S5_PKT0_S8_S5_PS3_i.private_seg_size, 0
	.set _ZN2at6native12_GLOBAL__N_128layer_norm_grad_input_kernelIddLb1EEEvPKT_S5_PKT0_S8_S5_PS3_i.uses_vcc, 1
	.set _ZN2at6native12_GLOBAL__N_128layer_norm_grad_input_kernelIddLb1EEEvPKT_S5_PKT0_S8_S5_PS3_i.uses_flat_scratch, 0
	.set _ZN2at6native12_GLOBAL__N_128layer_norm_grad_input_kernelIddLb1EEEvPKT_S5_PKT0_S8_S5_PS3_i.has_dyn_sized_stack, 0
	.set _ZN2at6native12_GLOBAL__N_128layer_norm_grad_input_kernelIddLb1EEEvPKT_S5_PKT0_S8_S5_PS3_i.has_recursion, 0
	.set _ZN2at6native12_GLOBAL__N_128layer_norm_grad_input_kernelIddLb1EEEvPKT_S5_PKT0_S8_S5_PS3_i.has_indirect_call, 0
	.section	.AMDGPU.csdata,"",@progbits
; Kernel info:
; codeLenInByte = 2040
; TotalNumSgprs: 23
; NumVgprs: 31
; ScratchSize: 0
; MemoryBound: 0
; FloatMode: 240
; IeeeMode: 1
; LDSByteSize: 0 bytes/workgroup (compile time only)
; SGPRBlocks: 0
; VGPRBlocks: 3
; NumSGPRsForWavesPerEU: 23
; NumVGPRsForWavesPerEU: 31
; Occupancy: 16
; WaveLimiterHint : 0
; COMPUTE_PGM_RSRC2:SCRATCH_EN: 0
; COMPUTE_PGM_RSRC2:USER_SGPR: 2
; COMPUTE_PGM_RSRC2:TRAP_HANDLER: 0
; COMPUTE_PGM_RSRC2:TGID_X_EN: 1
; COMPUTE_PGM_RSRC2:TGID_Y_EN: 0
; COMPUTE_PGM_RSRC2:TGID_Z_EN: 0
; COMPUTE_PGM_RSRC2:TIDIG_COMP_CNT: 0
	.section	.text._ZN2at6native12_GLOBAL__N_133GammaBetaBackwardSimpleCUDAKernelIddLb1EEEvllPKT_S5_PKT0_S8_PS3_S9_,"axG",@progbits,_ZN2at6native12_GLOBAL__N_133GammaBetaBackwardSimpleCUDAKernelIddLb1EEEvllPKT_S5_PKT0_S8_PS3_S9_,comdat
	.globl	_ZN2at6native12_GLOBAL__N_133GammaBetaBackwardSimpleCUDAKernelIddLb1EEEvllPKT_S5_PKT0_S8_PS3_S9_ ; -- Begin function _ZN2at6native12_GLOBAL__N_133GammaBetaBackwardSimpleCUDAKernelIddLb1EEEvllPKT_S5_PKT0_S8_PS3_S9_
	.p2align	8
	.type	_ZN2at6native12_GLOBAL__N_133GammaBetaBackwardSimpleCUDAKernelIddLb1EEEvllPKT_S5_PKT0_S8_PS3_S9_,@function
_ZN2at6native12_GLOBAL__N_133GammaBetaBackwardSimpleCUDAKernelIddLb1EEEvllPKT_S5_PKT0_S8_PS3_S9_: ; @_ZN2at6native12_GLOBAL__N_133GammaBetaBackwardSimpleCUDAKernelIddLb1EEEvllPKT_S5_PKT0_S8_PS3_S9_
; %bb.0:
	s_clause 0x1
	s_load_b32 s2, s[0:1], 0x4c
	s_load_b256 s[4:11], s[0:1], 0x0
	v_mov_b32_e32 v1, 0
	s_wait_kmcnt 0x0
	s_and_b32 s2, s2, 0xffff
	s_delay_alu instid0(VALU_DEP_1) | instid1(SALU_CYCLE_1)
	v_mad_co_u64_u32 v[0:1], null, s2, ttmp9, v[0:1]
	s_mov_b32 s2, exec_lo
	v_cmpx_gt_i64_e64 s[6:7], v[0:1]
	s_cbranch_execz .LBB118_9
; %bb.1:
	s_load_b128 s[0:3], s[0:1], 0x28
	v_cmp_lt_i64_e64 s12, s[4:5], 1
	v_lshlrev_b64_e32 v[0:1], 3, v[0:1]
	s_and_b32 vcc_lo, exec_lo, s12
	s_cbranch_vccnz .LBB118_6
; %bb.2:
	s_delay_alu instid0(VALU_DEP_1) | instskip(NEXT) | instid1(VALU_DEP_2)
	v_dual_mov_b32 v2, 0 :: v_dual_mov_b32 v5, v1
	v_dual_mov_b32 v3, 0 :: v_dual_mov_b32 v4, v0
	s_wait_kmcnt 0x0
	s_cmp_lg_u64 s[2:3], 0
	s_cselect_b32 s12, -1, 0
	s_lshl_b64 s[6:7], s[6:7], 3
	s_branch .LBB118_4
.LBB118_3:                              ;   in Loop: Header=BB118_4 Depth=1
	s_delay_alu instid0(VALU_DEP_1)
	v_add_f64_e32 v[2:3], v[2:3], v[6:7]
	v_add_co_u32 v4, vcc_lo, v4, s6
	s_wait_alu 0xfffd
	v_add_co_ci_u32_e64 v5, null, s7, v5, vcc_lo
	s_add_nc_u64 s[4:5], s[4:5], -1
	s_add_nc_u64 s[0:1], s[0:1], 8
	s_wait_alu 0xfffe
	s_cmp_eq_u64 s[4:5], 0
	s_cbranch_scc1 .LBB118_7
.LBB118_4:                              ; =>This Inner Loop Header: Depth=1
	v_mov_b32_e32 v6, 0
	v_mov_b32_e32 v7, 0
	s_and_not1_b32 vcc_lo, exec_lo, s12
	s_wait_alu 0xfffe
	s_cbranch_vccnz .LBB118_3
; %bb.5:                                ;   in Loop: Header=BB118_4 Depth=1
	v_add_co_u32 v6, vcc_lo, s8, v4
	s_wait_alu 0xfffd
	v_add_co_ci_u32_e64 v7, null, s9, v5, vcc_lo
	v_add_co_u32 v8, vcc_lo, s10, v4
	s_wait_alu 0xfffd
	v_add_co_ci_u32_e64 v9, null, s11, v5, vcc_lo
	global_load_b64 v[6:7], v[6:7], off
	global_load_b64 v[8:9], v[8:9], off
	s_load_b64 s[14:15], s[0:1], 0x0
	s_wait_loadcnt 0x0
	v_mul_f64_e32 v[6:7], v[6:7], v[8:9]
	s_wait_kmcnt 0x0
	s_delay_alu instid0(VALU_DEP_1)
	v_mul_f64_e32 v[6:7], s[14:15], v[6:7]
	s_branch .LBB118_3
.LBB118_6:
	v_mov_b32_e32 v2, 0
	v_mov_b32_e32 v3, 0
.LBB118_7:
	s_wait_kmcnt 0x0
	s_cmp_lg_u64 s[2:3], 0
	s_cbranch_scc0 .LBB118_9
; %bb.8:
	v_add_co_u32 v0, vcc_lo, s2, v0
	s_wait_alu 0xfffd
	v_add_co_ci_u32_e64 v1, null, s3, v1, vcc_lo
	global_store_b64 v[0:1], v[2:3], off
.LBB118_9:
	s_endpgm
	.section	.rodata,"a",@progbits
	.p2align	6, 0x0
	.amdhsa_kernel _ZN2at6native12_GLOBAL__N_133GammaBetaBackwardSimpleCUDAKernelIddLb1EEEvllPKT_S5_PKT0_S8_PS3_S9_
		.amdhsa_group_segment_fixed_size 0
		.amdhsa_private_segment_fixed_size 0
		.amdhsa_kernarg_size 320
		.amdhsa_user_sgpr_count 2
		.amdhsa_user_sgpr_dispatch_ptr 0
		.amdhsa_user_sgpr_queue_ptr 0
		.amdhsa_user_sgpr_kernarg_segment_ptr 1
		.amdhsa_user_sgpr_dispatch_id 0
		.amdhsa_user_sgpr_private_segment_size 0
		.amdhsa_wavefront_size32 1
		.amdhsa_uses_dynamic_stack 0
		.amdhsa_enable_private_segment 0
		.amdhsa_system_sgpr_workgroup_id_x 1
		.amdhsa_system_sgpr_workgroup_id_y 0
		.amdhsa_system_sgpr_workgroup_id_z 0
		.amdhsa_system_sgpr_workgroup_info 0
		.amdhsa_system_vgpr_workitem_id 0
		.amdhsa_next_free_vgpr 10
		.amdhsa_next_free_sgpr 16
		.amdhsa_reserve_vcc 1
		.amdhsa_float_round_mode_32 0
		.amdhsa_float_round_mode_16_64 0
		.amdhsa_float_denorm_mode_32 3
		.amdhsa_float_denorm_mode_16_64 3
		.amdhsa_fp16_overflow 0
		.amdhsa_workgroup_processor_mode 1
		.amdhsa_memory_ordered 1
		.amdhsa_forward_progress 1
		.amdhsa_inst_pref_size 3
		.amdhsa_round_robin_scheduling 0
		.amdhsa_exception_fp_ieee_invalid_op 0
		.amdhsa_exception_fp_denorm_src 0
		.amdhsa_exception_fp_ieee_div_zero 0
		.amdhsa_exception_fp_ieee_overflow 0
		.amdhsa_exception_fp_ieee_underflow 0
		.amdhsa_exception_fp_ieee_inexact 0
		.amdhsa_exception_int_div_zero 0
	.end_amdhsa_kernel
	.section	.text._ZN2at6native12_GLOBAL__N_133GammaBetaBackwardSimpleCUDAKernelIddLb1EEEvllPKT_S5_PKT0_S8_PS3_S9_,"axG",@progbits,_ZN2at6native12_GLOBAL__N_133GammaBetaBackwardSimpleCUDAKernelIddLb1EEEvllPKT_S5_PKT0_S8_PS3_S9_,comdat
.Lfunc_end118:
	.size	_ZN2at6native12_GLOBAL__N_133GammaBetaBackwardSimpleCUDAKernelIddLb1EEEvllPKT_S5_PKT0_S8_PS3_S9_, .Lfunc_end118-_ZN2at6native12_GLOBAL__N_133GammaBetaBackwardSimpleCUDAKernelIddLb1EEEvllPKT_S5_PKT0_S8_PS3_S9_
                                        ; -- End function
	.set _ZN2at6native12_GLOBAL__N_133GammaBetaBackwardSimpleCUDAKernelIddLb1EEEvllPKT_S5_PKT0_S8_PS3_S9_.num_vgpr, 10
	.set _ZN2at6native12_GLOBAL__N_133GammaBetaBackwardSimpleCUDAKernelIddLb1EEEvllPKT_S5_PKT0_S8_PS3_S9_.num_agpr, 0
	.set _ZN2at6native12_GLOBAL__N_133GammaBetaBackwardSimpleCUDAKernelIddLb1EEEvllPKT_S5_PKT0_S8_PS3_S9_.numbered_sgpr, 16
	.set _ZN2at6native12_GLOBAL__N_133GammaBetaBackwardSimpleCUDAKernelIddLb1EEEvllPKT_S5_PKT0_S8_PS3_S9_.num_named_barrier, 0
	.set _ZN2at6native12_GLOBAL__N_133GammaBetaBackwardSimpleCUDAKernelIddLb1EEEvllPKT_S5_PKT0_S8_PS3_S9_.private_seg_size, 0
	.set _ZN2at6native12_GLOBAL__N_133GammaBetaBackwardSimpleCUDAKernelIddLb1EEEvllPKT_S5_PKT0_S8_PS3_S9_.uses_vcc, 1
	.set _ZN2at6native12_GLOBAL__N_133GammaBetaBackwardSimpleCUDAKernelIddLb1EEEvllPKT_S5_PKT0_S8_PS3_S9_.uses_flat_scratch, 0
	.set _ZN2at6native12_GLOBAL__N_133GammaBetaBackwardSimpleCUDAKernelIddLb1EEEvllPKT_S5_PKT0_S8_PS3_S9_.has_dyn_sized_stack, 0
	.set _ZN2at6native12_GLOBAL__N_133GammaBetaBackwardSimpleCUDAKernelIddLb1EEEvllPKT_S5_PKT0_S8_PS3_S9_.has_recursion, 0
	.set _ZN2at6native12_GLOBAL__N_133GammaBetaBackwardSimpleCUDAKernelIddLb1EEEvllPKT_S5_PKT0_S8_PS3_S9_.has_indirect_call, 0
	.section	.AMDGPU.csdata,"",@progbits
; Kernel info:
; codeLenInByte = 352
; TotalNumSgprs: 18
; NumVgprs: 10
; ScratchSize: 0
; MemoryBound: 1
; FloatMode: 240
; IeeeMode: 1
; LDSByteSize: 0 bytes/workgroup (compile time only)
; SGPRBlocks: 0
; VGPRBlocks: 1
; NumSGPRsForWavesPerEU: 18
; NumVGPRsForWavesPerEU: 10
; Occupancy: 16
; WaveLimiterHint : 0
; COMPUTE_PGM_RSRC2:SCRATCH_EN: 0
; COMPUTE_PGM_RSRC2:USER_SGPR: 2
; COMPUTE_PGM_RSRC2:TRAP_HANDLER: 0
; COMPUTE_PGM_RSRC2:TGID_X_EN: 1
; COMPUTE_PGM_RSRC2:TGID_Y_EN: 0
; COMPUTE_PGM_RSRC2:TGID_Z_EN: 0
; COMPUTE_PGM_RSRC2:TIDIG_COMP_CNT: 0
	.section	.text._ZN2at6native12_GLOBAL__N_135GammaBetaBackwardCUDAKernelTemplateIddLj64ELj1ELj32ELb1ELb1ELb1EEEvllPKT_S5_PKT0_S8_PS3_S9_,"axG",@progbits,_ZN2at6native12_GLOBAL__N_135GammaBetaBackwardCUDAKernelTemplateIddLj64ELj1ELj32ELb1ELb1ELb1EEEvllPKT_S5_PKT0_S8_PS3_S9_,comdat
	.globl	_ZN2at6native12_GLOBAL__N_135GammaBetaBackwardCUDAKernelTemplateIddLj64ELj1ELj32ELb1ELb1ELb1EEEvllPKT_S5_PKT0_S8_PS3_S9_ ; -- Begin function _ZN2at6native12_GLOBAL__N_135GammaBetaBackwardCUDAKernelTemplateIddLj64ELj1ELj32ELb1ELb1ELb1EEEvllPKT_S5_PKT0_S8_PS3_S9_
	.p2align	8
	.type	_ZN2at6native12_GLOBAL__N_135GammaBetaBackwardCUDAKernelTemplateIddLj64ELj1ELj32ELb1ELb1ELb1EEEvllPKT_S5_PKT0_S8_PS3_S9_,@function
_ZN2at6native12_GLOBAL__N_135GammaBetaBackwardCUDAKernelTemplateIddLj64ELj1ELj32ELb1ELb1ELb1EEEvllPKT_S5_PKT0_S8_PS3_S9_: ; @_ZN2at6native12_GLOBAL__N_135GammaBetaBackwardCUDAKernelTemplateIddLj64ELj1ELj32ELb1ELb1ELb1EEEvllPKT_S5_PKT0_S8_PS3_S9_
; %bb.0:
	s_clause 0x1
	s_load_b128 s[4:7], s[0:1], 0x0
	s_load_b64 s[2:3], s[0:1], 0x30
	s_lshl_b32 s12, ttmp7, 5
	s_mov_b32 s13, 0
	v_mov_b32_e32 v10, 0
	v_mov_b32_e32 v11, 0
	v_bfe_u32 v1, v0, 10, 10
	v_and_b32_e32 v0, 0x3ff, v0
	s_wait_kmcnt 0x0
	v_cmp_le_i64_e64 s8, s[4:5], s[12:13]
	s_and_b32 vcc_lo, exec_lo, s8
	s_cbranch_vccnz .LBB119_5
; %bb.1:
	s_clause 0x3
	s_load_b32 s14, s[0:1], 0x4c
	s_load_b32 s15, s[0:1], 0x44
	s_load_b128 s[8:11], s[0:1], 0x10
	s_load_b64 s[16:17], s[0:1], 0x28
	v_dual_mov_b32 v3, 0 :: v_dual_lshlrev_b32 v4, 5, v1
	v_lshl_or_b32 v2, ttmp9, 6, v0
	v_dual_mov_b32 v31, 0x50 :: v_dual_mov_b32 v12, 4
	v_dual_mov_b32 v13, 8 :: v_dual_mov_b32 v14, 12
	;; [unrolled: 1-line block ×6, first 2 shown]
	v_mov_b32_e32 v23, 48
	s_wait_kmcnt 0x0
	s_and_b32 s14, s14, 0xffff
	v_dual_mov_b32 v24, 52 :: v_dual_mov_b32 v25, 56
	v_mad_u32_u24 v5, v1, s14, v0
	v_add_co_u32 v9, s14, v4, s12
	s_wait_alu 0xf1ff
	v_add_co_ci_u32_e64 v10, null, 0, 0, s14
	s_delay_alu instid0(VALU_DEP_3) | instskip(NEXT) | instid1(VALU_DEP_3)
	v_dual_mov_b32 v29, 0x48 :: v_dual_and_b32 v8, 31, v5
	v_mul_lo_u32 v6, s7, v9
	s_delay_alu instid0(VALU_DEP_3)
	v_mul_lo_u32 v7, s6, v10
	v_mad_co_u64_u32 v[4:5], null, s6, v9, 0
	s_lshl_b32 s14, s15, 5
	s_mov_b32 s15, s13
	v_dual_mov_b32 v26, 60 :: v_dual_mov_b32 v27, 64
	v_mov_b32_e32 v28, 0x44
	v_mov_b32_e32 v30, 0x4c
	v_add3_u32 v5, v5, v7, v6
	v_mov_b32_e32 v32, 0x54
	v_mov_b32_e32 v33, 0x58
	;; [unrolled: 1-line block ×4, first 2 shown]
	v_lshlrev_b64_e32 v[6:7], 3, v[4:5]
	v_add_co_u32 v4, vcc_lo, v9, v8
	s_delay_alu instid0(VALU_DEP_1) | instskip(SKIP_3) | instid1(VALU_DEP_4)
	v_add_co_ci_u32_e64 v5, null, 0, v10, vcc_lo
	v_lshlrev_b64_e32 v[8:9], 3, v[2:3]
	v_mov_b32_e32 v10, 0
	v_mov_b32_e32 v36, 0x64
	v_lshlrev_b64_e32 v[44:45], 3, v[4:5]
	v_mov_b32_e32 v37, 0x68
	v_mov_b32_e32 v38, 0x6c
	v_add_co_u32 v42, vcc_lo, v6, v8
	s_wait_alu 0xfffd
	v_add_co_ci_u32_e64 v43, null, v7, v9, vcc_lo
	v_add_co_u32 v6, vcc_lo, s16, v44
	v_mov_b32_e32 v39, 0x70
	v_mov_b32_e32 v40, 0x74
	;; [unrolled: 1-line block ×3, first 2 shown]
	v_dual_mov_b32 v2, 0x7c :: v_dual_mov_b32 v11, 0
	s_wait_alu 0xfffd
	v_add_co_ci_u32_e64 v7, null, s17, v45, vcc_lo
	s_wait_alu 0xfffe
	s_mul_u64 s[18:19], s[6:7], s[14:15]
	s_lshl_b64 s[20:21], s[6:7], 3
	s_lshl_b64 s[16:17], s[18:19], 3
	;; [unrolled: 1-line block ×3, first 2 shown]
	s_branch .LBB119_3
.LBB119_2:                              ;   in Loop: Header=BB119_3 Depth=1
	s_or_b32 exec_lo, exec_lo, s22
	v_add_co_u32 v44, vcc_lo, s8, v42
	s_wait_alu 0xfffd
	v_add_co_ci_u32_e64 v45, null, s9, v43, vcc_lo
	v_add_co_u32 v46, vcc_lo, s10, v42
	s_wait_alu 0xfffd
	v_add_co_ci_u32_e64 v47, null, s11, v43, vcc_lo
	global_load_b64 v[48:49], v[44:45], off
	global_load_b64 v[50:51], v[46:47], off
	v_add_co_u32 v44, vcc_lo, v44, s20
	s_wait_alu 0xfffd
	v_add_co_ci_u32_e64 v45, null, s21, v45, vcc_lo
	v_add_co_u32 v46, vcc_lo, v46, s20
	s_wait_alu 0xfffd
	v_add_co_ci_u32_e64 v47, null, s21, v47, vcc_lo
	global_load_b64 v[52:53], v[44:45], off
	global_load_b64 v[54:55], v[46:47], off
	;; [unrolled: 8-line block ×10, first 2 shown]
	v_add_co_u32 v44, vcc_lo, v44, s20
	s_wait_alu 0xfffd
	v_add_co_ci_u32_e64 v45, null, s21, v45, vcc_lo
	v_add_co_u32 v46, vcc_lo, v46, s20
	s_wait_alu 0xfffd
	v_add_co_ci_u32_e64 v47, null, s21, v47, vcc_lo
	s_add_nc_u64 s[12:13], s[12:13], s[14:15]
	s_wait_alu 0xfffe
	v_cmp_lt_i64_e64 s22, s[12:13], s[4:5]
	s_wait_loadcnt 0x12
	v_mul_f64_e32 v[48:49], v[48:49], v[50:51]
	ds_bpermute_b32 v50, v3, v8
	ds_bpermute_b32 v51, v3, v9
	s_wait_loadcnt 0x10
	v_mul_f64_e32 v[52:53], v[52:53], v[54:55]
	s_wait_loadcnt 0xe
	v_mul_f64_e32 v[56:57], v[56:57], v[58:59]
	s_wait_loadcnt 0xc
	v_mul_f64_e32 v[60:61], v[60:61], v[62:63]
	s_wait_dscnt 0x0
	v_fma_f64 v[10:11], v[48:49], v[50:51], v[10:11]
	ds_bpermute_b32 v48, v12, v8
	ds_bpermute_b32 v49, v12, v9
	global_load_b64 v[50:51], v[44:45], off
	global_load_b64 v[54:55], v[46:47], off
	v_add_co_u32 v44, vcc_lo, v44, s20
	s_wait_alu 0xfffd
	v_add_co_ci_u32_e64 v45, null, s21, v45, vcc_lo
	v_add_co_u32 v46, vcc_lo, v46, s20
	s_wait_alu 0xfffd
	v_add_co_ci_u32_e64 v47, null, s21, v47, vcc_lo
	s_wait_loadcnt 0xc
	v_mul_f64_e32 v[64:65], v[64:65], v[66:67]
	s_wait_loadcnt 0xa
	v_mul_f64_e32 v[68:69], v[68:69], v[70:71]
	s_wait_loadcnt 0x8
	v_mul_f64_e32 v[72:73], v[72:73], v[74:75]
	s_wait_dscnt 0x0
	v_fma_f64 v[10:11], v[52:53], v[48:49], v[10:11]
	ds_bpermute_b32 v48, v13, v8
	ds_bpermute_b32 v49, v13, v9
	global_load_b64 v[52:53], v[44:45], off
	global_load_b64 v[58:59], v[46:47], off
	v_add_co_u32 v44, vcc_lo, v44, s20
	s_wait_alu 0xfffd
	v_add_co_ci_u32_e64 v45, null, s21, v45, vcc_lo
	v_add_co_u32 v46, vcc_lo, v46, s20
	s_wait_alu 0xfffd
	v_add_co_ci_u32_e64 v47, null, s21, v47, vcc_lo
	;; [unrolled: 18-line block ×3, first 2 shown]
	s_wait_dscnt 0x0
	v_fma_f64 v[10:11], v[60:61], v[48:49], v[10:11]
	ds_bpermute_b32 v48, v15, v8
	ds_bpermute_b32 v49, v15, v9
	global_load_b64 v[60:61], v[44:45], off
	global_load_b64 v[66:67], v[46:47], off
	v_add_co_u32 v44, vcc_lo, v44, s20
	s_wait_alu 0xfffd
	v_add_co_ci_u32_e64 v45, null, s21, v45, vcc_lo
	v_add_co_u32 v46, vcc_lo, v46, s20
	s_wait_alu 0xfffd
	v_add_co_ci_u32_e64 v47, null, s21, v47, vcc_lo
	s_wait_dscnt 0x0
	v_fma_f64 v[10:11], v[64:65], v[48:49], v[10:11]
	ds_bpermute_b32 v48, v16, v8
	ds_bpermute_b32 v49, v16, v9
	global_load_b64 v[64:65], v[44:45], off
	global_load_b64 v[70:71], v[46:47], off
	v_add_co_u32 v44, vcc_lo, v44, s20
	s_wait_alu 0xfffd
	v_add_co_ci_u32_e64 v45, null, s21, v45, vcc_lo
	v_add_co_u32 v46, vcc_lo, v46, s20
	s_wait_alu 0xfffd
	v_add_co_ci_u32_e64 v47, null, s21, v47, vcc_lo
	;; [unrolled: 12-line block ×6, first 2 shown]
	s_wait_loadcnt 0x10
	v_mul_f64_e32 v[50:51], v[50:51], v[54:55]
	s_wait_dscnt 0x0
	v_fma_f64 v[10:11], v[84:85], v[48:49], v[10:11]
	ds_bpermute_b32 v48, v21, v8
	ds_bpermute_b32 v49, v21, v9
	global_load_b64 v[54:55], v[44:45], off
	global_load_b64 v[84:85], v[46:47], off
	v_add_co_u32 v44, vcc_lo, v44, s20
	s_wait_alu 0xfffd
	v_add_co_ci_u32_e64 v45, null, s21, v45, vcc_lo
	v_add_co_u32 v46, vcc_lo, v46, s20
	s_wait_alu 0xfffd
	v_add_co_ci_u32_e64 v47, null, s21, v47, vcc_lo
	s_wait_loadcnt 0x10
	v_mul_f64_e32 v[52:53], v[52:53], v[58:59]
	s_wait_dscnt 0x0
	v_fma_f64 v[10:11], v[50:51], v[48:49], v[10:11]
	ds_bpermute_b32 v48, v22, v8
	ds_bpermute_b32 v49, v22, v9
	global_load_b64 v[50:51], v[44:45], off
	global_load_b64 v[58:59], v[46:47], off
	v_add_co_u32 v44, vcc_lo, v44, s20
	s_wait_alu 0xfffd
	v_add_co_ci_u32_e64 v45, null, s21, v45, vcc_lo
	v_add_co_u32 v46, vcc_lo, v46, s20
	s_wait_alu 0xfffd
	v_add_co_ci_u32_e64 v47, null, s21, v47, vcc_lo
	;; [unrolled: 14-line block ×12, first 2 shown]
	global_load_b64 v[44:45], v[44:45], off
	global_load_b64 v[46:47], v[46:47], off
	v_add_co_u32 v42, vcc_lo, v42, s16
	s_wait_alu 0xfffd
	v_add_co_ci_u32_e64 v43, null, s17, v43, vcc_lo
	s_wait_loadcnt 0x12
	v_mul_f64_e32 v[56:57], v[56:57], v[66:67]
	v_add_co_u32 v6, vcc_lo, v6, s18
	s_wait_alu 0xfffd
	v_add_co_ci_u32_e64 v7, null, s19, v7, vcc_lo
	v_add_co_u32 v4, vcc_lo, v4, s14
	s_wait_alu 0xfffd
	v_add_co_ci_u32_e64 v5, null, 0, v5, vcc_lo
	s_and_b32 vcc_lo, exec_lo, s22
	s_wait_dscnt 0x0
	v_fma_f64 v[10:11], v[52:53], v[48:49], v[10:11]
	ds_bpermute_b32 v48, v33, v8
	ds_bpermute_b32 v49, v33, v9
	s_wait_loadcnt 0x10
	v_mul_f64_e32 v[52:53], v[60:61], v[70:71]
	s_wait_dscnt 0x0
	v_fma_f64 v[10:11], v[56:57], v[48:49], v[10:11]
	ds_bpermute_b32 v48, v34, v8
	ds_bpermute_b32 v49, v34, v9
	s_wait_loadcnt 0xe
	v_mul_f64_e32 v[56:57], v[64:65], v[74:75]
	;; [unrolled: 6-line block ×8, first 2 shown]
	s_wait_loadcnt 0x0
	v_mul_f64_e32 v[44:45], v[44:45], v[46:47]
	s_wait_dscnt 0x0
	v_fma_f64 v[10:11], v[52:53], v[48:49], v[10:11]
	ds_bpermute_b32 v48, v41, v8
	ds_bpermute_b32 v49, v41, v9
	ds_bpermute_b32 v8, v2, v8
	ds_bpermute_b32 v9, v2, v9
	s_wait_dscnt 0x2
	v_fma_f64 v[10:11], v[50:51], v[48:49], v[10:11]
	s_wait_dscnt 0x0
	s_delay_alu instid0(VALU_DEP_1)
	v_fma_f64 v[10:11], v[44:45], v[8:9], v[10:11]
	s_wait_alu 0xfffe
	s_cbranch_vccz .LBB119_5
.LBB119_3:                              ; =>This Inner Loop Header: Depth=1
	v_mov_b32_e32 v8, 0
	v_mov_b32_e32 v9, 0
	s_mov_b32 s22, exec_lo
	v_cmpx_gt_i64_e64 s[4:5], v[4:5]
	s_cbranch_execz .LBB119_2
; %bb.4:                                ;   in Loop: Header=BB119_3 Depth=1
	global_load_b64 v[8:9], v[6:7], off
	s_branch .LBB119_2
.LBB119_5:
	s_cmp_eq_u64 s[2:3], 0
	s_cbranch_scc1 .LBB119_7
; %bb.6:
	s_load_u16 s0, s[0:1], 0x4e
	v_mov_b32_e32 v2, 0
	s_mov_b32 s4, ttmp9
	s_mov_b32 s5, 0
	v_lshlrev_b32_e32 v0, 3, v0
	s_wait_kmcnt 0x0
	v_mad_co_u64_u32 v[1:2], null, s0, ttmp7, v[1:2]
	s_wait_alu 0xfffe
	s_lshl_b64 s[0:1], s[4:5], 9
	s_delay_alu instid0(VALU_DEP_1) | instskip(NEXT) | instid1(VALU_DEP_2)
	v_mul_lo_u32 v3, v2, s6
	v_mul_lo_u32 v4, v1, s7
	v_mad_co_u64_u32 v[1:2], null, v1, s6, 0
	s_delay_alu instid0(VALU_DEP_1) | instskip(NEXT) | instid1(VALU_DEP_1)
	v_add3_u32 v2, v2, v4, v3
	v_lshlrev_b64_e32 v[1:2], 3, v[1:2]
	s_delay_alu instid0(VALU_DEP_1) | instskip(SKIP_1) | instid1(VALU_DEP_2)
	v_add_co_u32 v1, vcc_lo, s2, v1
	s_wait_alu 0xfffd
	v_add_co_ci_u32_e64 v2, null, s3, v2, vcc_lo
	s_wait_alu 0xfffe
	s_delay_alu instid0(VALU_DEP_2) | instskip(SKIP_1) | instid1(VALU_DEP_2)
	v_add_co_u32 v1, vcc_lo, v1, s0
	s_wait_alu 0xfffd
	v_add_co_ci_u32_e64 v2, null, s1, v2, vcc_lo
	s_delay_alu instid0(VALU_DEP_2) | instskip(SKIP_1) | instid1(VALU_DEP_2)
	v_add_co_u32 v0, vcc_lo, v1, v0
	s_wait_alu 0xfffd
	v_add_co_ci_u32_e64 v1, null, 0, v2, vcc_lo
	global_store_b64 v[0:1], v[10:11], off
.LBB119_7:
	s_endpgm
	.section	.rodata,"a",@progbits
	.p2align	6, 0x0
	.amdhsa_kernel _ZN2at6native12_GLOBAL__N_135GammaBetaBackwardCUDAKernelTemplateIddLj64ELj1ELj32ELb1ELb1ELb1EEEvllPKT_S5_PKT0_S8_PS3_S9_
		.amdhsa_group_segment_fixed_size 0
		.amdhsa_private_segment_fixed_size 0
		.amdhsa_kernarg_size 320
		.amdhsa_user_sgpr_count 2
		.amdhsa_user_sgpr_dispatch_ptr 0
		.amdhsa_user_sgpr_queue_ptr 0
		.amdhsa_user_sgpr_kernarg_segment_ptr 1
		.amdhsa_user_sgpr_dispatch_id 0
		.amdhsa_user_sgpr_private_segment_size 0
		.amdhsa_wavefront_size32 1
		.amdhsa_uses_dynamic_stack 0
		.amdhsa_enable_private_segment 0
		.amdhsa_system_sgpr_workgroup_id_x 1
		.amdhsa_system_sgpr_workgroup_id_y 1
		.amdhsa_system_sgpr_workgroup_id_z 0
		.amdhsa_system_sgpr_workgroup_info 0
		.amdhsa_system_vgpr_workitem_id 1
		.amdhsa_next_free_vgpr 88
		.amdhsa_next_free_sgpr 23
		.amdhsa_reserve_vcc 1
		.amdhsa_float_round_mode_32 0
		.amdhsa_float_round_mode_16_64 0
		.amdhsa_float_denorm_mode_32 3
		.amdhsa_float_denorm_mode_16_64 3
		.amdhsa_fp16_overflow 0
		.amdhsa_workgroup_processor_mode 1
		.amdhsa_memory_ordered 1
		.amdhsa_forward_progress 1
		.amdhsa_inst_pref_size 32
		.amdhsa_round_robin_scheduling 0
		.amdhsa_exception_fp_ieee_invalid_op 0
		.amdhsa_exception_fp_denorm_src 0
		.amdhsa_exception_fp_ieee_div_zero 0
		.amdhsa_exception_fp_ieee_overflow 0
		.amdhsa_exception_fp_ieee_underflow 0
		.amdhsa_exception_fp_ieee_inexact 0
		.amdhsa_exception_int_div_zero 0
	.end_amdhsa_kernel
	.section	.text._ZN2at6native12_GLOBAL__N_135GammaBetaBackwardCUDAKernelTemplateIddLj64ELj1ELj32ELb1ELb1ELb1EEEvllPKT_S5_PKT0_S8_PS3_S9_,"axG",@progbits,_ZN2at6native12_GLOBAL__N_135GammaBetaBackwardCUDAKernelTemplateIddLj64ELj1ELj32ELb1ELb1ELb1EEEvllPKT_S5_PKT0_S8_PS3_S9_,comdat
.Lfunc_end119:
	.size	_ZN2at6native12_GLOBAL__N_135GammaBetaBackwardCUDAKernelTemplateIddLj64ELj1ELj32ELb1ELb1ELb1EEEvllPKT_S5_PKT0_S8_PS3_S9_, .Lfunc_end119-_ZN2at6native12_GLOBAL__N_135GammaBetaBackwardCUDAKernelTemplateIddLj64ELj1ELj32ELb1ELb1ELb1EEEvllPKT_S5_PKT0_S8_PS3_S9_
                                        ; -- End function
	.set _ZN2at6native12_GLOBAL__N_135GammaBetaBackwardCUDAKernelTemplateIddLj64ELj1ELj32ELb1ELb1ELb1EEEvllPKT_S5_PKT0_S8_PS3_S9_.num_vgpr, 88
	.set _ZN2at6native12_GLOBAL__N_135GammaBetaBackwardCUDAKernelTemplateIddLj64ELj1ELj32ELb1ELb1ELb1EEEvllPKT_S5_PKT0_S8_PS3_S9_.num_agpr, 0
	.set _ZN2at6native12_GLOBAL__N_135GammaBetaBackwardCUDAKernelTemplateIddLj64ELj1ELj32ELb1ELb1ELb1EEEvllPKT_S5_PKT0_S8_PS3_S9_.numbered_sgpr, 23
	.set _ZN2at6native12_GLOBAL__N_135GammaBetaBackwardCUDAKernelTemplateIddLj64ELj1ELj32ELb1ELb1ELb1EEEvllPKT_S5_PKT0_S8_PS3_S9_.num_named_barrier, 0
	.set _ZN2at6native12_GLOBAL__N_135GammaBetaBackwardCUDAKernelTemplateIddLj64ELj1ELj32ELb1ELb1ELb1EEEvllPKT_S5_PKT0_S8_PS3_S9_.private_seg_size, 0
	.set _ZN2at6native12_GLOBAL__N_135GammaBetaBackwardCUDAKernelTemplateIddLj64ELj1ELj32ELb1ELb1ELb1EEEvllPKT_S5_PKT0_S8_PS3_S9_.uses_vcc, 1
	.set _ZN2at6native12_GLOBAL__N_135GammaBetaBackwardCUDAKernelTemplateIddLj64ELj1ELj32ELb1ELb1ELb1EEEvllPKT_S5_PKT0_S8_PS3_S9_.uses_flat_scratch, 0
	.set _ZN2at6native12_GLOBAL__N_135GammaBetaBackwardCUDAKernelTemplateIddLj64ELj1ELj32ELb1ELb1ELb1EEEvllPKT_S5_PKT0_S8_PS3_S9_.has_dyn_sized_stack, 0
	.set _ZN2at6native12_GLOBAL__N_135GammaBetaBackwardCUDAKernelTemplateIddLj64ELj1ELj32ELb1ELb1ELb1EEEvllPKT_S5_PKT0_S8_PS3_S9_.has_recursion, 0
	.set _ZN2at6native12_GLOBAL__N_135GammaBetaBackwardCUDAKernelTemplateIddLj64ELj1ELj32ELb1ELb1ELb1EEEvllPKT_S5_PKT0_S8_PS3_S9_.has_indirect_call, 0
	.section	.AMDGPU.csdata,"",@progbits
; Kernel info:
; codeLenInByte = 4028
; TotalNumSgprs: 25
; NumVgprs: 88
; ScratchSize: 0
; MemoryBound: 0
; FloatMode: 240
; IeeeMode: 1
; LDSByteSize: 0 bytes/workgroup (compile time only)
; SGPRBlocks: 0
; VGPRBlocks: 10
; NumSGPRsForWavesPerEU: 25
; NumVGPRsForWavesPerEU: 88
; Occupancy: 16
; WaveLimiterHint : 0
; COMPUTE_PGM_RSRC2:SCRATCH_EN: 0
; COMPUTE_PGM_RSRC2:USER_SGPR: 2
; COMPUTE_PGM_RSRC2:TRAP_HANDLER: 0
; COMPUTE_PGM_RSRC2:TGID_X_EN: 1
; COMPUTE_PGM_RSRC2:TGID_Y_EN: 1
; COMPUTE_PGM_RSRC2:TGID_Z_EN: 0
; COMPUTE_PGM_RSRC2:TIDIG_COMP_CNT: 1
	.section	.text._ZN2at6native12_GLOBAL__N_135GammaBetaBackwardCUDAKernelTemplateIddLj64ELj1ELj32ELb1ELb0ELb1EEEvllPKT_S5_PKT0_S8_PS3_S9_,"axG",@progbits,_ZN2at6native12_GLOBAL__N_135GammaBetaBackwardCUDAKernelTemplateIddLj64ELj1ELj32ELb1ELb0ELb1EEEvllPKT_S5_PKT0_S8_PS3_S9_,comdat
	.globl	_ZN2at6native12_GLOBAL__N_135GammaBetaBackwardCUDAKernelTemplateIddLj64ELj1ELj32ELb1ELb0ELb1EEEvllPKT_S5_PKT0_S8_PS3_S9_ ; -- Begin function _ZN2at6native12_GLOBAL__N_135GammaBetaBackwardCUDAKernelTemplateIddLj64ELj1ELj32ELb1ELb0ELb1EEEvllPKT_S5_PKT0_S8_PS3_S9_
	.p2align	8
	.type	_ZN2at6native12_GLOBAL__N_135GammaBetaBackwardCUDAKernelTemplateIddLj64ELj1ELj32ELb1ELb0ELb1EEEvllPKT_S5_PKT0_S8_PS3_S9_,@function
_ZN2at6native12_GLOBAL__N_135GammaBetaBackwardCUDAKernelTemplateIddLj64ELj1ELj32ELb1ELb0ELb1EEEvllPKT_S5_PKT0_S8_PS3_S9_: ; @_ZN2at6native12_GLOBAL__N_135GammaBetaBackwardCUDAKernelTemplateIddLj64ELj1ELj32ELb1ELb0ELb1EEEvllPKT_S5_PKT0_S8_PS3_S9_
; %bb.0:
	s_clause 0x1
	s_load_b256 s[4:11], s[0:1], 0x0
	s_load_b64 s[12:13], s[0:1], 0x28
	s_lshl_b32 s28, ttmp9, 6
	s_mov_b32 s15, 0
	s_or_b32 s14, s28, 63
	s_wait_kmcnt 0x0
	v_cmp_le_i64_e64 s2, s[6:7], s[14:15]
	s_lshl_b32 s14, ttmp7, 5
	s_wait_alu 0xfffe
	v_cmp_gt_i64_e64 s29, s[4:5], s[14:15]
	s_and_b32 vcc_lo, exec_lo, s2
	v_cndmask_b32_e64 v1, 0, 1, s29
	s_delay_alu instid0(VALU_DEP_1)
	v_cmp_ne_u32_e64 s2, 1, v1
	s_cbranch_vccz .LBB120_140
; %bb.1:
	v_mov_b32_e32 v125, 0
	v_mov_b32_e32 v126, 0
	s_and_b32 vcc_lo, exec_lo, s2
	s_cbranch_vccnz .LBB120_142
; %bb.2:
	v_bfe_u32 v1, v0, 10, 10
	v_mov_b32_e32 v125, 0
	s_load_b32 s3, s[0:1], 0x44
	s_mov_b32 s17, 0
	s_add_nc_u64 s[18:19], s[0:1], 64
	v_dual_mov_b32 v2, 0 :: v_dual_lshlrev_b32 v137, 5, v1
	s_clause 0x1
	scratch_store_b32 off, v1, off offset:56
	scratch_store_b32 off, v0, off offset:584
	v_dual_mov_b32 v126, 0 :: v_dual_and_b32 v1, 0x3ff, v0
	v_add_co_u32 v0, s2, v137, s14
	s_delay_alu instid0(VALU_DEP_1)
	v_add_co_ci_u32_e64 v7, null, 0, 0, s2
	scratch_store_b32 off, v1, off offset:60 ; 4-byte Folded Spill
	v_mul_lo_u32 v3, s7, v0
	v_mad_co_u64_u32 v[5:6], null, s6, v0, 0
	v_mul_lo_u32 v4, s6, v7
	v_add_co_u32 v10, vcc_lo, v0, 31
	s_delay_alu instid0(VALU_DEP_1)
	v_add_co_ci_u32_e64 v8, null, 0, v7, vcc_lo
	v_add_co_u32 v12, vcc_lo, v0, 30
	s_wait_alu 0xfffd
	v_add_co_ci_u32_e64 v13, null, 0, v7, vcc_lo
	v_add3_u32 v6, v6, v4, v3
	v_mul_lo_u32 v15, s6, v8
	v_add_nc_u32_e32 v1, s28, v1
	v_mul_lo_u32 v14, s7, v10
	v_mad_co_u64_u32 v[10:11], null, s6, v10, 0
	v_lshlrev_b64_e32 v[8:9], 3, v[5:6]
	v_mul_lo_u32 v16, s7, v12
	v_mul_lo_u32 v17, s6, v13
	v_mad_co_u64_u32 v[12:13], null, s6, v12, 0
	v_cmp_gt_i64_e64 s2, s[6:7], v[1:2]
	v_lshlrev_b64_e32 v[3:4], 3, v[1:2]
	v_add_co_u32 v1, vcc_lo, s8, v8
	s_wait_alu 0xfffd
	v_add_co_ci_u32_e64 v140, null, s9, v9, vcc_lo
	v_add_co_u32 v141, vcc_lo, s10, v8
	v_add3_u32 v11, v11, v15, v14
	s_wait_alu 0xfffd
	v_add_co_ci_u32_e64 v142, null, s11, v9, vcc_lo
	v_add_co_u32 v14, vcc_lo, v0, 29
	v_add3_u32 v13, v13, v17, v16
	s_wait_alu 0xfffd
	v_add_co_ci_u32_e64 v15, null, 0, v7, vcc_lo
	v_lshlrev_b64_e32 v[8:9], 3, v[10:11]
	v_mul_lo_u32 v16, s7, v14
	v_lshlrev_b64_e32 v[10:11], 3, v[12:13]
	s_delay_alu instid0(VALU_DEP_4)
	v_mul_lo_u32 v15, s6, v15
	v_mad_co_u64_u32 v[12:13], null, s6, v14, 0
	v_add_co_u32 v143, vcc_lo, s8, v8
	s_wait_alu 0xfffd
	v_add_co_ci_u32_e64 v144, null, s9, v9, vcc_lo
	v_add_co_u32 v145, vcc_lo, s10, v8
	s_delay_alu instid0(VALU_DEP_4)
	v_add3_u32 v13, v13, v15, v16
	s_wait_alu 0xfffd
	v_add_co_ci_u32_e64 v146, null, s11, v9, vcc_lo
	v_add_co_u32 v147, vcc_lo, s8, v10
	s_wait_alu 0xfffd
	v_add_co_ci_u32_e64 v148, null, s9, v11, vcc_lo
	v_add_co_u32 v14, vcc_lo, v0, 28
	s_wait_kmcnt 0x0
	s_lshl_b32 s20, s3, 5
	v_add_co_u32 v149, s3, s10, v10
	v_lshlrev_b64_e32 v[8:9], 3, v[12:13]
	s_wait_alu 0xfffd
	v_add_co_ci_u32_e64 v10, null, 0, v7, vcc_lo
	v_add_co_u32 v12, vcc_lo, v0, 27
	s_wait_alu 0xfffd
	v_add_co_ci_u32_e64 v13, null, 0, v7, vcc_lo
	s_wait_alu 0xf1ff
	v_add_co_ci_u32_e64 v150, null, s11, v11, s3
	v_mul_lo_u32 v15, s7, v14
	v_mul_lo_u32 v16, s6, v10
	v_mad_co_u64_u32 v[10:11], null, s6, v14, 0
	v_mul_lo_u32 v14, s7, v12
	v_mul_lo_u32 v17, s6, v13
	v_mad_co_u64_u32 v[12:13], null, s6, v12, 0
	v_add_co_u32 v151, vcc_lo, s8, v8
	s_wait_alu 0xfffd
	v_add_co_ci_u32_e64 v152, null, s9, v9, vcc_lo
	v_add_co_u32 v153, vcc_lo, s10, v8
	s_wait_alu 0xfffd
	v_add_co_ci_u32_e64 v154, null, s11, v9, vcc_lo
	v_add3_u32 v13, v13, v17, v14
	v_add_co_u32 v14, vcc_lo, v0, 26
	v_add3_u32 v11, v11, v16, v15
	s_wait_alu 0xfffd
	v_add_co_ci_u32_e64 v15, null, 0, v7, vcc_lo
	s_delay_alu instid0(VALU_DEP_3)
	v_mul_lo_u32 v16, s7, v14
	s_mov_b32 s21, s17
	v_lshlrev_b64_e32 v[8:9], 3, v[10:11]
	v_lshlrev_b64_e32 v[10:11], 3, v[12:13]
	v_mul_lo_u32 v15, s6, v15
	v_mad_co_u64_u32 v[12:13], null, s6, v14, 0
	v_mov_b32_e32 v139, v2
	v_add_co_u32 v155, vcc_lo, s8, v8
	s_wait_alu 0xfffd
	v_add_co_ci_u32_e64 v156, null, s9, v9, vcc_lo
	v_add_co_u32 v157, vcc_lo, s10, v8
	v_add3_u32 v13, v13, v15, v16
	s_wait_alu 0xfffd
	v_add_co_ci_u32_e64 v158, null, s11, v9, vcc_lo
	v_add_co_u32 v159, vcc_lo, s8, v10
	s_wait_alu 0xfffd
	v_add_co_ci_u32_e64 v160, null, s9, v11, vcc_lo
	v_add_co_u32 v14, vcc_lo, v0, 25
	v_add_co_u32 v161, s3, s10, v10
	v_lshlrev_b64_e32 v[8:9], 3, v[12:13]
	s_wait_alu 0xfffd
	v_add_co_ci_u32_e64 v10, null, 0, v7, vcc_lo
	v_add_co_u32 v12, vcc_lo, v0, 24
	s_wait_alu 0xfffd
	v_add_co_ci_u32_e64 v13, null, 0, v7, vcc_lo
	s_wait_alu 0xf1ff
	v_add_co_ci_u32_e64 v162, null, s11, v11, s3
	v_mul_lo_u32 v15, s7, v14
	v_mul_lo_u32 v16, s6, v10
	v_mad_co_u64_u32 v[10:11], null, s6, v14, 0
	v_mul_lo_u32 v14, s7, v12
	v_mul_lo_u32 v17, s6, v13
	v_mad_co_u64_u32 v[12:13], null, s6, v12, 0
	v_add_co_u32 v163, vcc_lo, s8, v8
	s_wait_alu 0xfffd
	v_add_co_ci_u32_e64 v164, null, s9, v9, vcc_lo
	v_add_co_u32 v165, vcc_lo, s10, v8
	s_wait_alu 0xfffd
	v_add_co_ci_u32_e64 v166, null, s11, v9, vcc_lo
	v_add3_u32 v13, v13, v17, v14
	v_add_co_u32 v14, vcc_lo, v0, 23
	v_add3_u32 v11, v11, v16, v15
	s_wait_alu 0xfffd
	v_add_co_ci_u32_e64 v15, null, 0, v7, vcc_lo
	s_delay_alu instid0(VALU_DEP_3)
	v_mul_lo_u32 v16, s7, v14
	s_mul_u64 s[22:23], s[6:7], s[20:21]
	v_lshlrev_b64_e32 v[8:9], 3, v[10:11]
	v_lshlrev_b64_e32 v[10:11], 3, v[12:13]
	v_mul_lo_u32 v15, s6, v15
	v_mad_co_u64_u32 v[12:13], null, s6, v14, 0
	s_lshl_b64 s[22:23], s[22:23], 3
	v_add_co_u32 v167, vcc_lo, s8, v8
	s_wait_alu 0xfffd
	v_add_co_ci_u32_e64 v168, null, s9, v9, vcc_lo
	v_add_co_u32 v169, vcc_lo, s10, v8
	v_add3_u32 v13, v13, v15, v16
	s_wait_alu 0xfffd
	v_add_co_ci_u32_e64 v170, null, s11, v9, vcc_lo
	v_add_co_u32 v171, vcc_lo, s8, v10
	s_wait_alu 0xfffd
	v_add_co_ci_u32_e64 v172, null, s9, v11, vcc_lo
	v_add_co_u32 v14, vcc_lo, v0, 22
	v_add_co_u32 v173, s3, s10, v10
	v_lshlrev_b64_e32 v[8:9], 3, v[12:13]
	s_wait_alu 0xfffd
	v_add_co_ci_u32_e64 v10, null, 0, v7, vcc_lo
	v_add_co_u32 v12, vcc_lo, v0, 21
	s_wait_alu 0xfffd
	v_add_co_ci_u32_e64 v13, null, 0, v7, vcc_lo
	s_wait_alu 0xf1ff
	v_add_co_ci_u32_e64 v174, null, s11, v11, s3
	v_mul_lo_u32 v15, s7, v14
	v_mul_lo_u32 v16, s6, v10
	v_mad_co_u64_u32 v[10:11], null, s6, v14, 0
	v_mul_lo_u32 v14, s7, v12
	v_mul_lo_u32 v17, s6, v13
	v_mad_co_u64_u32 v[12:13], null, s6, v12, 0
	v_add_co_u32 v175, vcc_lo, s8, v8
	s_wait_alu 0xfffd
	v_add_co_ci_u32_e64 v176, null, s9, v9, vcc_lo
	v_add_co_u32 v177, vcc_lo, s10, v8
	s_wait_alu 0xfffd
	v_add_co_ci_u32_e64 v178, null, s11, v9, vcc_lo
	v_add3_u32 v13, v13, v17, v14
	v_add_co_u32 v14, vcc_lo, v0, 20
	v_add3_u32 v11, v11, v16, v15
	s_wait_alu 0xfffd
	v_add_co_ci_u32_e64 v15, null, 0, v7, vcc_lo
	s_delay_alu instid0(VALU_DEP_3)
	v_mul_lo_u32 v16, s7, v14
	s_mov_b64 s[24:25], 31
	v_lshlrev_b64_e32 v[8:9], 3, v[10:11]
	v_lshlrev_b64_e32 v[10:11], 3, v[12:13]
	v_mul_lo_u32 v15, s6, v15
	v_mad_co_u64_u32 v[12:13], null, s6, v14, 0
	s_mov_b64 s[26:27], s[14:15]
	v_add_co_u32 v179, vcc_lo, s8, v8
	s_wait_alu 0xfffd
	v_add_co_ci_u32_e64 v180, null, s9, v9, vcc_lo
	v_add_co_u32 v181, vcc_lo, s10, v8
	v_add3_u32 v13, v13, v15, v16
	s_wait_alu 0xfffd
	v_add_co_ci_u32_e64 v182, null, s11, v9, vcc_lo
	v_add_co_u32 v183, vcc_lo, s8, v10
	s_wait_alu 0xfffd
	v_add_co_ci_u32_e64 v184, null, s9, v11, vcc_lo
	v_add_co_u32 v14, vcc_lo, v0, 19
	v_add_co_u32 v185, s3, s10, v10
	v_lshlrev_b64_e32 v[8:9], 3, v[12:13]
	s_wait_alu 0xfffd
	v_add_co_ci_u32_e64 v10, null, 0, v7, vcc_lo
	v_add_co_u32 v12, vcc_lo, v0, 18
	s_wait_alu 0xfffd
	v_add_co_ci_u32_e64 v13, null, 0, v7, vcc_lo
	s_wait_alu 0xf1ff
	v_add_co_ci_u32_e64 v186, null, s11, v11, s3
	v_mul_lo_u32 v15, s7, v14
	v_mul_lo_u32 v16, s6, v10
	v_mad_co_u64_u32 v[10:11], null, s6, v14, 0
	v_mul_lo_u32 v14, s7, v12
	v_mul_lo_u32 v17, s6, v13
	v_mad_co_u64_u32 v[12:13], null, s6, v12, 0
	v_add_co_u32 v187, vcc_lo, s8, v8
	s_wait_alu 0xfffd
	v_add_co_ci_u32_e64 v188, null, s9, v9, vcc_lo
	v_add_co_u32 v189, vcc_lo, s10, v8
	s_wait_alu 0xfffd
	v_add_co_ci_u32_e64 v190, null, s11, v9, vcc_lo
	v_add3_u32 v13, v13, v17, v14
	v_add_co_u32 v14, vcc_lo, v0, 17
	v_add3_u32 v11, v11, v16, v15
	s_wait_alu 0xfffd
	v_add_co_ci_u32_e64 v15, null, 0, v7, vcc_lo
	s_delay_alu instid0(VALU_DEP_3) | instskip(NEXT) | instid1(VALU_DEP_3)
	v_mul_lo_u32 v16, s7, v14
	v_lshlrev_b64_e32 v[8:9], 3, v[10:11]
	v_lshlrev_b64_e32 v[10:11], 3, v[12:13]
	s_delay_alu instid0(VALU_DEP_4) | instskip(SKIP_1) | instid1(VALU_DEP_4)
	v_mul_lo_u32 v15, s6, v15
	v_mad_co_u64_u32 v[12:13], null, s6, v14, 0
	v_add_co_u32 v191, vcc_lo, s8, v8
	s_wait_alu 0xfffd
	v_add_co_ci_u32_e64 v192, null, s9, v9, vcc_lo
	v_add_co_u32 v193, vcc_lo, s10, v8
	s_delay_alu instid0(VALU_DEP_4)
	v_add3_u32 v13, v13, v15, v16
	s_wait_alu 0xfffd
	v_add_co_ci_u32_e64 v194, null, s11, v9, vcc_lo
	v_add_co_u32 v195, vcc_lo, s8, v10
	s_wait_alu 0xfffd
	v_add_co_ci_u32_e64 v196, null, s9, v11, vcc_lo
	v_add_co_u32 v14, vcc_lo, v0, 16
	v_add_co_u32 v197, s3, s10, v10
	v_lshlrev_b64_e32 v[8:9], 3, v[12:13]
	s_wait_alu 0xfffd
	v_add_co_ci_u32_e64 v10, null, 0, v7, vcc_lo
	v_add_co_u32 v12, vcc_lo, v0, 15
	s_wait_alu 0xfffd
	v_add_co_ci_u32_e64 v13, null, 0, v7, vcc_lo
	s_wait_alu 0xf1ff
	v_add_co_ci_u32_e64 v198, null, s11, v11, s3
	v_mul_lo_u32 v15, s7, v14
	v_mul_lo_u32 v16, s6, v10
	v_mad_co_u64_u32 v[10:11], null, s6, v14, 0
	v_mul_lo_u32 v14, s7, v12
	v_mul_lo_u32 v17, s6, v13
	v_mad_co_u64_u32 v[12:13], null, s6, v12, 0
	v_add_co_u32 v199, vcc_lo, s8, v8
	s_wait_alu 0xfffd
	v_add_co_ci_u32_e64 v200, null, s9, v9, vcc_lo
	v_add_co_u32 v201, vcc_lo, s10, v8
	s_wait_alu 0xfffd
	v_add_co_ci_u32_e64 v202, null, s11, v9, vcc_lo
	v_add3_u32 v13, v13, v17, v14
	v_add_co_u32 v14, vcc_lo, v0, 14
	v_add3_u32 v11, v11, v16, v15
	s_wait_alu 0xfffd
	v_add_co_ci_u32_e64 v15, null, 0, v7, vcc_lo
	s_delay_alu instid0(VALU_DEP_3) | instskip(NEXT) | instid1(VALU_DEP_3)
	v_mul_lo_u32 v16, s7, v14
	v_lshlrev_b64_e32 v[8:9], 3, v[10:11]
	v_lshlrev_b64_e32 v[10:11], 3, v[12:13]
	s_delay_alu instid0(VALU_DEP_4) | instskip(SKIP_1) | instid1(VALU_DEP_4)
	v_mul_lo_u32 v15, s6, v15
	v_mad_co_u64_u32 v[12:13], null, s6, v14, 0
	v_add_co_u32 v203, vcc_lo, s8, v8
	s_wait_alu 0xfffd
	v_add_co_ci_u32_e64 v204, null, s9, v9, vcc_lo
	v_add_co_u32 v205, vcc_lo, s10, v8
	s_delay_alu instid0(VALU_DEP_4)
	;; [unrolled: 45-line block ×4, first 2 shown]
	v_add3_u32 v13, v13, v15, v16
	s_wait_alu 0xfffd
	v_add_co_ci_u32_e64 v230, null, s11, v9, vcc_lo
	v_add_co_u32 v231, vcc_lo, s8, v10
	s_wait_alu 0xfffd
	v_add_co_ci_u32_e64 v232, null, s9, v11, vcc_lo
	v_add_co_u32 v14, vcc_lo, v0, 7
	v_add_co_u32 v233, s3, s10, v10
	v_lshlrev_b64_e32 v[8:9], 3, v[12:13]
	s_wait_alu 0xfffd
	v_add_co_ci_u32_e64 v10, null, 0, v7, vcc_lo
	v_add_co_u32 v12, vcc_lo, v0, 6
	s_wait_alu 0xfffd
	v_add_co_ci_u32_e64 v13, null, 0, v7, vcc_lo
	s_wait_alu 0xf1ff
	v_add_co_ci_u32_e64 v234, null, s11, v11, s3
	v_mul_lo_u32 v15, s7, v14
	v_mul_lo_u32 v16, s6, v10
	v_mad_co_u64_u32 v[10:11], null, s6, v14, 0
	v_mul_lo_u32 v14, s7, v12
	v_mul_lo_u32 v17, s6, v13
	v_mad_co_u64_u32 v[12:13], null, s6, v12, 0
	v_add_co_u32 v235, vcc_lo, s8, v8
	s_wait_alu 0xfffd
	v_add_co_ci_u32_e64 v236, null, s9, v9, vcc_lo
	v_add_co_u32 v237, vcc_lo, s10, v8
	v_add3_u32 v11, v11, v16, v15
	s_wait_alu 0xfffd
	v_add_co_ci_u32_e64 v238, null, s11, v9, vcc_lo
	v_add3_u32 v13, v13, v17, v14
	v_add_co_u32 v14, vcc_lo, v0, 5
	s_wait_alu 0xfffd
	v_add_co_ci_u32_e64 v15, null, 0, v7, vcc_lo
	v_lshlrev_b64_e32 v[8:9], 3, v[10:11]
	v_lshlrev_b64_e32 v[10:11], 3, v[12:13]
	v_mul_lo_u32 v16, s7, v14
	s_delay_alu instid0(VALU_DEP_4)
	v_mul_lo_u32 v15, s6, v15
	v_mad_co_u64_u32 v[12:13], null, s6, v14, 0
	v_add_co_u32 v239, vcc_lo, s8, v8
	s_wait_alu 0xfffd
	v_add_co_ci_u32_e64 v240, null, s9, v9, vcc_lo
	v_add_co_u32 v241, vcc_lo, s10, v8
	s_wait_alu 0xfffd
	v_add_co_ci_u32_e64 v242, null, s11, v9, vcc_lo
	v_add_co_u32 v243, vcc_lo, s8, v10
	v_add3_u32 v13, v13, v15, v16
	s_wait_alu 0xfffd
	v_add_co_ci_u32_e64 v244, null, s9, v11, vcc_lo
	v_add_co_u32 v14, vcc_lo, v0, 4
	v_add_co_u32 v245, s3, s10, v10
	s_wait_alu 0xfffd
	v_add_co_ci_u32_e64 v10, null, 0, v7, vcc_lo
	v_lshlrev_b64_e32 v[8:9], 3, v[12:13]
	v_add_co_u32 v12, vcc_lo, v0, 3
	s_wait_alu 0xfffd
	v_add_co_ci_u32_e64 v13, null, 0, v7, vcc_lo
	s_wait_alu 0xf1ff
	v_add_co_ci_u32_e64 v246, null, s11, v11, s3
	v_mul_lo_u32 v15, s7, v14
	v_mul_lo_u32 v16, s6, v10
	v_mad_co_u64_u32 v[10:11], null, s6, v14, 0
	v_mul_lo_u32 v14, s7, v12
	v_mul_lo_u32 v17, s6, v13
	v_mad_co_u64_u32 v[12:13], null, s6, v12, 0
	v_add_co_u32 v247, vcc_lo, s8, v8
	s_wait_alu 0xfffd
	v_add_co_ci_u32_e64 v248, null, s9, v9, vcc_lo
	v_add3_u32 v11, v11, v16, v15
	v_add_co_u32 v249, vcc_lo, s10, v8
	s_wait_alu 0xfffd
	v_add_co_ci_u32_e64 v250, null, s11, v9, vcc_lo
	v_add_co_u32 v0, vcc_lo, v0, 2
	v_add3_u32 v13, v13, v17, v14
	s_wait_alu 0xfffd
	v_add_co_ci_u32_e64 v7, null, 0, v7, vcc_lo
	v_lshlrev_b64_e32 v[8:9], 3, v[10:11]
	v_mad_co_u64_u32 v[14:15], null, s6, v0, 0
	v_lshlrev_b64_e32 v[10:11], 3, v[12:13]
	v_mul_lo_u32 v12, s7, v0
	v_mul_lo_u32 v7, s6, v7
	v_add_co_u32 v251, vcc_lo, s8, v8
	s_wait_alu 0xfffd
	v_add_co_ci_u32_e64 v252, null, s9, v9, vcc_lo
	v_add_co_u32 v253, vcc_lo, s10, v8
	s_wait_alu 0xfffd
	v_add_co_ci_u32_e64 v254, null, s11, v9, vcc_lo
	;; [unrolled: 3-line block ×3, first 2 shown]
	v_add3_u32 v15, v15, v7, v12
	v_add_co_u32 v138, vcc_lo, s10, v10
	s_wait_alu 0xfffd
	v_add_co_ci_u32_e64 v13, null, s11, v11, vcc_lo
	v_add_co_u32 v5, vcc_lo, v5, s6
	s_wait_alu 0xfffd
	v_add_co_ci_u32_e64 v6, null, s7, v6, vcc_lo
	v_lshlrev_b64_e32 v[7:8], 3, v[14:15]
	s_delay_alu instid0(VALU_DEP_2) | instskip(NEXT) | instid1(VALU_DEP_2)
	v_lshlrev_b64_e32 v[5:6], 3, v[5:6]
	v_add_co_u32 v14, vcc_lo, s8, v7
	s_wait_alu 0xfffd
	s_delay_alu instid0(VALU_DEP_3)
	v_add_co_ci_u32_e64 v15, null, s9, v8, vcc_lo
	v_add_co_u32 v16, vcc_lo, s10, v7
	s_wait_alu 0xfffd
	v_add_co_ci_u32_e64 v17, null, s11, v8, vcc_lo
	v_add_co_u32 v18, vcc_lo, s8, v5
	s_wait_alu 0xfffd
	;; [unrolled: 3-line block ×3, first 2 shown]
	v_add_co_ci_u32_e64 v21, null, s11, v6, vcc_lo
	s_branch .LBB120_5
.LBB120_3:                              ;   in Loop: Header=BB120_5 Depth=1
	s_wait_alu 0xfffe
	s_or_b32 exec_lo, exec_lo, s3
	scratch_load_b64 v[9:10], off, off th:TH_LOAD_LU ; 8-byte Folded Reload
	ds_bpermute_b32 v22, v2, v5 offset:12
	s_wait_loadcnt 0x0
	v_mul_f64_e32 v[7:8], v[7:8], v[9:10]
	ds_bpermute_b32 v9, v2, v5
	ds_bpermute_b32 v10, v2, v6
	s_wait_dscnt 0x0
	v_fma_f64 v[7:8], v[7:8], v[9:10], v[125:126]
	s_clause 0x1
	scratch_load_b64 v[9:10], off, off offset:16 th:TH_LOAD_LU
	scratch_load_b64 v[125:126], off, off offset:24 th:TH_LOAD_LU
	s_wait_loadcnt 0x0
	v_mul_f64_e32 v[9:10], v[9:10], v[125:126]
	ds_bpermute_b32 v125, v2, v5 offset:4
	ds_bpermute_b32 v126, v2, v6 offset:4
	s_wait_dscnt 0x0
	v_fma_f64 v[7:8], v[9:10], v[125:126], v[7:8]
	scratch_load_b64 v[9:10], off, off offset:8 th:TH_LOAD_LU ; 8-byte Folded Reload
	ds_bpermute_b32 v125, v2, v5 offset:8
	ds_bpermute_b32 v126, v2, v6 offset:8
	s_wait_loadcnt 0x0
	v_mul_f64_e32 v[9:10], v[9:10], v[11:12]
	ds_bpermute_b32 v11, v2, v5 offset:16
	ds_bpermute_b32 v12, v2, v6 offset:16
	s_wait_dscnt 0x2
	v_fma_f64 v[7:8], v[9:10], v[125:126], v[7:8]
	v_mul_f64_e32 v[9:10], v[135:136], v[23:24]
	ds_bpermute_b32 v23, v2, v6 offset:12
	s_wait_dscnt 0x0
	v_fma_f64 v[7:8], v[9:10], v[22:23], v[7:8]
	scratch_load_b64 v[9:10], off, off offset:32 th:TH_LOAD_LU ; 8-byte Folded Reload
	ds_bpermute_b32 v22, v2, v5 offset:60
	ds_bpermute_b32 v23, v2, v6 offset:60
	s_wait_loadcnt 0x0
	v_mul_f64_e32 v[9:10], v[9:10], v[25:26]
	s_delay_alu instid0(VALU_DEP_1)
	v_fma_f64 v[7:8], v[9:10], v[11:12], v[7:8]
	v_mul_f64_e32 v[9:10], v[29:30], v[31:32]
	ds_bpermute_b32 v11, v2, v5 offset:20
	ds_bpermute_b32 v12, v2, v6 offset:20
	s_wait_dscnt 0x0
	v_fma_f64 v[7:8], v[9:10], v[11:12], v[7:8]
	v_mul_f64_e32 v[9:10], v[27:28], v[33:34]
	ds_bpermute_b32 v11, v2, v5 offset:24
	ds_bpermute_b32 v12, v2, v6 offset:24
	s_wait_dscnt 0x0
	;; [unrolled: 5-line block ×10, first 2 shown]
	v_fma_f64 v[7:8], v[9:10], v[11:12], v[7:8]
	v_mul_f64_e32 v[9:10], v[69:70], v[71:72]
	v_mul_f64_e32 v[11:12], v[67:68], v[77:78]
	s_delay_alu instid0(VALU_DEP_2)
	v_fma_f64 v[7:8], v[9:10], v[22:23], v[7:8]
	ds_bpermute_b32 v9, v2, v5 offset:64
	ds_bpermute_b32 v10, v2, v6 offset:64
	v_mul_f64_e32 v[22:23], v[79:80], v[81:82]
	s_wait_dscnt 0x0
	v_fma_f64 v[7:8], v[11:12], v[9:10], v[7:8]
	ds_bpermute_b32 v9, v2, v5 offset:68
	ds_bpermute_b32 v10, v2, v6 offset:68
	v_mul_f64_e32 v[11:12], v[73:74], v[83:84]
	s_wait_dscnt 0x0
	;; [unrolled: 5-line block ×13, first 2 shown]
	v_fma_f64 v[7:8], v[11:12], v[9:10], v[7:8]
	ds_bpermute_b32 v9, v2, v5 offset:116
	ds_bpermute_b32 v10, v2, v6 offset:116
	;; [unrolled: 1-line block ×4, first 2 shown]
	s_wait_dscnt 0x2
	v_fma_f64 v[7:8], v[22:23], v[9:10], v[7:8]
	v_mul_f64_e32 v[9:10], v[127:128], v[133:134]
	s_wait_dscnt 0x0
	s_delay_alu instid0(VALU_DEP_1)
	v_fma_f64 v[9:10], v[9:10], v[11:12], v[7:8]
	ds_bpermute_b32 v7, v2, v5 offset:124
	ds_bpermute_b32 v8, v2, v6 offset:124
.LBB120_4:                              ;   in Loop: Header=BB120_5 Depth=1
	v_add_co_u32 v1, vcc_lo, v1, s22
	s_wait_alu 0xfffd
	v_add_co_ci_u32_e64 v140, null, s23, v140, vcc_lo
	v_add_co_u32 v141, vcc_lo, v141, s22
	s_wait_alu 0xfffd
	v_add_co_ci_u32_e64 v142, null, s23, v142, vcc_lo
	;; [unrolled: 3-line block ×48, first 2 shown]
	v_add_co_u32 v235, vcc_lo, v235, s22
	s_wait_dscnt 0x0
	v_fma_f64 v[125:126], v[75:76], v[7:8], v[9:10]
	s_wait_alu 0xfffd
	v_add_co_ci_u32_e64 v236, null, s23, v236, vcc_lo
	v_add_co_u32 v237, vcc_lo, v237, s22
	s_wait_alu 0xfffd
	v_add_co_ci_u32_e64 v238, null, s23, v238, vcc_lo
	v_add_co_u32 v239, vcc_lo, v239, s22
	;; [unrolled: 3-line block ×14, first 2 shown]
	s_add_nc_u64 s[26:27], s[26:27], s[20:21]
	s_wait_alu 0xfffd
	v_add_co_ci_u32_e64 v19, null, s23, v19, vcc_lo
	v_add_co_u32 v20, vcc_lo, v20, s22
	s_wait_alu 0xfffe
	v_cmp_lt_i64_e64 s3, s[26:27], s[4:5]
	s_wait_alu 0xfffd
	v_add_co_ci_u32_e64 v21, null, s23, v21, vcc_lo
	v_add_co_u32 v137, vcc_lo, v137, s20
	s_wait_alu 0xfffd
	v_add_co_ci_u32_e64 v139, null, 0, v139, vcc_lo
	s_and_b32 vcc_lo, exec_lo, s3
	s_add_nc_u64 s[24:25], s[24:25], s[20:21]
	s_wait_alu 0xfffe
	s_cbranch_vccz .LBB120_141
.LBB120_5:                              ; =>This Inner Loop Header: Depth=1
	s_add_nc_u64 s[30:31], s[14:15], s[24:25]
	v_add_co_u32 v5, vcc_lo, s14, v137
	s_wait_alu 0xfffe
	v_cmp_ge_i64_e64 s3, s[30:31], s[4:5]
	s_wait_alu 0xfffd
	v_add_co_ci_u32_e64 v6, null, 0, v139, vcc_lo
                                        ; implicit-def: $vgpr9_vgpr10
                                        ; implicit-def: $vgpr75_vgpr76
                                        ; implicit-def: $vgpr7
	s_and_b32 vcc_lo, exec_lo, s3
	s_mov_b32 s3, -1
	s_wait_alu 0xfffe
	s_cbranch_vccz .LBB120_73
; %bb.6:                                ;   in Loop: Header=BB120_5 Depth=1
	s_load_b32 s3, s[18:19], 0xc
	s_clause 0x1
	scratch_load_b32 v7, off, off offset:56
	scratch_load_b32 v8, off, off offset:60
	v_mov_b32_e32 v22, 0
	v_mov_b32_e32 v23, 0
	s_wait_kmcnt 0x0
	s_and_b32 s3, s3, 0xffff
	s_wait_loadcnt 0x0
	s_wait_alu 0xfffe
	v_mad_u32_u24 v7, v7, s3, v8
	s_mov_b32 s3, exec_lo
	s_delay_alu instid0(VALU_DEP_1) | instskip(NEXT) | instid1(VALU_DEP_1)
	v_and_b32_e32 v7, 31, v7
	v_add_co_u32 v11, vcc_lo, v5, v7
	v_mov_b32_e32 v7, 0
	s_wait_alu 0xfffd
	v_add_co_ci_u32_e64 v12, null, 0, v6, vcc_lo
	v_mov_b32_e32 v8, 0
	s_delay_alu instid0(VALU_DEP_2)
	v_cmpx_gt_i64_e64 s[4:5], v[11:12]
	s_cbranch_execz .LBB120_8
; %bb.7:                                ;   in Loop: Header=BB120_5 Depth=1
	v_lshlrev_b64_e32 v[7:8], 3, v[11:12]
	s_delay_alu instid0(VALU_DEP_1) | instskip(SKIP_1) | instid1(VALU_DEP_2)
	v_add_co_u32 v7, vcc_lo, s12, v7
	s_wait_alu 0xfffd
	v_add_co_ci_u32_e64 v8, null, s13, v8, vcc_lo
	global_load_b64 v[7:8], v[7:8], off
.LBB120_8:                              ;   in Loop: Header=BB120_5 Depth=1
	s_wait_alu 0xfffe
	s_or_b32 exec_lo, exec_lo, s3
	v_cmp_gt_i64_e32 vcc_lo, s[4:5], v[5:6]
	v_mov_b32_e32 v9, 0
	v_mov_b32_e32 v10, 0
	s_and_b32 s16, s2, vcc_lo
	scratch_store_b64 off, v[9:10], off     ; 8-byte Folded Spill
	s_and_saveexec_b32 s3, s16
	s_cbranch_execz .LBB120_10
; %bb.9:                                ;   in Loop: Header=BB120_5 Depth=1
	v_add_co_u32 v9, vcc_lo, v1, v3
	s_wait_alu 0xfffd
	v_add_co_ci_u32_e64 v10, null, v140, v4, vcc_lo
	v_add_co_u32 v11, vcc_lo, v141, v3
	s_wait_alu 0xfffd
	v_add_co_ci_u32_e64 v12, null, v142, v4, vcc_lo
	global_load_b64 v[22:23], v[9:10], off
	global_load_b64 v[9:10], v[11:12], off
	s_wait_loadcnt 0x0
	scratch_store_b64 off, v[9:10], off     ; 8-byte Folded Spill
.LBB120_10:                             ;   in Loop: Header=BB120_5 Depth=1
	s_wait_alu 0xfffe
	s_or_b32 exec_lo, exec_lo, s3
	v_add_co_u32 v9, vcc_lo, v5, 1
	s_wait_alu 0xfffd
	v_add_co_ci_u32_e64 v10, null, 0, v6, vcc_lo
	s_delay_alu instid0(VALU_DEP_1)
	v_cmp_gt_i64_e32 vcc_lo, s[4:5], v[9:10]
	v_mov_b32_e32 v9, 0
	v_mov_b32_e32 v10, 0
	s_and_b32 s16, s2, vcc_lo
	scratch_store_b64 off, v[9:10], off offset:8 ; 8-byte Folded Spill
	v_mov_b32_e32 v9, 0
	v_mov_b32_e32 v10, 0
	scratch_store_b64 off, v[9:10], off offset:16 ; 8-byte Folded Spill
	v_mov_b32_e32 v9, 0
	v_mov_b32_e32 v10, 0
	scratch_store_b64 off, v[9:10], off offset:24 ; 8-byte Folded Spill
	s_and_saveexec_b32 s3, s16
	s_cbranch_execz .LBB120_12
; %bb.11:                               ;   in Loop: Header=BB120_5 Depth=1
	v_add_co_u32 v9, vcc_lo, v18, v3
	s_wait_alu 0xfffd
	v_add_co_ci_u32_e64 v10, null, v19, v4, vcc_lo
	v_add_co_u32 v11, vcc_lo, v20, v3
	s_wait_alu 0xfffd
	v_add_co_ci_u32_e64 v12, null, v21, v4, vcc_lo
	global_load_b64 v[9:10], v[9:10], off
	s_wait_loadcnt 0x0
	scratch_store_b64 off, v[9:10], off offset:16 ; 8-byte Folded Spill
	global_load_b64 v[9:10], v[11:12], off
	s_wait_loadcnt 0x0
	scratch_store_b64 off, v[9:10], off offset:24 ; 8-byte Folded Spill
.LBB120_12:                             ;   in Loop: Header=BB120_5 Depth=1
	s_wait_alu 0xfffe
	s_or_b32 exec_lo, exec_lo, s3
	v_add_co_u32 v9, vcc_lo, v5, 2
	s_wait_alu 0xfffd
	v_add_co_ci_u32_e64 v10, null, 0, v6, vcc_lo
	v_mov_b32_e32 v11, 0
	v_mov_b32_e32 v12, 0
	s_delay_alu instid0(VALU_DEP_3) | instskip(SKIP_1) | instid1(SALU_CYCLE_1)
	v_cmp_gt_i64_e32 vcc_lo, s[4:5], v[9:10]
	s_and_b32 s16, s2, vcc_lo
	s_and_saveexec_b32 s3, s16
	s_cbranch_execz .LBB120_14
; %bb.13:                               ;   in Loop: Header=BB120_5 Depth=1
	v_add_co_u32 v9, vcc_lo, v14, v3
	s_wait_alu 0xfffd
	v_add_co_ci_u32_e64 v10, null, v15, v4, vcc_lo
	v_add_co_u32 v11, vcc_lo, v16, v3
	s_wait_alu 0xfffd
	v_add_co_ci_u32_e64 v12, null, v17, v4, vcc_lo
	global_load_b64 v[9:10], v[9:10], off
	global_load_b64 v[11:12], v[11:12], off
	s_wait_loadcnt 0x1
	scratch_store_b64 off, v[9:10], off offset:8 ; 8-byte Folded Spill
.LBB120_14:                             ;   in Loop: Header=BB120_5 Depth=1
	s_wait_alu 0xfffe
	s_or_b32 exec_lo, exec_lo, s3
	v_add_co_u32 v9, vcc_lo, v5, 3
	s_wait_alu 0xfffd
	v_add_co_ci_u32_e64 v10, null, 0, v6, vcc_lo
	s_delay_alu instid0(VALU_DEP_1)
	v_cmp_gt_i64_e32 vcc_lo, s[4:5], v[9:10]
	v_mov_b32_e32 v9, 0
	v_mov_b32_e32 v10, 0
	s_and_b32 s16, s2, vcc_lo
	scratch_store_b64 off, v[9:10], off offset:32 ; 8-byte Folded Spill
	v_mov_b32_e32 v9, 0
	v_mov_b32_e32 v10, 0
	scratch_store_b64 off, v[9:10], off offset:40 ; 8-byte Folded Spill
	v_mov_b32_e32 v9, 0
	v_mov_b32_e32 v10, 0
	scratch_store_b64 off, v[9:10], off offset:48 ; 8-byte Folded Spill
	s_and_saveexec_b32 s3, s16
	s_cbranch_execz .LBB120_16
; %bb.15:                               ;   in Loop: Header=BB120_5 Depth=1
	v_dual_mov_b32 v9, v22 :: v_dual_mov_b32 v10, v23
	v_add_co_u32 v22, vcc_lo, v255, v3
	s_wait_alu 0xfffd
	v_add_co_ci_u32_e64 v23, null, v0, v4, vcc_lo
	v_add_co_u32 v25, vcc_lo, v138, v3
	s_wait_alu 0xfffd
	v_add_co_ci_u32_e64 v26, null, v13, v4, vcc_lo
	global_load_b64 v[22:23], v[22:23], off
	s_wait_loadcnt 0x0
	scratch_store_b64 off, v[22:23], off offset:40 ; 8-byte Folded Spill
	v_dual_mov_b32 v23, v10 :: v_dual_mov_b32 v22, v9
	global_load_b64 v[9:10], v[25:26], off
	s_wait_loadcnt 0x0
	scratch_store_b64 off, v[9:10], off offset:48 ; 8-byte Folded Spill
.LBB120_16:                             ;   in Loop: Header=BB120_5 Depth=1
	s_wait_alu 0xfffe
	s_or_b32 exec_lo, exec_lo, s3
	v_add_co_u32 v27, vcc_lo, v5, 4
	s_wait_alu 0xfffd
	v_add_co_ci_u32_e64 v28, null, 0, v6, vcc_lo
	s_delay_alu instid0(VALU_DEP_1) | instskip(SKIP_3) | instid1(SALU_CYCLE_1)
	v_cmp_gt_i64_e32 vcc_lo, s[4:5], v[27:28]
	v_mov_b32_e32 v27, 0
	v_mov_b32_e32 v28, 0
	s_and_b32 s16, s2, vcc_lo
	s_and_saveexec_b32 s3, s16
	s_cbranch_execz .LBB120_18
; %bb.17:                               ;   in Loop: Header=BB120_5 Depth=1
	v_add_co_u32 v9, vcc_lo, v251, v3
	s_wait_alu 0xfffd
	v_add_co_ci_u32_e64 v10, null, v252, v4, vcc_lo
	v_add_co_u32 v27, vcc_lo, v253, v3
	s_wait_alu 0xfffd
	v_add_co_ci_u32_e64 v28, null, v254, v4, vcc_lo
	global_load_b64 v[9:10], v[9:10], off
	global_load_b64 v[27:28], v[27:28], off
	s_wait_loadcnt 0x1
	scratch_store_b64 off, v[9:10], off offset:32 ; 8-byte Folded Spill
.LBB120_18:                             ;   in Loop: Header=BB120_5 Depth=1
	s_wait_alu 0xfffe
	s_or_b32 exec_lo, exec_lo, s3
	v_add_co_u32 v29, vcc_lo, v5, 5
	s_wait_alu 0xfffd
	v_add_co_ci_u32_e64 v30, null, 0, v6, vcc_lo
	v_mov_b32_e32 v33, 0
	v_dual_mov_b32 v34, 0 :: v_dual_mov_b32 v31, 0
	s_delay_alu instid0(VALU_DEP_3) | instskip(SKIP_3) | instid1(SALU_CYCLE_1)
	v_cmp_gt_i64_e32 vcc_lo, s[4:5], v[29:30]
	v_dual_mov_b32 v29, 0 :: v_dual_mov_b32 v32, 0
	v_mov_b32_e32 v30, 0
	s_and_b32 s16, s2, vcc_lo
	s_and_saveexec_b32 s3, s16
	s_cbranch_execz .LBB120_20
; %bb.19:                               ;   in Loop: Header=BB120_5 Depth=1
	v_add_co_u32 v31, vcc_lo, v247, v3
	s_wait_alu 0xfffd
	v_add_co_ci_u32_e64 v32, null, v248, v4, vcc_lo
	v_add_co_u32 v33, vcc_lo, v249, v3
	s_wait_alu 0xfffd
	v_add_co_ci_u32_e64 v34, null, v250, v4, vcc_lo
	global_load_b64 v[31:32], v[31:32], off
	global_load_b64 v[33:34], v[33:34], off
.LBB120_20:                             ;   in Loop: Header=BB120_5 Depth=1
	s_wait_alu 0xfffe
	s_or_b32 exec_lo, exec_lo, s3
	v_add_co_u32 v35, vcc_lo, v5, 6
	s_wait_alu 0xfffd
	v_add_co_ci_u32_e64 v36, null, 0, v6, vcc_lo
	s_delay_alu instid0(VALU_DEP_1) | instskip(SKIP_3) | instid1(SALU_CYCLE_1)
	v_cmp_gt_i64_e32 vcc_lo, s[4:5], v[35:36]
	v_mov_b32_e32 v35, 0
	v_mov_b32_e32 v36, 0
	s_and_b32 s16, s2, vcc_lo
	s_and_saveexec_b32 s3, s16
	s_cbranch_execz .LBB120_22
; %bb.21:                               ;   in Loop: Header=BB120_5 Depth=1
	v_add_co_u32 v29, vcc_lo, v243, v3
	s_wait_alu 0xfffd
	v_add_co_ci_u32_e64 v30, null, v244, v4, vcc_lo
	v_add_co_u32 v35, vcc_lo, v245, v3
	s_wait_alu 0xfffd
	v_add_co_ci_u32_e64 v36, null, v246, v4, vcc_lo
	global_load_b64 v[29:30], v[29:30], off
	global_load_b64 v[35:36], v[35:36], off
.LBB120_22:                             ;   in Loop: Header=BB120_5 Depth=1
	s_wait_alu 0xfffe
	s_or_b32 exec_lo, exec_lo, s3
	v_add_co_u32 v37, vcc_lo, v5, 7
	s_wait_alu 0xfffd
	v_add_co_ci_u32_e64 v38, null, 0, v6, vcc_lo
	v_mov_b32_e32 v41, 0
	v_dual_mov_b32 v42, 0 :: v_dual_mov_b32 v39, 0
	s_delay_alu instid0(VALU_DEP_3) | instskip(SKIP_3) | instid1(SALU_CYCLE_1)
	v_cmp_gt_i64_e32 vcc_lo, s[4:5], v[37:38]
	v_dual_mov_b32 v37, 0 :: v_dual_mov_b32 v40, 0
	v_mov_b32_e32 v38, 0
	s_and_b32 s16, s2, vcc_lo
	s_and_saveexec_b32 s3, s16
	s_cbranch_execz .LBB120_24
; %bb.23:                               ;   in Loop: Header=BB120_5 Depth=1
	v_add_co_u32 v39, vcc_lo, v239, v3
	s_wait_alu 0xfffd
	v_add_co_ci_u32_e64 v40, null, v240, v4, vcc_lo
	v_add_co_u32 v41, vcc_lo, v241, v3
	s_wait_alu 0xfffd
	v_add_co_ci_u32_e64 v42, null, v242, v4, vcc_lo
	global_load_b64 v[39:40], v[39:40], off
	global_load_b64 v[41:42], v[41:42], off
.LBB120_24:                             ;   in Loop: Header=BB120_5 Depth=1
	s_wait_alu 0xfffe
	s_or_b32 exec_lo, exec_lo, s3
	v_add_co_u32 v43, vcc_lo, v5, 8
	s_wait_alu 0xfffd
	v_add_co_ci_u32_e64 v44, null, 0, v6, vcc_lo
	s_delay_alu instid0(VALU_DEP_1) | instskip(SKIP_3) | instid1(SALU_CYCLE_1)
	v_cmp_gt_i64_e32 vcc_lo, s[4:5], v[43:44]
	v_mov_b32_e32 v43, 0
	v_mov_b32_e32 v44, 0
	s_and_b32 s16, s2, vcc_lo
	s_and_saveexec_b32 s3, s16
	s_cbranch_execz .LBB120_26
; %bb.25:                               ;   in Loop: Header=BB120_5 Depth=1
	v_add_co_u32 v37, vcc_lo, v235, v3
	s_wait_alu 0xfffd
	v_add_co_ci_u32_e64 v38, null, v236, v4, vcc_lo
	v_add_co_u32 v43, vcc_lo, v237, v3
	s_wait_alu 0xfffd
	v_add_co_ci_u32_e64 v44, null, v238, v4, vcc_lo
	global_load_b64 v[37:38], v[37:38], off
	global_load_b64 v[43:44], v[43:44], off
.LBB120_26:                             ;   in Loop: Header=BB120_5 Depth=1
	;; [unrolled: 46-line block ×5, first 2 shown]
	s_wait_alu 0xfffe
	s_or_b32 exec_lo, exec_lo, s3
	v_add_co_u32 v69, vcc_lo, v5, 15
	s_wait_alu 0xfffd
	v_add_co_ci_u32_e64 v70, null, 0, v6, vcc_lo
	v_mov_b32_e32 v73, 0
	v_dual_mov_b32 v74, 0 :: v_dual_mov_b32 v71, 0
	s_delay_alu instid0(VALU_DEP_3) | instskip(SKIP_3) | instid1(SALU_CYCLE_1)
	v_cmp_gt_i64_e32 vcc_lo, s[4:5], v[69:70]
	v_dual_mov_b32 v69, 0 :: v_dual_mov_b32 v72, 0
	v_mov_b32_e32 v70, 0
	s_and_b32 s16, s2, vcc_lo
	s_and_saveexec_b32 s3, s16
	s_cbranch_execz .LBB120_40
; %bb.39:                               ;   in Loop: Header=BB120_5 Depth=1
	v_add_co_u32 v71, vcc_lo, v207, v3
	s_wait_alu 0xfffd
	v_add_co_ci_u32_e64 v72, null, v208, v4, vcc_lo
	v_add_co_u32 v73, vcc_lo, v209, v3
	s_wait_alu 0xfffd
	v_add_co_ci_u32_e64 v74, null, v210, v4, vcc_lo
	global_load_b64 v[71:72], v[71:72], off
	global_load_b64 v[73:74], v[73:74], off
.LBB120_40:                             ;   in Loop: Header=BB120_5 Depth=1
	s_wait_alu 0xfffe
	s_or_b32 exec_lo, exec_lo, s3
	v_add_co_u32 v75, vcc_lo, v5, 16
	s_wait_alu 0xfffd
	v_add_co_ci_u32_e64 v76, null, 0, v6, vcc_lo
	v_mov_b32_e32 v77, 0
	v_mov_b32_e32 v78, 0
	s_delay_alu instid0(VALU_DEP_3) | instskip(SKIP_1) | instid1(SALU_CYCLE_1)
	v_cmp_gt_i64_e32 vcc_lo, s[4:5], v[75:76]
	s_and_b32 s16, s2, vcc_lo
	s_and_saveexec_b32 s3, s16
	s_cbranch_execz .LBB120_42
; %bb.41:                               ;   in Loop: Header=BB120_5 Depth=1
	v_add_co_u32 v69, vcc_lo, v203, v3
	s_wait_alu 0xfffd
	v_add_co_ci_u32_e64 v70, null, v204, v4, vcc_lo
	v_add_co_u32 v75, vcc_lo, v205, v3
	s_wait_alu 0xfffd
	v_add_co_ci_u32_e64 v76, null, v206, v4, vcc_lo
	global_load_b64 v[69:70], v[69:70], off
	global_load_b64 v[77:78], v[75:76], off
.LBB120_42:                             ;   in Loop: Header=BB120_5 Depth=1
	s_wait_alu 0xfffe
	s_or_b32 exec_lo, exec_lo, s3
	v_add_co_u32 v75, vcc_lo, v5, 17
	s_wait_alu 0xfffd
	v_add_co_ci_u32_e64 v76, null, 0, v6, vcc_lo
	v_mov_b32_e32 v79, 0
	v_dual_mov_b32 v80, 0 :: v_dual_mov_b32 v81, 0
	s_delay_alu instid0(VALU_DEP_3) | instskip(SKIP_3) | instid1(SALU_CYCLE_1)
	v_cmp_gt_i64_e32 vcc_lo, s[4:5], v[75:76]
	v_dual_mov_b32 v83, 0 :: v_dual_mov_b32 v82, 0
	v_mov_b32_e32 v84, 0
	s_and_b32 s16, s2, vcc_lo
	s_and_saveexec_b32 s3, s16
	s_cbranch_execz .LBB120_44
; %bb.43:                               ;   in Loop: Header=BB120_5 Depth=1
	v_add_co_u32 v75, vcc_lo, v199, v3
	s_wait_alu 0xfffd
	v_add_co_ci_u32_e64 v76, null, v200, v4, vcc_lo
	v_add_co_u32 v83, vcc_lo, v201, v3
	s_wait_alu 0xfffd
	v_add_co_ci_u32_e64 v84, null, v202, v4, vcc_lo
	global_load_b64 v[81:82], v[75:76], off
	global_load_b64 v[83:84], v[83:84], off
.LBB120_44:                             ;   in Loop: Header=BB120_5 Depth=1
	s_wait_alu 0xfffe
	s_or_b32 exec_lo, exec_lo, s3
	v_add_co_u32 v75, vcc_lo, v5, 18
	s_wait_alu 0xfffd
	v_add_co_ci_u32_e64 v76, null, 0, v6, vcc_lo
	v_mov_b32_e32 v85, 0
	v_mov_b32_e32 v86, 0
	s_delay_alu instid0(VALU_DEP_3) | instskip(SKIP_1) | instid1(SALU_CYCLE_1)
	v_cmp_gt_i64_e32 vcc_lo, s[4:5], v[75:76]
	s_and_b32 s16, s2, vcc_lo
	s_and_saveexec_b32 s3, s16
	s_cbranch_execz .LBB120_46
; %bb.45:                               ;   in Loop: Header=BB120_5 Depth=1
	v_add_co_u32 v75, vcc_lo, v195, v3
	s_wait_alu 0xfffd
	v_add_co_ci_u32_e64 v76, null, v196, v4, vcc_lo
	v_add_co_u32 v85, vcc_lo, v197, v3
	s_wait_alu 0xfffd
	v_add_co_ci_u32_e64 v86, null, v198, v4, vcc_lo
	global_load_b64 v[79:80], v[75:76], off
	global_load_b64 v[85:86], v[85:86], off
.LBB120_46:                             ;   in Loop: Header=BB120_5 Depth=1
	;; [unrolled: 46-line block ×8, first 2 shown]
	s_wait_alu 0xfffe
	s_or_b32 exec_lo, exec_lo, s3
	v_add_co_u32 v75, vcc_lo, v5, 31
	s_wait_alu 0xfffd
	v_add_co_ci_u32_e64 v76, null, 0, v6, vcc_lo
	s_wait_loadcnt 0x0
	v_dual_mov_b32 v25, v12 :: v_dual_mov_b32 v24, v11
	s_delay_alu instid0(VALU_DEP_2) | instskip(SKIP_3) | instid1(SALU_CYCLE_1)
	v_cmp_gt_i64_e32 vcc_lo, s[4:5], v[75:76]
	v_mov_b32_e32 v75, 0
	v_mov_b32_e32 v76, 0
	s_and_b32 s16, s2, vcc_lo
	s_and_saveexec_b32 s3, s16
	s_cbranch_execz .LBB120_72
; %bb.71:                               ;   in Loop: Header=BB120_5 Depth=1
	v_add_co_u32 v75, vcc_lo, v143, v3
	s_wait_alu 0xfffd
	v_add_co_ci_u32_e64 v76, null, v144, v4, vcc_lo
	v_add_co_u32 v11, vcc_lo, v145, v3
	s_wait_alu 0xfffd
	v_add_co_ci_u32_e64 v12, null, v146, v4, vcc_lo
	global_load_b64 v[75:76], v[75:76], off
	global_load_b64 v[11:12], v[11:12], off
	s_wait_loadcnt 0x0
	v_mul_f64_e32 v[75:76], v[75:76], v[11:12]
.LBB120_72:                             ;   in Loop: Header=BB120_5 Depth=1
	s_wait_alu 0xfffe
	s_or_b32 exec_lo, exec_lo, s3
	scratch_load_b64 v[9:10], off, off th:TH_LOAD_LU ; 8-byte Folded Reload
	s_mov_b32 s3, 0
	s_wait_loadcnt 0x0
	v_mul_f64_e32 v[11:12], v[22:23], v[9:10]
	s_clause 0x1
	scratch_load_b64 v[9:10], off, off offset:16 th:TH_LOAD_LU
	scratch_load_b64 v[22:23], off, off offset:24 th:TH_LOAD_LU
	s_wait_loadcnt 0x0
	v_mul_f64_e32 v[9:10], v[9:10], v[22:23]
	ds_bpermute_b32 v22, v2, v7
	ds_bpermute_b32 v23, v2, v8
	s_wait_dscnt 0x0
	v_fma_f64 v[11:12], v[11:12], v[22:23], v[125:126]
	ds_bpermute_b32 v22, v2, v7 offset:4
	ds_bpermute_b32 v23, v2, v8 offset:4
	s_wait_dscnt 0x0
	v_fma_f64 v[9:10], v[9:10], v[22:23], v[11:12]
	scratch_load_b64 v[11:12], off, off offset:8 th:TH_LOAD_LU ; 8-byte Folded Reload
	ds_bpermute_b32 v22, v2, v7 offset:8
	ds_bpermute_b32 v23, v2, v8 offset:8
	s_wait_loadcnt 0x0
	v_mul_f64_e32 v[11:12], v[11:12], v[24:25]
	v_mul_f64_e32 v[24:25], v[81:82], v[83:84]
	s_wait_dscnt 0x0
	s_delay_alu instid0(VALU_DEP_2)
	v_fma_f64 v[9:10], v[11:12], v[22:23], v[9:10]
	s_clause 0x1
	scratch_load_b64 v[11:12], off, off offset:40 th:TH_LOAD_LU
	scratch_load_b64 v[22:23], off, off offset:48 th:TH_LOAD_LU
	s_wait_loadcnt 0x0
	v_mul_f64_e32 v[11:12], v[11:12], v[22:23]
	ds_bpermute_b32 v22, v2, v7 offset:12
	ds_bpermute_b32 v23, v2, v8 offset:12
	s_wait_dscnt 0x0
	v_fma_f64 v[9:10], v[11:12], v[22:23], v[9:10]
	scratch_load_b64 v[11:12], off, off offset:32 th:TH_LOAD_LU ; 8-byte Folded Reload
	ds_bpermute_b32 v22, v2, v7 offset:16
	ds_bpermute_b32 v23, v2, v8 offset:16
	s_wait_loadcnt 0x0
	v_mul_f64_e32 v[11:12], v[11:12], v[27:28]
	s_wait_dscnt 0x0
	s_delay_alu instid0(VALU_DEP_1)
	v_fma_f64 v[9:10], v[11:12], v[22:23], v[9:10]
	v_mul_f64_e32 v[11:12], v[31:32], v[33:34]
	ds_bpermute_b32 v22, v2, v7 offset:20
	ds_bpermute_b32 v23, v2, v8 offset:20
	s_wait_dscnt 0x0
	v_fma_f64 v[9:10], v[11:12], v[22:23], v[9:10]
	v_mul_f64_e32 v[11:12], v[29:30], v[35:36]
	ds_bpermute_b32 v22, v2, v7 offset:24
	ds_bpermute_b32 v23, v2, v8 offset:24
	s_wait_dscnt 0x0
	;; [unrolled: 5-line block ×12, first 2 shown]
	v_fma_f64 v[9:10], v[11:12], v[22:23], v[9:10]
	ds_bpermute_b32 v11, v2, v7 offset:68
	ds_bpermute_b32 v12, v2, v8 offset:68
	v_mul_f64_e32 v[22:23], v[79:80], v[85:86]
	s_wait_dscnt 0x0
	v_fma_f64 v[9:10], v[24:25], v[11:12], v[9:10]
	ds_bpermute_b32 v11, v2, v7 offset:72
	ds_bpermute_b32 v12, v2, v8 offset:72
	v_mul_f64_e32 v[24:25], v[89:90], v[91:92]
	s_wait_dscnt 0x0
	;; [unrolled: 5-line block ×12, first 2 shown]
	v_fma_f64 v[9:10], v[22:23], v[11:12], v[9:10]
	ds_bpermute_b32 v11, v2, v7 offset:116
	ds_bpermute_b32 v12, v2, v8 offset:116
	;; [unrolled: 1-line block ×6, first 2 shown]
	s_wait_dscnt 0x4
	v_fma_f64 v[9:10], v[24:25], v[11:12], v[9:10]
	v_mul_f64_e32 v[11:12], v[129:130], v[135:136]
	s_wait_dscnt 0x2
	s_delay_alu instid0(VALU_DEP_1)
	v_fma_f64 v[9:10], v[11:12], v[22:23], v[9:10]
.LBB120_73:                             ;   in Loop: Header=BB120_5 Depth=1
	s_wait_alu 0xfffe
	s_and_b32 vcc_lo, exec_lo, s3
	s_wait_alu 0xfffe
	s_cbranch_vccz .LBB120_4
; %bb.74:                               ;   in Loop: Header=BB120_5 Depth=1
	s_load_b32 s3, s[18:19], 0x0
	s_wait_kmcnt 0x0
	s_cmp_lt_u32 ttmp9, s3
	s_cselect_b32 s16, 12, 18
	s_delay_alu instid0(SALU_CYCLE_1)
	s_add_nc_u64 s[30:31], s[18:19], s[16:17]
	s_load_u16 s3, s[30:31], 0x0
	s_wait_dscnt 0x1
	scratch_load_b32 v7, off, off offset:56 ; 4-byte Folded Reload
	s_wait_dscnt 0x0
	scratch_load_b32 v8, off, off offset:60 ; 4-byte Folded Reload
	s_wait_loadcnt 0x0
	s_wait_kmcnt 0x0
	v_mad_u32_u24 v7, v7, s3, v8
	s_mov_b32 s3, exec_lo
	s_delay_alu instid0(VALU_DEP_1) | instskip(NEXT) | instid1(VALU_DEP_1)
	v_and_b32_e32 v7, 31, v7
	v_add_co_u32 v9, vcc_lo, v5, v7
	v_mov_b32_e32 v7, 0
	s_wait_alu 0xfffd
	v_add_co_ci_u32_e64 v10, null, 0, v6, vcc_lo
	v_dual_mov_b32 v8, 0 :: v_dual_mov_b32 v5, 0
	v_mov_b32_e32 v6, 0
	s_delay_alu instid0(VALU_DEP_3)
	v_cmpx_gt_i64_e64 s[4:5], v[9:10]
	s_cbranch_execz .LBB120_76
; %bb.75:                               ;   in Loop: Header=BB120_5 Depth=1
	v_lshlrev_b64_e32 v[5:6], 3, v[9:10]
	s_delay_alu instid0(VALU_DEP_1) | instskip(SKIP_1) | instid1(VALU_DEP_2)
	v_add_co_u32 v5, vcc_lo, s12, v5
	s_wait_alu 0xfffd
	v_add_co_ci_u32_e64 v6, null, s13, v6, vcc_lo
	global_load_b64 v[5:6], v[5:6], off
.LBB120_76:                             ;   in Loop: Header=BB120_5 Depth=1
	s_wait_alu 0xfffe
	s_or_b32 exec_lo, exec_lo, s3
	v_mov_b32_e32 v9, 0
	v_mov_b32_e32 v10, 0
	scratch_store_b64 off, v[9:10], off     ; 8-byte Folded Spill
	s_and_saveexec_b32 s3, s2
	s_cbranch_execz .LBB120_78
; %bb.77:                               ;   in Loop: Header=BB120_5 Depth=1
	v_add_co_u32 v7, vcc_lo, v1, v3
	s_wait_alu 0xfffd
	v_add_co_ci_u32_e64 v8, null, v140, v4, vcc_lo
	v_add_co_u32 v9, vcc_lo, v141, v3
	s_wait_alu 0xfffd
	v_add_co_ci_u32_e64 v10, null, v142, v4, vcc_lo
	global_load_b64 v[7:8], v[7:8], off
	global_load_b64 v[9:10], v[9:10], off
	s_wait_loadcnt 0x0
	scratch_store_b64 off, v[9:10], off     ; 8-byte Folded Spill
.LBB120_78:                             ;   in Loop: Header=BB120_5 Depth=1
	s_wait_alu 0xfffe
	s_or_b32 exec_lo, exec_lo, s3
	v_mov_b32_e32 v9, 0
	v_mov_b32_e32 v10, 0
	scratch_store_b64 off, v[9:10], off offset:8 ; 8-byte Folded Spill
	v_mov_b32_e32 v9, 0
	v_mov_b32_e32 v10, 0
	scratch_store_b64 off, v[9:10], off offset:16 ; 8-byte Folded Spill
	;; [unrolled: 3-line block ×3, first 2 shown]
	s_and_saveexec_b32 s3, s2
	s_cbranch_execz .LBB120_80
; %bb.79:                               ;   in Loop: Header=BB120_5 Depth=1
	v_dual_mov_b32 v12, v8 :: v_dual_mov_b32 v11, v7
	v_add_co_u32 v7, vcc_lo, v18, v3
	s_wait_alu 0xfffd
	v_add_co_ci_u32_e64 v8, null, v19, v4, vcc_lo
	v_add_co_u32 v9, vcc_lo, v20, v3
	s_wait_alu 0xfffd
	v_add_co_ci_u32_e64 v10, null, v21, v4, vcc_lo
	global_load_b64 v[7:8], v[7:8], off
	global_load_b64 v[9:10], v[9:10], off
	s_wait_loadcnt 0x1
	scratch_store_b64 off, v[7:8], off offset:16 ; 8-byte Folded Spill
	v_dual_mov_b32 v7, v11 :: v_dual_mov_b32 v8, v12
	s_wait_loadcnt 0x0
	scratch_store_b64 off, v[9:10], off offset:24 ; 8-byte Folded Spill
.LBB120_80:                             ;   in Loop: Header=BB120_5 Depth=1
	s_wait_alu 0xfffe
	s_or_b32 exec_lo, exec_lo, s3
	v_mov_b32_e32 v9, 0
	v_mov_b32_e32 v10, 0
	s_and_saveexec_b32 s3, s2
	s_cbranch_execz .LBB120_82
; %bb.81:                               ;   in Loop: Header=BB120_5 Depth=1
	v_add_co_u32 v9, vcc_lo, v14, v3
	s_wait_alu 0xfffd
	v_add_co_ci_u32_e64 v10, null, v15, v4, vcc_lo
	v_add_co_u32 v11, vcc_lo, v16, v3
	s_wait_alu 0xfffd
	v_add_co_ci_u32_e64 v12, null, v17, v4, vcc_lo
	global_load_b64 v[9:10], v[9:10], off
	s_wait_loadcnt 0x0
	scratch_store_b64 off, v[9:10], off offset:8 ; 8-byte Folded Spill
	global_load_b64 v[9:10], v[11:12], off
.LBB120_82:                             ;   in Loop: Header=BB120_5 Depth=1
	s_wait_alu 0xfffe
	s_or_b32 exec_lo, exec_lo, s3
	v_mov_b32_e32 v11, 0
	v_dual_mov_b32 v12, 0 :: v_dual_mov_b32 v135, 0
	v_dual_mov_b32 v23, 0 :: v_dual_mov_b32 v136, 0
	v_mov_b32_e32 v24, 0
	scratch_store_b64 off, v[11:12], off offset:32 ; 8-byte Folded Spill
	s_and_saveexec_b32 s3, s2
	s_cbranch_execz .LBB120_84
; %bb.83:                               ;   in Loop: Header=BB120_5 Depth=1
	v_add_co_u32 v22, vcc_lo, v255, v3
	s_wait_alu 0xfffd
	v_add_co_ci_u32_e64 v23, null, v0, v4, vcc_lo
	v_add_co_u32 v24, vcc_lo, v138, v3
	s_wait_alu 0xfffd
	v_add_co_ci_u32_e64 v25, null, v13, v4, vcc_lo
	global_load_b64 v[135:136], v[22:23], off
	global_load_b64 v[23:24], v[24:25], off
.LBB120_84:                             ;   in Loop: Header=BB120_5 Depth=1
	s_wait_alu 0xfffe
	s_or_b32 exec_lo, exec_lo, s3
	v_mov_b32_e32 v25, 0
	v_mov_b32_e32 v26, 0
	s_and_saveexec_b32 s3, s2
	s_cbranch_execz .LBB120_86
; %bb.85:                               ;   in Loop: Header=BB120_5 Depth=1
	v_add_co_u32 v11, vcc_lo, v251, v3
	s_wait_alu 0xfffd
	v_add_co_ci_u32_e64 v12, null, v252, v4, vcc_lo
	v_add_co_u32 v25, vcc_lo, v253, v3
	s_wait_alu 0xfffd
	v_add_co_ci_u32_e64 v26, null, v254, v4, vcc_lo
	global_load_b64 v[11:12], v[11:12], off
	global_load_b64 v[25:26], v[25:26], off
	s_wait_loadcnt 0x1
	scratch_store_b64 off, v[11:12], off offset:32 ; 8-byte Folded Spill
.LBB120_86:                             ;   in Loop: Header=BB120_5 Depth=1
	s_wait_alu 0xfffe
	s_or_b32 exec_lo, exec_lo, s3
	v_mov_b32_e32 v27, 0
	v_dual_mov_b32 v28, 0 :: v_dual_mov_b32 v29, 0
	v_dual_mov_b32 v31, 0 :: v_dual_mov_b32 v30, 0
	v_mov_b32_e32 v32, 0
	s_and_saveexec_b32 s3, s2
	s_cbranch_execz .LBB120_88
; %bb.87:                               ;   in Loop: Header=BB120_5 Depth=1
	v_add_co_u32 v29, vcc_lo, v247, v3
	s_wait_alu 0xfffd
	v_add_co_ci_u32_e64 v30, null, v248, v4, vcc_lo
	v_add_co_u32 v31, vcc_lo, v249, v3
	s_wait_alu 0xfffd
	v_add_co_ci_u32_e64 v32, null, v250, v4, vcc_lo
	global_load_b64 v[29:30], v[29:30], off
	global_load_b64 v[31:32], v[31:32], off
.LBB120_88:                             ;   in Loop: Header=BB120_5 Depth=1
	s_wait_alu 0xfffe
	s_or_b32 exec_lo, exec_lo, s3
	v_mov_b32_e32 v33, 0
	v_mov_b32_e32 v34, 0
	s_and_saveexec_b32 s3, s2
	s_cbranch_execz .LBB120_90
; %bb.89:                               ;   in Loop: Header=BB120_5 Depth=1
	v_add_co_u32 v27, vcc_lo, v243, v3
	s_wait_alu 0xfffd
	v_add_co_ci_u32_e64 v28, null, v244, v4, vcc_lo
	v_add_co_u32 v33, vcc_lo, v245, v3
	s_wait_alu 0xfffd
	v_add_co_ci_u32_e64 v34, null, v246, v4, vcc_lo
	global_load_b64 v[27:28], v[27:28], off
	global_load_b64 v[33:34], v[33:34], off
.LBB120_90:                             ;   in Loop: Header=BB120_5 Depth=1
	s_wait_alu 0xfffe
	s_or_b32 exec_lo, exec_lo, s3
	v_mov_b32_e32 v35, 0
	v_dual_mov_b32 v36, 0 :: v_dual_mov_b32 v37, 0
	v_dual_mov_b32 v39, 0 :: v_dual_mov_b32 v38, 0
	v_mov_b32_e32 v40, 0
	s_and_saveexec_b32 s3, s2
	s_cbranch_execz .LBB120_92
; %bb.91:                               ;   in Loop: Header=BB120_5 Depth=1
	v_add_co_u32 v37, vcc_lo, v239, v3
	s_wait_alu 0xfffd
	v_add_co_ci_u32_e64 v38, null, v240, v4, vcc_lo
	v_add_co_u32 v39, vcc_lo, v241, v3
	s_wait_alu 0xfffd
	v_add_co_ci_u32_e64 v40, null, v242, v4, vcc_lo
	global_load_b64 v[37:38], v[37:38], off
	global_load_b64 v[39:40], v[39:40], off
.LBB120_92:                             ;   in Loop: Header=BB120_5 Depth=1
	s_wait_alu 0xfffe
	s_or_b32 exec_lo, exec_lo, s3
	v_mov_b32_e32 v41, 0
	v_mov_b32_e32 v42, 0
	s_and_saveexec_b32 s3, s2
	s_cbranch_execz .LBB120_94
; %bb.93:                               ;   in Loop: Header=BB120_5 Depth=1
	v_add_co_u32 v35, vcc_lo, v235, v3
	s_wait_alu 0xfffd
	v_add_co_ci_u32_e64 v36, null, v236, v4, vcc_lo
	v_add_co_u32 v41, vcc_lo, v237, v3
	s_wait_alu 0xfffd
	v_add_co_ci_u32_e64 v42, null, v238, v4, vcc_lo
	global_load_b64 v[35:36], v[35:36], off
	global_load_b64 v[41:42], v[41:42], off
.LBB120_94:                             ;   in Loop: Header=BB120_5 Depth=1
	;; [unrolled: 34-line block ×3, first 2 shown]
	s_wait_alu 0xfffe
	s_or_b32 exec_lo, exec_lo, s3
	v_mov_b32_e32 v51, 0
	v_dual_mov_b32 v52, 0 :: v_dual_mov_b32 v53, 0
	v_dual_mov_b32 v55, 0 :: v_dual_mov_b32 v54, 0
	v_mov_b32_e32 v56, 0
	s_and_saveexec_b32 s3, s2
	s_cbranch_execz .LBB120_100
; %bb.99:                               ;   in Loop: Header=BB120_5 Depth=1
	v_add_co_u32 v53, vcc_lo, v223, v3
	s_wait_alu 0xfffd
	v_add_co_ci_u32_e64 v54, null, v224, v4, vcc_lo
	v_add_co_u32 v55, vcc_lo, v225, v3
	s_wait_alu 0xfffd
	v_add_co_ci_u32_e64 v56, null, v226, v4, vcc_lo
	global_load_b64 v[53:54], v[53:54], off
	global_load_b64 v[55:56], v[55:56], off
.LBB120_100:                            ;   in Loop: Header=BB120_5 Depth=1
	s_wait_alu 0xfffe
	s_or_b32 exec_lo, exec_lo, s3
	v_mov_b32_e32 v57, 0
	v_mov_b32_e32 v58, 0
	s_and_saveexec_b32 s3, s2
	s_cbranch_execz .LBB120_102
; %bb.101:                              ;   in Loop: Header=BB120_5 Depth=1
	v_add_co_u32 v51, vcc_lo, v219, v3
	s_wait_alu 0xfffd
	v_add_co_ci_u32_e64 v52, null, v220, v4, vcc_lo
	v_add_co_u32 v57, vcc_lo, v221, v3
	s_wait_alu 0xfffd
	v_add_co_ci_u32_e64 v58, null, v222, v4, vcc_lo
	global_load_b64 v[51:52], v[51:52], off
	global_load_b64 v[57:58], v[57:58], off
.LBB120_102:                            ;   in Loop: Header=BB120_5 Depth=1
	s_wait_alu 0xfffe
	s_or_b32 exec_lo, exec_lo, s3
	v_mov_b32_e32 v59, 0
	v_dual_mov_b32 v60, 0 :: v_dual_mov_b32 v61, 0
	v_dual_mov_b32 v63, 0 :: v_dual_mov_b32 v62, 0
	v_mov_b32_e32 v64, 0
	s_and_saveexec_b32 s3, s2
	s_cbranch_execz .LBB120_104
; %bb.103:                              ;   in Loop: Header=BB120_5 Depth=1
	v_add_co_u32 v61, vcc_lo, v215, v3
	s_wait_alu 0xfffd
	v_add_co_ci_u32_e64 v62, null, v216, v4, vcc_lo
	v_add_co_u32 v63, vcc_lo, v217, v3
	s_wait_alu 0xfffd
	v_add_co_ci_u32_e64 v64, null, v218, v4, vcc_lo
	global_load_b64 v[61:62], v[61:62], off
	global_load_b64 v[63:64], v[63:64], off
.LBB120_104:                            ;   in Loop: Header=BB120_5 Depth=1
	s_wait_alu 0xfffe
	s_or_b32 exec_lo, exec_lo, s3
	v_mov_b32_e32 v65, 0
	v_mov_b32_e32 v66, 0
	s_and_saveexec_b32 s3, s2
	s_cbranch_execz .LBB120_106
; %bb.105:                              ;   in Loop: Header=BB120_5 Depth=1
	v_add_co_u32 v59, vcc_lo, v211, v3
	s_wait_alu 0xfffd
	v_add_co_ci_u32_e64 v60, null, v212, v4, vcc_lo
	v_add_co_u32 v65, vcc_lo, v213, v3
	s_wait_alu 0xfffd
	v_add_co_ci_u32_e64 v66, null, v214, v4, vcc_lo
	global_load_b64 v[59:60], v[59:60], off
	global_load_b64 v[65:66], v[65:66], off
.LBB120_106:                            ;   in Loop: Header=BB120_5 Depth=1
	s_wait_alu 0xfffe
	s_or_b32 exec_lo, exec_lo, s3
	v_mov_b32_e32 v67, 0
	v_dual_mov_b32 v68, 0 :: v_dual_mov_b32 v69, 0
	v_dual_mov_b32 v71, 0 :: v_dual_mov_b32 v70, 0
	v_mov_b32_e32 v72, 0
	s_and_saveexec_b32 s3, s2
	s_cbranch_execz .LBB120_108
; %bb.107:                              ;   in Loop: Header=BB120_5 Depth=1
	v_add_co_u32 v69, vcc_lo, v207, v3
	s_wait_alu 0xfffd
	v_add_co_ci_u32_e64 v70, null, v208, v4, vcc_lo
	v_add_co_u32 v71, vcc_lo, v209, v3
	s_wait_alu 0xfffd
	v_add_co_ci_u32_e64 v72, null, v210, v4, vcc_lo
	global_load_b64 v[69:70], v[69:70], off
	global_load_b64 v[71:72], v[71:72], off
.LBB120_108:                            ;   in Loop: Header=BB120_5 Depth=1
	;; [unrolled: 34-line block ×9, first 2 shown]
	s_wait_alu 0xfffe
	s_or_b32 exec_lo, exec_lo, s3
	v_mov_b32_e32 v133, 0
	v_mov_b32_e32 v134, 0
	s_and_saveexec_b32 s3, s2
	s_cbranch_execz .LBB120_138
; %bb.137:                              ;   in Loop: Header=BB120_5 Depth=1
	v_add_co_u32 v75, vcc_lo, v147, v3
	s_wait_alu 0xfffd
	v_add_co_ci_u32_e64 v76, null, v148, v4, vcc_lo
	v_add_co_u32 v133, vcc_lo, v149, v3
	s_wait_alu 0xfffd
	v_add_co_ci_u32_e64 v134, null, v150, v4, vcc_lo
	global_load_b64 v[127:128], v[75:76], off
	global_load_b64 v[133:134], v[133:134], off
.LBB120_138:                            ;   in Loop: Header=BB120_5 Depth=1
	s_wait_alu 0xfffe
	s_or_b32 exec_lo, exec_lo, s3
	s_wait_loadcnt 0x0
	v_dual_mov_b32 v75, 0 :: v_dual_mov_b32 v12, v10
	v_dual_mov_b32 v11, v9 :: v_dual_mov_b32 v76, 0
	s_and_saveexec_b32 s3, s2
	s_cbranch_execz .LBB120_3
; %bb.139:                              ;   in Loop: Header=BB120_5 Depth=1
	v_add_co_u32 v75, vcc_lo, v143, v3
	s_wait_alu 0xfffd
	v_add_co_ci_u32_e64 v76, null, v144, v4, vcc_lo
	v_dual_mov_b32 v10, v8 :: v_dual_mov_b32 v9, v7
	v_add_co_u32 v7, vcc_lo, v145, v3
	s_wait_alu 0xfffd
	v_add_co_ci_u32_e64 v8, null, v146, v4, vcc_lo
	global_load_b64 v[75:76], v[75:76], off
	global_load_b64 v[7:8], v[7:8], off
	s_wait_loadcnt 0x0
	v_mul_f64_e32 v[75:76], v[75:76], v[7:8]
	v_dual_mov_b32 v7, v9 :: v_dual_mov_b32 v8, v10
	s_branch .LBB120_3
.LBB120_140:
                                        ; implicit-def: $vgpr125_vgpr126
	s_load_b64 s[2:3], s[0:1], 0x30
	s_branch .LBB120_143
.LBB120_141:
	scratch_load_b32 v0, off, off offset:584 ; 4-byte Folded Reload
.LBB120_142:
	s_load_b64 s[2:3], s[0:1], 0x30
	s_cbranch_execnz .LBB120_220
.LBB120_143:
	v_mov_b32_e32 v125, 0
	v_mov_b32_e32 v126, 0
	s_and_not1_b32 vcc_lo, exec_lo, s29
	s_wait_alu 0xfffe
	s_cbranch_vccnz .LBB120_220
; %bb.144:
	s_wait_loadcnt 0x0
	v_bfe_u32 v1, v0, 10, 10
	s_lshl_b64 s[16:17], s[14:15], 3
	s_mov_b64 s[20:21], 31
	s_mov_b64 s[22:23], s[14:15]
	v_mov_b32_e32 v198, v0
	v_lshlrev_b32_e32 v2, 5, v1
	scratch_store_b32 off, v1, off offset:576 ; 4-byte Folded Spill
	v_lshlrev_b32_e32 v1, 8, v1
	scratch_store_b32 off, v198, off offset:584 ; 4-byte Folded Spill
	v_add_co_u32 v139, s18, v2, s14
	v_add_co_u32 v121, s16, v1, s16
	s_wait_alu 0xf1ff
	v_add_co_ci_u32_e64 v122, null, 0, s17, s16
	v_add_co_ci_u32_e64 v133, null, 0, 0, s18
	s_delay_alu instid0(VALU_DEP_3) | instskip(SKIP_1) | instid1(VALU_DEP_3)
	v_add_co_u32 v9, vcc_lo, v121, 8
	s_wait_alu 0xfffd
	v_add_co_ci_u32_e64 v5, null, 0, v122, vcc_lo
	v_add_co_u32 v13, vcc_lo, v121, 16
	v_mul_lo_u32 v3, s7, v139
	s_delay_alu instid0(VALU_DEP_3)
	v_mul_lo_u32 v16, s6, v5
	s_wait_alu 0xfffd
	v_add_co_ci_u32_e64 v5, null, 0, v122, vcc_lo
	v_add_co_u32 v17, vcc_lo, v121, 24
	s_wait_alu 0xfffd
	v_add_co_ci_u32_e64 v7, null, 0, v122, vcc_lo
	v_add_co_u32 v21, vcc_lo, v121, 32
	v_mul_lo_u32 v4, s6, v133
	v_mad_co_u64_u32 v[125:126], null, s6, v139, 0
	s_wait_alu 0xfffd
	v_add_co_ci_u32_e64 v10, null, 0, v122, vcc_lo
	v_add_co_u32 v23, vcc_lo, v121, 40
	s_wait_alu 0xfffd
	v_add_co_ci_u32_e64 v14, null, 0, v122, vcc_lo
	scratch_store_b32 off, v2, off          ; 4-byte Folded Spill
	v_mad_co_u64_u32 v[1:2], null, s6, v9, s[8:9]
	v_mul_lo_u32 v15, s7, v9
	v_mul_lo_u32 v24, s6, v10
	v_mad_co_u64_u32 v[9:10], null, s6, v9, s[10:11]
	v_add3_u32 v126, v126, v4, v3
	v_mad_co_u64_u32 v[3:4], null, s6, v13, s[8:9]
	v_mul_lo_u32 v18, s6, v5
	v_mul_lo_u32 v19, s7, v13
	;; [unrolled: 1-line block ×3, first 2 shown]
	v_mad_co_u64_u32 v[13:14], null, s6, v13, s[10:11]
	v_add3_u32 v2, v15, v2, v16
	v_mad_co_u64_u32 v[5:6], null, s6, v17, s[8:9]
	v_mul_lo_u32 v20, s6, v7
	v_mul_lo_u32 v22, s7, v17
	v_add3_u32 v10, v15, v10, v16
	v_mad_co_u64_u32 v[15:16], null, s6, v17, s[10:11]
	v_mad_co_u64_u32 v[7:8], null, s6, v21, s[8:9]
	v_mul_lo_u32 v25, s7, v21
	v_add3_u32 v4, v19, v4, v18
	v_add3_u32 v14, v19, v14, v18
	v_mad_co_u64_u32 v[17:18], null, s6, v21, s[10:11]
	v_add_co_u32 v28, vcc_lo, v121, 48
	v_mad_co_u64_u32 v[11:12], null, s6, v23, s[8:9]
	v_mul_lo_u32 v27, s7, v23
	v_add3_u32 v6, v22, v6, v20
	v_add3_u32 v16, v22, v16, v20
	v_mad_co_u64_u32 v[21:22], null, s6, v23, s[10:11]
	s_wait_alu 0xfffd
	v_add_co_ci_u32_e64 v29, null, 0, v122, vcc_lo
	v_mad_co_u64_u32 v[19:20], null, s6, v28, s[8:9]
	v_add3_u32 v8, v25, v8, v24
	v_add3_u32 v18, v25, v18, v24
	v_mul_lo_u32 v30, s7, v28
	v_mad_co_u64_u32 v[23:24], null, s6, v28, s[10:11]
	v_add_co_u32 v28, vcc_lo, v121, 56
	s_wait_alu 0xfffd
	v_add_co_ci_u32_e64 v31, null, 0, v122, vcc_lo
	v_add_co_u32 v33, vcc_lo, v121, 64
	s_wait_alu 0xfffd
	v_add_co_ci_u32_e64 v34, null, 0, v122, vcc_lo
	v_mul_lo_u32 v29, s6, v29
	v_add3_u32 v12, v27, v12, v26
	v_add3_u32 v22, v27, v22, v26
	v_mad_co_u64_u32 v[25:26], null, s6, v28, s[8:9]
	v_mul_lo_u32 v31, s6, v31
	v_mul_lo_u32 v32, s7, v28
	v_mad_co_u64_u32 v[27:28], null, s6, v28, s[10:11]
	v_add_co_u32 v35, vcc_lo, 0x48, v121
	v_mul_lo_u32 v37, s6, v34
	s_wait_alu 0xfffd
	v_add_co_ci_u32_e64 v34, null, 0, v122, vcc_lo
	v_add_co_u32 v41, vcc_lo, 0x50, v121
	s_wait_alu 0xfffd
	v_add_co_ci_u32_e64 v42, null, 0, v122, vcc_lo
	v_add3_u32 v20, v30, v20, v29
	v_add3_u32 v24, v30, v24, v29
	;; [unrolled: 1-line block ×4, first 2 shown]
	v_mul_lo_u32 v38, s7, v33
	v_mad_co_u64_u32 v[29:30], null, s6, v33, s[8:9]
	v_mad_co_u64_u32 v[31:32], null, s6, v33, s[10:11]
	v_mul_lo_u32 v39, s6, v34
	v_mul_lo_u32 v40, s7, v35
	v_mad_co_u64_u32 v[33:34], null, s6, v35, s[8:9]
	v_mad_co_u64_u32 v[35:36], null, s6, v35, s[10:11]
	v_add_co_u32 v43, vcc_lo, 0x58, v121
	v_mul_lo_u32 v45, s6, v42
	s_wait_alu 0xfffd
	v_add_co_ci_u32_e64 v42, null, 0, v122, vcc_lo
	v_add_co_u32 v49, vcc_lo, 0x60, v121
	s_wait_alu 0xfffd
	v_add_co_ci_u32_e64 v50, null, 0, v122, vcc_lo
	v_add3_u32 v30, v38, v30, v37
	v_add3_u32 v32, v38, v32, v37
	;; [unrolled: 1-line block ×4, first 2 shown]
	v_mul_lo_u32 v46, s7, v41
	v_mad_co_u64_u32 v[37:38], null, s6, v41, s[8:9]
	v_mad_co_u64_u32 v[39:40], null, s6, v41, s[10:11]
	v_mul_lo_u32 v47, s6, v42
	v_mul_lo_u32 v48, s7, v43
	v_mad_co_u64_u32 v[41:42], null, s6, v43, s[8:9]
	v_mad_co_u64_u32 v[43:44], null, s6, v43, s[10:11]
	v_add_co_u32 v51, vcc_lo, 0x68, v121
	v_mul_lo_u32 v53, s6, v50
	s_wait_alu 0xfffd
	v_add_co_ci_u32_e64 v50, null, 0, v122, vcc_lo
	v_add3_u32 v38, v46, v38, v45
	v_add3_u32 v40, v46, v40, v45
	;; [unrolled: 1-line block ×4, first 2 shown]
	v_mul_lo_u32 v54, s7, v49
	v_mad_co_u64_u32 v[45:46], null, s6, v49, s[8:9]
	v_mad_co_u64_u32 v[47:48], null, s6, v49, s[10:11]
	v_mul_lo_u32 v55, s6, v50
	v_mul_lo_u32 v56, s7, v51
	v_mad_co_u64_u32 v[49:50], null, s6, v51, s[8:9]
	v_mad_co_u64_u32 v[51:52], null, s6, v51, s[10:11]
	v_add_co_u32 v57, vcc_lo, 0x70, v121
	s_wait_alu 0xfffd
	v_add_co_ci_u32_e64 v58, null, 0, v122, vcc_lo
	v_add3_u32 v46, v54, v46, v53
	v_add3_u32 v48, v54, v48, v53
	;; [unrolled: 1-line block ×4, first 2 shown]
	v_mul_lo_u32 v58, s6, v58
	v_mul_lo_u32 v59, s7, v57
	v_mad_co_u64_u32 v[53:54], null, s6, v57, s[8:9]
	v_mad_co_u64_u32 v[55:56], null, s6, v57, s[10:11]
	s_add_nc_u64 s[16:17], s[0:1], 64
	v_add3_u32 v54, v59, v54, v58
	v_add3_u32 v56, v59, v56, v58
	v_add_co_u32 v59, vcc_lo, 0x78, v121
	s_wait_alu 0xfffd
	v_add_co_ci_u32_e64 v57, null, 0, v122, vcc_lo
	v_add_co_u32 v63, vcc_lo, 0x80, v121
	s_delay_alu instid0(VALU_DEP_3) | instskip(NEXT) | instid1(VALU_DEP_3)
	v_mul_lo_u32 v62, s7, v59
	v_mul_lo_u32 v61, s6, v57
	v_mad_co_u64_u32 v[57:58], null, s6, v59, s[8:9]
	v_mad_co_u64_u32 v[59:60], null, s6, v59, s[10:11]
	v_mul_lo_u32 v66, s7, v63
	s_delay_alu instid0(VALU_DEP_3) | instskip(NEXT) | instid1(VALU_DEP_3)
	v_add3_u32 v58, v62, v58, v61
	v_add3_u32 v60, v62, v60, v61
	s_wait_alu 0xfffd
	v_add_co_ci_u32_e64 v61, null, 0, v122, vcc_lo
	v_add_co_u32 v67, vcc_lo, 0x88, v121
	s_delay_alu instid0(VALU_DEP_2) | instskip(SKIP_2) | instid1(VALU_DEP_4)
	v_mul_lo_u32 v65, s6, v61
	v_mad_co_u64_u32 v[61:62], null, s6, v63, s[8:9]
	v_mad_co_u64_u32 v[63:64], null, s6, v63, s[10:11]
	v_mul_lo_u32 v70, s7, v67
	s_delay_alu instid0(VALU_DEP_3) | instskip(NEXT) | instid1(VALU_DEP_3)
	v_add3_u32 v62, v66, v62, v65
	v_add3_u32 v64, v66, v64, v65
	s_wait_alu 0xfffd
	v_add_co_ci_u32_e64 v65, null, 0, v122, vcc_lo
	v_add_co_u32 v71, vcc_lo, 0x90, v121
	s_delay_alu instid0(VALU_DEP_2) | instskip(SKIP_2) | instid1(VALU_DEP_4)
	;; [unrolled: 11-line block ×14, first 2 shown]
	v_mul_lo_u32 v117, s6, v113
	v_mad_co_u64_u32 v[113:114], null, s6, v115, s[8:9]
	v_mad_co_u64_u32 v[115:116], null, s6, v115, s[10:11]
	v_mul_lo_u32 v124, s7, v119
	s_delay_alu instid0(VALU_DEP_3) | instskip(NEXT) | instid1(VALU_DEP_3)
	v_add3_u32 v114, v118, v114, v117
	v_add3_u32 v116, v118, v116, v117
	s_wait_alu 0xfffd
	v_add_co_ci_u32_e64 v117, null, 0, v122, vcc_lo
	s_delay_alu instid0(VALU_DEP_1) | instskip(SKIP_2) | instid1(VALU_DEP_2)
	v_mul_lo_u32 v123, s6, v117
	v_mad_co_u64_u32 v[117:118], null, s6, v119, s[8:9]
	v_mad_co_u64_u32 v[119:120], null, s6, v119, s[10:11]
	v_add3_u32 v118, v124, v118, v123
	s_delay_alu instid0(VALU_DEP_2) | instskip(SKIP_3) | instid1(VALU_DEP_2)
	v_add3_u32 v120, v124, v120, v123
	v_add_co_u32 v123, vcc_lo, 0xf8, v121
	s_wait_alu 0xfffd
	v_add_co_ci_u32_e64 v121, null, 0, v122, vcc_lo
	v_mul_lo_u32 v128, s7, v123
	s_delay_alu instid0(VALU_DEP_2) | instskip(SKIP_2) | instid1(VALU_DEP_2)
	v_mul_lo_u32 v127, s6, v121
	v_mad_co_u64_u32 v[121:122], null, s6, v123, s[8:9]
	v_mad_co_u64_u32 v[123:124], null, s6, v123, s[10:11]
	v_add3_u32 v122, v128, v122, v127
	s_delay_alu instid0(VALU_DEP_2) | instskip(SKIP_3) | instid1(VALU_DEP_2)
	v_add3_u32 v124, v128, v124, v127
	v_add_co_u32 v127, vcc_lo, v139, 31
	s_wait_alu 0xfffd
	v_add_co_ci_u32_e64 v128, null, 0, v133, vcc_lo
	v_mul_lo_u32 v130, s7, v127
	s_delay_alu instid0(VALU_DEP_2) | instskip(SKIP_1) | instid1(VALU_DEP_1)
	v_mul_lo_u32 v129, s6, v128
	v_mad_co_u64_u32 v[127:128], null, s6, v127, 0
	v_add3_u32 v128, v128, v129, v130
	v_add_co_u32 v129, vcc_lo, v139, 30
	s_wait_alu 0xfffd
	v_add_co_ci_u32_e64 v130, null, 0, v133, vcc_lo
	s_delay_alu instid0(VALU_DEP_2) | instskip(NEXT) | instid1(VALU_DEP_2)
	v_mul_lo_u32 v132, s7, v129
	v_mul_lo_u32 v131, s6, v130
	v_mad_co_u64_u32 v[129:130], null, s6, v129, 0
	s_delay_alu instid0(VALU_DEP_1) | instskip(SKIP_3) | instid1(VALU_DEP_2)
	v_add3_u32 v130, v130, v131, v132
	v_add_co_u32 v131, vcc_lo, v139, 29
	s_wait_alu 0xfffd
	v_add_co_ci_u32_e64 v132, null, 0, v133, vcc_lo
	v_mul_lo_u32 v135, s7, v131
	s_delay_alu instid0(VALU_DEP_2) | instskip(SKIP_1) | instid1(VALU_DEP_1)
	v_mul_lo_u32 v134, s6, v132
	v_mad_co_u64_u32 v[131:132], null, s6, v131, 0
	v_add3_u32 v132, v132, v134, v135
	v_add_co_u32 v134, vcc_lo, v139, 28
	s_wait_alu 0xfffd
	v_add_co_ci_u32_e64 v135, null, 0, v133, vcc_lo
	s_delay_alu instid0(VALU_DEP_2) | instskip(NEXT) | instid1(VALU_DEP_2)
	v_mul_lo_u32 v137, s7, v134
	v_mul_lo_u32 v136, s6, v135
	v_mad_co_u64_u32 v[134:135], null, s6, v134, 0
	s_delay_alu instid0(VALU_DEP_1) | instskip(SKIP_3) | instid1(VALU_DEP_2)
	v_add3_u32 v135, v135, v136, v137
	v_add_co_u32 v136, vcc_lo, v139, 27
	s_wait_alu 0xfffd
	v_add_co_ci_u32_e64 v137, null, 0, v133, vcc_lo
	v_mul_lo_u32 v138, s7, v136
	v_mad_co_u64_u32 v[140:141], null, s6, v136, 0
	s_delay_alu instid0(VALU_DEP_3) | instskip(SKIP_1) | instid1(VALU_DEP_1)
	v_mul_lo_u32 v137, s6, v137
	v_add_co_u32 v136, vcc_lo, v139, 26
	v_mad_co_u64_u32 v[142:143], null, s6, v136, 0
	s_delay_alu instid0(VALU_DEP_3) | instskip(SKIP_4) | instid1(VALU_DEP_3)
	v_add3_u32 v141, v141, v137, v138
	s_wait_alu 0xfffd
	v_add_co_ci_u32_e64 v137, null, 0, v133, vcc_lo
	v_mul_lo_u32 v138, s7, v136
	v_add_co_u32 v136, vcc_lo, v139, 25
	v_mul_lo_u32 v137, s6, v137
	s_delay_alu instid0(VALU_DEP_2) | instskip(NEXT) | instid1(VALU_DEP_2)
	v_mad_co_u64_u32 v[144:145], null, s6, v136, 0
	v_add3_u32 v143, v143, v137, v138
	s_wait_alu 0xfffd
	v_add_co_ci_u32_e64 v137, null, 0, v133, vcc_lo
	v_mul_lo_u32 v138, s7, v136
	v_add_co_u32 v136, vcc_lo, v139, 24
	s_delay_alu instid0(VALU_DEP_3) | instskip(NEXT) | instid1(VALU_DEP_2)
	v_mul_lo_u32 v137, s6, v137
	v_mad_co_u64_u32 v[146:147], null, s6, v136, 0
	s_delay_alu instid0(VALU_DEP_2) | instskip(SKIP_4) | instid1(VALU_DEP_3)
	v_add3_u32 v145, v145, v137, v138
	s_wait_alu 0xfffd
	v_add_co_ci_u32_e64 v137, null, 0, v133, vcc_lo
	v_mul_lo_u32 v138, s7, v136
	v_add_co_u32 v136, vcc_lo, v139, 23
	v_mul_lo_u32 v137, s6, v137
	s_delay_alu instid0(VALU_DEP_2) | instskip(NEXT) | instid1(VALU_DEP_2)
	v_mad_co_u64_u32 v[148:149], null, s6, v136, 0
	v_add3_u32 v147, v147, v137, v138
	s_wait_alu 0xfffd
	v_add_co_ci_u32_e64 v137, null, 0, v133, vcc_lo
	v_mul_lo_u32 v138, s7, v136
	v_add_co_u32 v136, vcc_lo, v139, 22
	s_delay_alu instid0(VALU_DEP_3) | instskip(NEXT) | instid1(VALU_DEP_2)
	v_mul_lo_u32 v137, s6, v137
	v_mad_co_u64_u32 v[150:151], null, s6, v136, 0
	s_delay_alu instid0(VALU_DEP_2) | instskip(SKIP_4) | instid1(VALU_DEP_3)
	v_add3_u32 v149, v149, v137, v138
	s_wait_alu 0xfffd
	v_add_co_ci_u32_e64 v137, null, 0, v133, vcc_lo
	v_mul_lo_u32 v138, s7, v136
	v_add_co_u32 v136, vcc_lo, v139, 21
	v_mul_lo_u32 v137, s6, v137
	s_delay_alu instid0(VALU_DEP_2) | instskip(NEXT) | instid1(VALU_DEP_2)
	v_mad_co_u64_u32 v[152:153], null, s6, v136, 0
	v_add3_u32 v151, v151, v137, v138
	s_wait_alu 0xfffd
	v_add_co_ci_u32_e64 v137, null, 0, v133, vcc_lo
	v_mul_lo_u32 v138, s7, v136
	v_add_co_u32 v136, vcc_lo, v139, 20
	s_delay_alu instid0(VALU_DEP_3) | instskip(NEXT) | instid1(VALU_DEP_2)
	v_mul_lo_u32 v137, s6, v137
	v_mad_co_u64_u32 v[154:155], null, s6, v136, 0
	s_delay_alu instid0(VALU_DEP_2) | instskip(SKIP_4) | instid1(VALU_DEP_3)
	v_add3_u32 v153, v153, v137, v138
	s_wait_alu 0xfffd
	v_add_co_ci_u32_e64 v137, null, 0, v133, vcc_lo
	v_mul_lo_u32 v138, s7, v136
	v_add_co_u32 v136, vcc_lo, v139, 19
	v_mul_lo_u32 v137, s6, v137
	s_delay_alu instid0(VALU_DEP_2) | instskip(NEXT) | instid1(VALU_DEP_2)
	v_mad_co_u64_u32 v[156:157], null, s6, v136, 0
	v_add3_u32 v155, v155, v137, v138
	s_wait_alu 0xfffd
	v_add_co_ci_u32_e64 v137, null, 0, v133, vcc_lo
	v_mul_lo_u32 v138, s7, v136
	v_add_co_u32 v136, vcc_lo, v139, 18
	s_delay_alu instid0(VALU_DEP_3) | instskip(NEXT) | instid1(VALU_DEP_2)
	v_mul_lo_u32 v137, s6, v137
	v_mad_co_u64_u32 v[158:159], null, s6, v136, 0
	s_delay_alu instid0(VALU_DEP_2) | instskip(SKIP_4) | instid1(VALU_DEP_3)
	v_add3_u32 v157, v157, v137, v138
	s_wait_alu 0xfffd
	v_add_co_ci_u32_e64 v137, null, 0, v133, vcc_lo
	v_mul_lo_u32 v138, s7, v136
	v_add_co_u32 v136, vcc_lo, v139, 17
	v_mul_lo_u32 v137, s6, v137
	s_delay_alu instid0(VALU_DEP_2) | instskip(NEXT) | instid1(VALU_DEP_2)
	v_mad_co_u64_u32 v[160:161], null, s6, v136, 0
	v_add3_u32 v159, v159, v137, v138
	s_wait_alu 0xfffd
	v_add_co_ci_u32_e64 v137, null, 0, v133, vcc_lo
	v_mul_lo_u32 v138, s7, v136
	v_add_co_u32 v136, vcc_lo, v139, 16
	s_delay_alu instid0(VALU_DEP_3) | instskip(NEXT) | instid1(VALU_DEP_2)
	v_mul_lo_u32 v137, s6, v137
	v_mad_co_u64_u32 v[162:163], null, s6, v136, 0
	s_delay_alu instid0(VALU_DEP_2) | instskip(SKIP_4) | instid1(VALU_DEP_3)
	v_add3_u32 v161, v161, v137, v138
	s_wait_alu 0xfffd
	v_add_co_ci_u32_e64 v137, null, 0, v133, vcc_lo
	v_mul_lo_u32 v138, s7, v136
	v_add_co_u32 v136, vcc_lo, v139, 15
	v_mul_lo_u32 v137, s6, v137
	s_delay_alu instid0(VALU_DEP_2) | instskip(NEXT) | instid1(VALU_DEP_2)
	v_mad_co_u64_u32 v[164:165], null, s6, v136, 0
	v_add3_u32 v163, v163, v137, v138
	s_wait_alu 0xfffd
	v_add_co_ci_u32_e64 v137, null, 0, v133, vcc_lo
	v_mul_lo_u32 v138, s7, v136
	v_add_co_u32 v136, vcc_lo, v139, 14
	s_delay_alu instid0(VALU_DEP_3) | instskip(NEXT) | instid1(VALU_DEP_2)
	v_mul_lo_u32 v137, s6, v137
	v_mad_co_u64_u32 v[166:167], null, s6, v136, 0
	s_delay_alu instid0(VALU_DEP_2) | instskip(SKIP_4) | instid1(VALU_DEP_3)
	v_add3_u32 v165, v165, v137, v138
	s_wait_alu 0xfffd
	v_add_co_ci_u32_e64 v137, null, 0, v133, vcc_lo
	v_mul_lo_u32 v138, s7, v136
	v_add_co_u32 v136, vcc_lo, v139, 13
	v_mul_lo_u32 v137, s6, v137
	s_delay_alu instid0(VALU_DEP_2) | instskip(NEXT) | instid1(VALU_DEP_2)
	v_mad_co_u64_u32 v[168:169], null, s6, v136, 0
	v_add3_u32 v167, v167, v137, v138
	s_wait_alu 0xfffd
	v_add_co_ci_u32_e64 v137, null, 0, v133, vcc_lo
	v_mul_lo_u32 v138, s7, v136
	v_add_co_u32 v136, vcc_lo, v139, 12
	s_delay_alu instid0(VALU_DEP_3) | instskip(NEXT) | instid1(VALU_DEP_2)
	v_mul_lo_u32 v137, s6, v137
	v_mad_co_u64_u32 v[170:171], null, s6, v136, 0
	s_delay_alu instid0(VALU_DEP_2) | instskip(SKIP_4) | instid1(VALU_DEP_3)
	v_add3_u32 v169, v169, v137, v138
	s_wait_alu 0xfffd
	v_add_co_ci_u32_e64 v137, null, 0, v133, vcc_lo
	v_mul_lo_u32 v138, s7, v136
	v_add_co_u32 v136, vcc_lo, v139, 11
	v_mul_lo_u32 v137, s6, v137
	s_delay_alu instid0(VALU_DEP_2) | instskip(NEXT) | instid1(VALU_DEP_2)
	v_mad_co_u64_u32 v[172:173], null, s6, v136, 0
	v_add3_u32 v171, v171, v137, v138
	s_wait_alu 0xfffd
	v_add_co_ci_u32_e64 v137, null, 0, v133, vcc_lo
	v_mul_lo_u32 v138, s7, v136
	v_add_co_u32 v136, vcc_lo, v139, 10
	s_delay_alu instid0(VALU_DEP_3) | instskip(NEXT) | instid1(VALU_DEP_2)
	v_mul_lo_u32 v137, s6, v137
	v_mad_co_u64_u32 v[174:175], null, s6, v136, 0
	s_delay_alu instid0(VALU_DEP_2) | instskip(SKIP_4) | instid1(VALU_DEP_3)
	v_add3_u32 v173, v173, v137, v138
	s_wait_alu 0xfffd
	v_add_co_ci_u32_e64 v137, null, 0, v133, vcc_lo
	v_mul_lo_u32 v138, s7, v136
	v_add_co_u32 v136, vcc_lo, v139, 9
	v_mul_lo_u32 v137, s6, v137
	s_delay_alu instid0(VALU_DEP_2) | instskip(NEXT) | instid1(VALU_DEP_2)
	v_mad_co_u64_u32 v[176:177], null, s6, v136, 0
	v_add3_u32 v175, v175, v137, v138
	s_wait_alu 0xfffd
	v_add_co_ci_u32_e64 v137, null, 0, v133, vcc_lo
	v_mul_lo_u32 v138, s7, v136
	v_add_co_u32 v136, vcc_lo, v139, 8
	s_delay_alu instid0(VALU_DEP_3) | instskip(NEXT) | instid1(VALU_DEP_2)
	v_mul_lo_u32 v137, s6, v137
	v_mad_co_u64_u32 v[178:179], null, s6, v136, 0
	s_delay_alu instid0(VALU_DEP_2) | instskip(SKIP_4) | instid1(VALU_DEP_3)
	v_add3_u32 v177, v177, v137, v138
	s_wait_alu 0xfffd
	v_add_co_ci_u32_e64 v137, null, 0, v133, vcc_lo
	v_mul_lo_u32 v138, s7, v136
	v_add_co_u32 v136, vcc_lo, v139, 7
	v_mul_lo_u32 v137, s6, v137
	s_delay_alu instid0(VALU_DEP_2) | instskip(NEXT) | instid1(VALU_DEP_2)
	v_mad_co_u64_u32 v[180:181], null, s6, v136, 0
	v_add3_u32 v179, v179, v137, v138
	s_wait_alu 0xfffd
	v_add_co_ci_u32_e64 v137, null, 0, v133, vcc_lo
	v_mul_lo_u32 v138, s7, v136
	v_add_co_u32 v136, vcc_lo, v139, 6
	s_delay_alu instid0(VALU_DEP_3) | instskip(NEXT) | instid1(VALU_DEP_2)
	v_mul_lo_u32 v137, s6, v137
	v_mad_co_u64_u32 v[182:183], null, s6, v136, 0
	s_delay_alu instid0(VALU_DEP_2) | instskip(SKIP_4) | instid1(VALU_DEP_3)
	v_add3_u32 v181, v181, v137, v138
	s_wait_alu 0xfffd
	v_add_co_ci_u32_e64 v137, null, 0, v133, vcc_lo
	v_mul_lo_u32 v138, s7, v136
	v_add_co_u32 v136, vcc_lo, v139, 5
	v_mul_lo_u32 v137, s6, v137
	s_delay_alu instid0(VALU_DEP_2) | instskip(NEXT) | instid1(VALU_DEP_2)
	v_mad_co_u64_u32 v[184:185], null, s6, v136, 0
	v_add3_u32 v183, v183, v137, v138
	s_wait_alu 0xfffd
	v_add_co_ci_u32_e64 v137, null, 0, v133, vcc_lo
	v_mul_lo_u32 v138, s7, v136
	v_add_co_u32 v136, vcc_lo, v139, 4
	s_delay_alu instid0(VALU_DEP_3) | instskip(NEXT) | instid1(VALU_DEP_2)
	v_mul_lo_u32 v137, s6, v137
	v_mad_co_u64_u32 v[186:187], null, s6, v136, 0
	s_delay_alu instid0(VALU_DEP_2) | instskip(SKIP_4) | instid1(VALU_DEP_3)
	v_add3_u32 v185, v185, v137, v138
	s_wait_alu 0xfffd
	v_add_co_ci_u32_e64 v137, null, 0, v133, vcc_lo
	v_mul_lo_u32 v138, s7, v136
	v_add_co_u32 v136, vcc_lo, v139, 3
	v_mul_lo_u32 v137, s6, v137
	s_delay_alu instid0(VALU_DEP_2) | instskip(NEXT) | instid1(VALU_DEP_2)
	v_mad_co_u64_u32 v[190:191], null, s6, v136, 0
	v_add3_u32 v187, v187, v137, v138
	s_wait_alu 0xfffd
	v_add_co_ci_u32_e64 v137, null, 0, v133, vcc_lo
	v_add_co_u32 v0, vcc_lo, v139, 2
	s_wait_alu 0xfffd
	v_add_co_ci_u32_e64 v133, null, 0, v133, vcc_lo
	v_mul_lo_u32 v138, s7, v136
	s_delay_alu instid0(VALU_DEP_3) | instskip(SKIP_1) | instid1(VALU_DEP_4)
	v_mul_lo_u32 v136, s7, v0
	v_mad_co_u64_u32 v[194:195], null, s6, v0, 0
	v_mul_lo_u32 v133, s6, v133
	v_add_co_u32 v200, vcc_lo, v125, s6
	v_mul_lo_u32 v137, s6, v137
	s_wait_alu 0xfffd
	v_add_co_ci_u32_e64 v201, null, s7, v126, vcc_lo
	v_lshlrev_b64_e32 v[125:126], 3, v[125:126]
	v_add3_u32 v195, v195, v133, v136
	s_delay_alu instid0(VALU_DEP_4) | instskip(NEXT) | instid1(VALU_DEP_3)
	v_add3_u32 v191, v191, v137, v138
	v_add_co_u32 v136, vcc_lo, s8, v125
	s_wait_alu 0xfffd
	s_delay_alu instid0(VALU_DEP_4)
	v_add_co_ci_u32_e64 v137, null, s9, v126, vcc_lo
	v_add_co_u32 v138, vcc_lo, s10, v125
	s_wait_alu 0xfffd
	v_add_co_ci_u32_e64 v139, null, s11, v126, vcc_lo
	v_lshlrev_b64_e32 v[125:126], 3, v[127:128]
	v_mov_b32_e32 v127, 0
	s_delay_alu instid0(VALU_DEP_2)
	v_add_co_u32 v0, vcc_lo, s8, v125
	scratch_store_b32 off, v0, off offset:8 ; 4-byte Folded Spill
	s_wait_alu 0xfffd
	v_add_co_ci_u32_e64 v0, null, s9, v126, vcc_lo
	scratch_store_b32 off, v0, off offset:16 ; 4-byte Folded Spill
	v_add_co_u32 v0, vcc_lo, s10, v125
	scratch_store_b32 off, v0, off offset:24 ; 4-byte Folded Spill
	s_wait_alu 0xfffd
	v_add_co_ci_u32_e64 v0, null, s11, v126, vcc_lo
	v_lshlrev_b64_e32 v[125:126], 3, v[129:130]
	scratch_store_b32 off, v0, off offset:32 ; 4-byte Folded Spill
	v_add_co_u32 v0, vcc_lo, s8, v125
	scratch_store_b32 off, v0, off offset:40 ; 4-byte Folded Spill
	s_wait_alu 0xfffd
	v_add_co_ci_u32_e64 v0, null, s9, v126, vcc_lo
	scratch_store_b32 off, v0, off offset:48 ; 4-byte Folded Spill
	v_add_co_u32 v0, vcc_lo, s10, v125
	scratch_store_b32 off, v0, off offset:56 ; 4-byte Folded Spill
	s_wait_alu 0xfffd
	v_add_co_ci_u32_e64 v0, null, s11, v126, vcc_lo
	v_lshlrev_b64_e32 v[125:126], 3, v[131:132]
	scratch_store_b32 off, v0, off offset:60 ; 4-byte Folded Spill
	;; [unrolled: 11-line block ×5, first 2 shown]
	v_add_co_u32 v0, vcc_lo, s8, v125
	scratch_store_b32 off, v0, off offset:112 ; 4-byte Folded Spill
	s_wait_alu 0xfffd
	v_add_co_ci_u32_e64 v0, null, s9, v126, vcc_lo
	scratch_store_b32 off, v0, off offset:116 ; 4-byte Folded Spill
	v_add_co_u32 v0, vcc_lo, s10, v125
	scratch_store_b32 off, v0, off offset:120 ; 4-byte Folded Spill
	s_wait_alu 0xfffd
	v_add_co_ci_u32_e64 v0, null, s11, v126, vcc_lo
	v_lshlrev_b64_e32 v[125:126], 3, v[144:145]
	v_mov_b32_e32 v144, v127
	scratch_store_b32 off, v0, off offset:124 ; 4-byte Folded Spill
	v_add_co_u32 v0, vcc_lo, s8, v125
	scratch_store_b32 off, v0, off offset:128 ; 4-byte Folded Spill
	s_wait_alu 0xfffd
	v_add_co_ci_u32_e64 v0, null, s9, v126, vcc_lo
	scratch_store_b32 off, v0, off offset:132 ; 4-byte Folded Spill
	v_add_co_u32 v0, vcc_lo, s10, v125
	scratch_store_b32 off, v0, off offset:136 ; 4-byte Folded Spill
	s_wait_alu 0xfffd
	v_add_co_ci_u32_e64 v0, null, s11, v126, vcc_lo
	v_lshlrev_b64_e32 v[125:126], 3, v[146:147]
	scratch_store_b32 off, v0, off offset:140 ; 4-byte Folded Spill
	v_add_co_u32 v0, vcc_lo, s8, v125
	scratch_store_b32 off, v0, off offset:144 ; 4-byte Folded Spill
	s_wait_alu 0xfffd
	v_add_co_ci_u32_e64 v0, null, s9, v126, vcc_lo
	scratch_store_b32 off, v0, off offset:148 ; 4-byte Folded Spill
	v_add_co_u32 v0, vcc_lo, s10, v125
	scratch_store_b32 off, v0, off offset:152 ; 4-byte Folded Spill
	s_wait_alu 0xfffd
	v_add_co_ci_u32_e64 v0, null, s11, v126, vcc_lo
	v_lshlrev_b64_e32 v[125:126], 3, v[148:149]
	;; [unrolled: 11-line block ×3, first 2 shown]
	v_mov_b32_e32 v149, 0
	v_mov_b32_e32 v150, 0
	scratch_store_b32 off, v0, off offset:172 ; 4-byte Folded Spill
	v_add_co_u32 v0, vcc_lo, s8, v125
	scratch_store_b32 off, v0, off offset:176 ; 4-byte Folded Spill
	s_wait_alu 0xfffd
	v_add_co_ci_u32_e64 v0, null, s9, v126, vcc_lo
	scratch_store_b32 off, v0, off offset:180 ; 4-byte Folded Spill
	v_add_co_u32 v0, vcc_lo, s10, v125
	scratch_store_b32 off, v0, off offset:184 ; 4-byte Folded Spill
	s_wait_alu 0xfffd
	v_add_co_ci_u32_e64 v0, null, s11, v126, vcc_lo
	v_lshlrev_b64_e32 v[125:126], 3, v[152:153]
	scratch_store_b32 off, v0, off offset:188 ; 4-byte Folded Spill
	v_add_co_u32 v0, vcc_lo, s8, v125
	scratch_store_b32 off, v0, off offset:192 ; 4-byte Folded Spill
	s_wait_alu 0xfffd
	v_add_co_ci_u32_e64 v0, null, s9, v126, vcc_lo
	scratch_store_b32 off, v0, off offset:196 ; 4-byte Folded Spill
	v_add_co_u32 v0, vcc_lo, s10, v125
	scratch_store_b32 off, v0, off offset:200 ; 4-byte Folded Spill
	s_wait_alu 0xfffd
	v_add_co_ci_u32_e64 v0, null, s11, v126, vcc_lo
	v_lshlrev_b64_e32 v[125:126], 3, v[154:155]
	;; [unrolled: 11-line block ×9, first 2 shown]
	scratch_store_b32 off, v0, off offset:316 ; 4-byte Folded Spill
	v_add_co_u32 v151, vcc_lo, s8, v125
	s_wait_alu 0xfffd
	v_add_co_ci_u32_e64 v152, null, s9, v126, vcc_lo
	v_add_co_u32 v153, vcc_lo, s10, v125
	s_wait_alu 0xfffd
	v_add_co_ci_u32_e64 v154, null, s11, v126, vcc_lo
	v_lshlrev_b64_e32 v[125:126], 3, v[170:171]
	s_delay_alu instid0(VALU_DEP_1) | instskip(SKIP_1) | instid1(VALU_DEP_2)
	v_add_co_u32 v155, vcc_lo, s8, v125
	s_wait_alu 0xfffd
	v_add_co_ci_u32_e64 v156, null, s9, v126, vcc_lo
	v_add_co_u32 v157, vcc_lo, s10, v125
	s_wait_alu 0xfffd
	v_add_co_ci_u32_e64 v158, null, s11, v126, vcc_lo
	v_lshlrev_b64_e32 v[125:126], 3, v[172:173]
	s_delay_alu instid0(VALU_DEP_1) | instskip(SKIP_1) | instid1(VALU_DEP_2)
	;; [unrolled: 8-line block ×11, first 2 shown]
	v_add_co_u32 v194, vcc_lo, s8, v125
	s_wait_alu 0xfffd
	v_add_co_ci_u32_e64 v195, null, s9, v126, vcc_lo
	v_add_co_u32 v196, vcc_lo, s10, v125
	s_wait_alu 0xfffd
	v_add_co_ci_u32_e64 v197, null, s11, v126, vcc_lo
	v_lshlrev_b64_e32 v[125:126], 3, v[200:201]
	s_delay_alu instid0(VALU_DEP_1)
	v_add_co_u32 v140, vcc_lo, s8, v125
	s_load_b32 s8, s[0:1], 0x44
	v_add_co_ci_u32_e64 v141, null, s9, v126, vcc_lo
	v_add_co_u32 v142, vcc_lo, s10, v125
	v_and_b32_e32 v125, 0x3ff, v198
	s_wait_alu 0xfffd
	v_add_co_ci_u32_e64 v143, null, s11, v126, vcc_lo
	s_mov_b32 s9, 0
	v_add_nc_u32_e32 v126, s28, v125
	s_wait_alu 0xfffe
	s_mov_b32 s11, s9
	scratch_store_b32 off, v125, off offset:580 ; 4-byte Folded Spill
	v_lshlrev_b64_e32 v[128:129], 3, v[126:127]
	s_wait_kmcnt 0x0
	s_lshl_b32 s10, s8, 5
	s_wait_alu 0xfffe
	s_mul_u64 s[18:19], s[6:7], s[10:11]
	s_wait_alu 0xfffe
	s_lshl_b64 s[18:19], s[18:19], 3
.LBB120_145:                            ; =>This Inner Loop Header: Depth=1
	scratch_load_b32 v125, off, off         ; 4-byte Folded Reload
	s_add_nc_u64 s[24:25], s[14:15], s[20:21]
	s_wait_alu 0xfffe
	v_cmp_ge_i64_e64 s8, s[24:25], s[4:5]
	s_wait_loadcnt 0x0
	v_add_co_u32 v132, vcc_lo, s14, v125
	s_wait_alu 0xfffd
	v_add_co_ci_u32_e64 v133, null, 0, v144, vcc_lo
	s_and_b32 vcc_lo, exec_lo, s8
	s_mov_b32 s8, -1
                                        ; implicit-def: $vgpr125_vgpr126
	s_wait_alu 0xfffe
	s_cbranch_vccz .LBB120_213
; %bb.146:                              ;   in Loop: Header=BB120_145 Depth=1
	s_load_b32 s8, s[16:17], 0xc
	s_clause 0x1
	scratch_load_b32 v125, off, off offset:576
	scratch_load_b32 v126, off, off offset:580
	v_mov_b32_e32 v146, 0
	v_mov_b32_e32 v147, 0
	s_wait_kmcnt 0x0
	s_and_b32 s8, s8, 0xffff
	s_wait_loadcnt 0x0
	s_wait_alu 0xfffe
	v_mad_u32_u24 v125, v125, s8, v126
	s_mov_b32 s8, exec_lo
	s_delay_alu instid0(VALU_DEP_1) | instskip(NEXT) | instid1(VALU_DEP_1)
	v_and_b32_e32 v125, 31, v125
	v_add_co_u32 v130, vcc_lo, v132, v125
	v_mov_b32_e32 v125, 0
	s_wait_alu 0xfffd
	v_add_co_ci_u32_e64 v131, null, 0, v133, vcc_lo
	v_mov_b32_e32 v126, 0
	s_delay_alu instid0(VALU_DEP_2)
	v_cmpx_gt_i64_e64 s[4:5], v[130:131]
	s_cbranch_execz .LBB120_148
; %bb.147:                              ;   in Loop: Header=BB120_145 Depth=1
	v_lshlrev_b64_e32 v[125:126], 3, v[130:131]
	s_delay_alu instid0(VALU_DEP_1) | instskip(SKIP_1) | instid1(VALU_DEP_2)
	v_add_co_u32 v125, vcc_lo, s12, v125
	s_wait_alu 0xfffd
	v_add_co_ci_u32_e64 v126, null, s13, v126, vcc_lo
	global_load_b64 v[125:126], v[125:126], off
.LBB120_148:                            ;   in Loop: Header=BB120_145 Depth=1
	s_wait_alu 0xfffe
	s_or_b32 exec_lo, exec_lo, s8
	v_mov_b32_e32 v198, 0
	v_mov_b32_e32 v199, 0
	s_mov_b32 s8, exec_lo
	v_cmpx_gt_i64_e64 s[4:5], v[132:133]
	s_cbranch_execz .LBB120_150
; %bb.149:                              ;   in Loop: Header=BB120_145 Depth=1
	v_add_co_u32 v130, vcc_lo, v136, v128
	s_wait_alu 0xfffd
	v_add_co_ci_u32_e64 v131, null, v137, v129, vcc_lo
	v_add_co_u32 v134, vcc_lo, v138, v128
	s_wait_alu 0xfffd
	v_add_co_ci_u32_e64 v135, null, v139, v129, vcc_lo
	global_load_b64 v[146:147], v[130:131], off
	global_load_b64 v[198:199], v[134:135], off
.LBB120_150:                            ;   in Loop: Header=BB120_145 Depth=1
	s_wait_alu 0xfffe
	s_or_b32 exec_lo, exec_lo, s8
	v_add_co_u32 v130, vcc_lo, v132, 1
	s_wait_alu 0xfffd
	v_add_co_ci_u32_e64 v131, null, 0, v133, vcc_lo
	v_mov_b32_e32 v134, 0
	v_dual_mov_b32 v135, 0 :: v_dual_mov_b32 v200, 0
	s_delay_alu instid0(VALU_DEP_3)
	v_cmp_gt_i64_e32 vcc_lo, s[4:5], v[130:131]
	v_dual_mov_b32 v130, 0 :: v_dual_mov_b32 v201, 0
	v_mov_b32_e32 v131, 0
	s_clause 0x1
	scratch_store_b64 off, v[134:135], off offset:320
	scratch_store_b64 off, v[130:131], off offset:328
	s_and_saveexec_b32 s8, vcc_lo
	s_cbranch_execz .LBB120_152
; %bb.151:                              ;   in Loop: Header=BB120_145 Depth=1
	v_add_co_u32 v130, vcc_lo, v140, v128
	s_wait_alu 0xfffd
	v_add_co_ci_u32_e64 v131, null, v141, v129, vcc_lo
	v_add_co_u32 v134, vcc_lo, v142, v128
	s_wait_alu 0xfffd
	v_add_co_ci_u32_e64 v135, null, v143, v129, vcc_lo
	global_load_b64 v[200:201], v[130:131], off
	global_load_b64 v[130:131], v[134:135], off
	s_wait_loadcnt 0x0
	scratch_store_b64 off, v[130:131], off offset:328 ; 8-byte Folded Spill
.LBB120_152:                            ;   in Loop: Header=BB120_145 Depth=1
	s_wait_alu 0xfffe
	s_or_b32 exec_lo, exec_lo, s8
	v_add_co_u32 v130, vcc_lo, v132, 2
	s_wait_alu 0xfffd
	v_add_co_ci_u32_e64 v131, null, 0, v133, vcc_lo
	s_delay_alu instid0(VALU_DEP_1)
	v_cmp_gt_i64_e32 vcc_lo, s[4:5], v[130:131]
	v_mov_b32_e32 v130, 0
	v_mov_b32_e32 v131, 0
	scratch_store_b64 off, v[130:131], off offset:336 ; 8-byte Folded Spill
	s_and_saveexec_b32 s8, vcc_lo
	s_cbranch_execz .LBB120_154
; %bb.153:                              ;   in Loop: Header=BB120_145 Depth=1
	v_add_co_u32 v130, vcc_lo, v194, v128
	s_wait_alu 0xfffd
	v_add_co_ci_u32_e64 v131, null, v195, v129, vcc_lo
	v_add_co_u32 v134, vcc_lo, v196, v128
	s_wait_alu 0xfffd
	v_add_co_ci_u32_e64 v135, null, v197, v129, vcc_lo
	global_load_b64 v[130:131], v[130:131], off
	s_wait_loadcnt 0x0
	scratch_store_b64 off, v[130:131], off offset:320 ; 8-byte Folded Spill
	global_load_b64 v[130:131], v[134:135], off
	s_wait_loadcnt 0x0
	scratch_store_b64 off, v[130:131], off offset:336 ; 8-byte Folded Spill
.LBB120_154:                            ;   in Loop: Header=BB120_145 Depth=1
	s_wait_alu 0xfffe
	s_or_b32 exec_lo, exec_lo, s8
	v_add_co_u32 v130, vcc_lo, v132, 3
	s_wait_alu 0xfffd
	v_add_co_ci_u32_e64 v131, null, 0, v133, vcc_lo
	v_mov_b32_e32 v134, 0
	v_mov_b32_e32 v135, 0
	s_delay_alu instid0(VALU_DEP_3)
	v_cmp_gt_i64_e32 vcc_lo, s[4:5], v[130:131]
	v_mov_b32_e32 v130, 0
	v_mov_b32_e32 v131, 0
	scratch_store_b64 off, v[134:135], off offset:344 ; 8-byte Folded Spill
	v_mov_b32_e32 v134, 0
	v_mov_b32_e32 v135, 0
	s_clause 0x1
	scratch_store_b64 off, v[130:131], off offset:360
	scratch_store_b64 off, v[134:135], off offset:352
	s_and_saveexec_b32 s8, vcc_lo
	s_cbranch_execz .LBB120_156
; %bb.155:                              ;   in Loop: Header=BB120_145 Depth=1
	v_add_co_u32 v130, vcc_lo, v190, v128
	s_wait_alu 0xfffd
	v_add_co_ci_u32_e64 v131, null, v191, v129, vcc_lo
	v_add_co_u32 v134, vcc_lo, v192, v128
	s_wait_alu 0xfffd
	v_add_co_ci_u32_e64 v135, null, v193, v129, vcc_lo
	global_load_b64 v[130:131], v[130:131], off
	s_wait_loadcnt 0x0
	scratch_store_b64 off, v[130:131], off offset:352 ; 8-byte Folded Spill
	global_load_b64 v[130:131], v[134:135], off
	s_wait_loadcnt 0x0
	scratch_store_b64 off, v[130:131], off offset:360 ; 8-byte Folded Spill
.LBB120_156:                            ;   in Loop: Header=BB120_145 Depth=1
	s_wait_alu 0xfffe
	s_or_b32 exec_lo, exec_lo, s8
	v_add_co_u32 v130, vcc_lo, v132, 4
	s_wait_alu 0xfffd
	v_add_co_ci_u32_e64 v131, null, 0, v133, vcc_lo
	s_delay_alu instid0(VALU_DEP_1)
	v_cmp_gt_i64_e32 vcc_lo, s[4:5], v[130:131]
	v_mov_b32_e32 v130, 0
	v_mov_b32_e32 v131, 0
	scratch_store_b64 off, v[130:131], off offset:368 ; 8-byte Folded Spill
	s_and_saveexec_b32 s8, vcc_lo
	s_cbranch_execz .LBB120_158
; %bb.157:                              ;   in Loop: Header=BB120_145 Depth=1
	v_add_co_u32 v130, vcc_lo, v186, v128
	s_wait_alu 0xfffd
	v_add_co_ci_u32_e64 v131, null, v187, v129, vcc_lo
	v_add_co_u32 v134, vcc_lo, v188, v128
	s_wait_alu 0xfffd
	v_add_co_ci_u32_e64 v135, null, v189, v129, vcc_lo
	global_load_b64 v[130:131], v[130:131], off
	s_wait_loadcnt 0x0
	scratch_store_b64 off, v[130:131], off offset:344 ; 8-byte Folded Spill
	global_load_b64 v[130:131], v[134:135], off
	s_wait_loadcnt 0x0
	scratch_store_b64 off, v[130:131], off offset:368 ; 8-byte Folded Spill
.LBB120_158:                            ;   in Loop: Header=BB120_145 Depth=1
	s_wait_alu 0xfffe
	s_or_b32 exec_lo, exec_lo, s8
	v_add_co_u32 v130, vcc_lo, v132, 5
	s_wait_alu 0xfffd
	v_add_co_ci_u32_e64 v131, null, 0, v133, vcc_lo
	v_mov_b32_e32 v134, 0
	v_mov_b32_e32 v135, 0
	s_delay_alu instid0(VALU_DEP_3)
	v_cmp_gt_i64_e32 vcc_lo, s[4:5], v[130:131]
	v_mov_b32_e32 v130, 0
	v_mov_b32_e32 v131, 0
	scratch_store_b64 off, v[134:135], off offset:376 ; 8-byte Folded Spill
	v_mov_b32_e32 v134, 0
	v_mov_b32_e32 v135, 0
	s_clause 0x1
	scratch_store_b64 off, v[130:131], off offset:392
	scratch_store_b64 off, v[134:135], off offset:384
	s_and_saveexec_b32 s8, vcc_lo
	s_cbranch_execz .LBB120_160
; %bb.159:                              ;   in Loop: Header=BB120_145 Depth=1
	v_add_co_u32 v130, vcc_lo, v182, v128
	s_wait_alu 0xfffd
	v_add_co_ci_u32_e64 v131, null, v183, v129, vcc_lo
	v_add_co_u32 v134, vcc_lo, v184, v128
	s_wait_alu 0xfffd
	v_add_co_ci_u32_e64 v135, null, v185, v129, vcc_lo
	global_load_b64 v[130:131], v[130:131], off
	s_wait_loadcnt 0x0
	scratch_store_b64 off, v[130:131], off offset:384 ; 8-byte Folded Spill
	global_load_b64 v[130:131], v[134:135], off
	s_wait_loadcnt 0x0
	scratch_store_b64 off, v[130:131], off offset:392 ; 8-byte Folded Spill
.LBB120_160:                            ;   in Loop: Header=BB120_145 Depth=1
	;; [unrolled: 59-line block ×6, first 2 shown]
	s_wait_alu 0xfffe
	s_or_b32 exec_lo, exec_lo, s8
	v_add_co_u32 v130, vcc_lo, v132, 14
	s_wait_alu 0xfffd
	v_add_co_ci_u32_e64 v131, null, 0, v133, vcc_lo
	s_delay_alu instid0(VALU_DEP_1)
	v_cmp_gt_i64_e32 vcc_lo, s[4:5], v[130:131]
	v_mov_b32_e32 v130, 0
	v_mov_b32_e32 v131, 0
	scratch_store_b64 off, v[130:131], off offset:528 ; 8-byte Folded Spill
	s_and_saveexec_b32 s8, vcc_lo
	s_cbranch_execz .LBB120_178
; %bb.177:                              ;   in Loop: Header=BB120_145 Depth=1
	s_clause 0x3
	scratch_load_b32 v130, off, off offset:304
	scratch_load_b32 v131, off, off offset:308
	;; [unrolled: 1-line block ×4, first 2 shown]
	s_wait_loadcnt 0x3
	v_add_co_u32 v130, vcc_lo, v130, v128
	s_wait_loadcnt 0x2
	s_wait_alu 0xfffd
	v_add_co_ci_u32_e64 v131, null, v131, v129, vcc_lo
	s_wait_loadcnt 0x1
	v_add_co_u32 v134, vcc_lo, v134, v128
	s_wait_loadcnt 0x0
	s_wait_alu 0xfffd
	v_add_co_ci_u32_e64 v135, null, v135, v129, vcc_lo
	global_load_b64 v[130:131], v[130:131], off
	s_wait_loadcnt 0x0
	scratch_store_b64 off, v[130:131], off offset:504 ; 8-byte Folded Spill
	global_load_b64 v[130:131], v[134:135], off
	s_wait_loadcnt 0x0
	scratch_store_b64 off, v[130:131], off offset:528 ; 8-byte Folded Spill
.LBB120_178:                            ;   in Loop: Header=BB120_145 Depth=1
	s_wait_alu 0xfffe
	s_or_b32 exec_lo, exec_lo, s8
	v_add_co_u32 v130, vcc_lo, v132, 15
	s_wait_alu 0xfffd
	v_add_co_ci_u32_e64 v131, null, 0, v133, vcc_lo
	v_mov_b32_e32 v134, 0
	v_mov_b32_e32 v135, 0
	s_delay_alu instid0(VALU_DEP_3)
	v_cmp_gt_i64_e32 vcc_lo, s[4:5], v[130:131]
	v_mov_b32_e32 v130, 0
	v_mov_b32_e32 v131, 0
	scratch_store_b64 off, v[134:135], off offset:536 ; 8-byte Folded Spill
	v_mov_b32_e32 v134, 0
	v_mov_b32_e32 v135, 0
	s_clause 0x1
	scratch_store_b64 off, v[130:131], off offset:552
	scratch_store_b64 off, v[134:135], off offset:544
	s_and_saveexec_b32 s8, vcc_lo
	s_cbranch_execz .LBB120_180
; %bb.179:                              ;   in Loop: Header=BB120_145 Depth=1
	s_clause 0x3
	scratch_load_b32 v130, off, off offset:288
	scratch_load_b32 v131, off, off offset:292
	;; [unrolled: 1-line block ×4, first 2 shown]
	s_wait_loadcnt 0x3
	v_add_co_u32 v130, vcc_lo, v130, v128
	s_wait_loadcnt 0x2
	s_wait_alu 0xfffd
	v_add_co_ci_u32_e64 v131, null, v131, v129, vcc_lo
	s_wait_loadcnt 0x1
	v_add_co_u32 v134, vcc_lo, v134, v128
	s_wait_loadcnt 0x0
	s_wait_alu 0xfffd
	v_add_co_ci_u32_e64 v135, null, v135, v129, vcc_lo
	global_load_b64 v[130:131], v[130:131], off
	s_wait_loadcnt 0x0
	scratch_store_b64 off, v[130:131], off offset:544 ; 8-byte Folded Spill
	global_load_b64 v[130:131], v[134:135], off
	s_wait_loadcnt 0x0
	scratch_store_b64 off, v[130:131], off offset:552 ; 8-byte Folded Spill
.LBB120_180:                            ;   in Loop: Header=BB120_145 Depth=1
	s_wait_alu 0xfffe
	s_or_b32 exec_lo, exec_lo, s8
	v_add_co_u32 v130, vcc_lo, v132, 16
	s_wait_alu 0xfffd
	v_add_co_ci_u32_e64 v131, null, 0, v133, vcc_lo
	s_delay_alu instid0(VALU_DEP_1)
	v_cmp_gt_i64_e32 vcc_lo, s[4:5], v[130:131]
	v_mov_b32_e32 v130, 0
	v_mov_b32_e32 v131, 0
	scratch_store_b64 off, v[130:131], off offset:560 ; 8-byte Folded Spill
	s_and_saveexec_b32 s8, vcc_lo
	s_cbranch_execz .LBB120_182
; %bb.181:                              ;   in Loop: Header=BB120_145 Depth=1
	s_clause 0x3
	scratch_load_b32 v130, off, off offset:272
	scratch_load_b32 v131, off, off offset:276
	scratch_load_b32 v134, off, off offset:280
	scratch_load_b32 v135, off, off offset:284
	s_wait_loadcnt 0x3
	v_add_co_u32 v130, vcc_lo, v130, v128
	s_wait_loadcnt 0x2
	s_wait_alu 0xfffd
	v_add_co_ci_u32_e64 v131, null, v131, v129, vcc_lo
	s_wait_loadcnt 0x1
	v_add_co_u32 v134, vcc_lo, v134, v128
	s_wait_loadcnt 0x0
	s_wait_alu 0xfffd
	v_add_co_ci_u32_e64 v135, null, v135, v129, vcc_lo
	global_load_b64 v[130:131], v[130:131], off
	s_wait_loadcnt 0x0
	scratch_store_b64 off, v[130:131], off offset:536 ; 8-byte Folded Spill
	global_load_b64 v[130:131], v[134:135], off
	s_wait_loadcnt 0x0
	scratch_store_b64 off, v[130:131], off offset:560 ; 8-byte Folded Spill
.LBB120_182:                            ;   in Loop: Header=BB120_145 Depth=1
	s_wait_alu 0xfffe
	s_or_b32 exec_lo, exec_lo, s8
	v_add_co_u32 v130, vcc_lo, v132, 17
	v_mov_b32_e32 v134, 0
	v_dual_mov_b32 v135, 0 :: v_dual_mov_b32 v204, 0
	v_mov_b32_e32 v206, 0
	s_wait_alu 0xfffd
	v_add_co_ci_u32_e64 v131, null, 0, v133, vcc_lo
	v_mov_b32_e32 v205, 0
	v_mov_b32_e32 v207, 0
	s_mov_b32 s8, exec_lo
	scratch_store_b64 off, v[134:135], off offset:568 ; 8-byte Folded Spill
	v_cmpx_gt_i64_e64 s[4:5], v[130:131]
	s_cbranch_execz .LBB120_184
; %bb.183:                              ;   in Loop: Header=BB120_145 Depth=1
	s_clause 0x3
	scratch_load_b32 v130, off, off offset:256
	scratch_load_b32 v131, off, off offset:260
	;; [unrolled: 1-line block ×4, first 2 shown]
	s_wait_loadcnt 0x3
	v_add_co_u32 v130, vcc_lo, v130, v128
	s_wait_loadcnt 0x2
	s_wait_alu 0xfffd
	v_add_co_ci_u32_e64 v131, null, v131, v129, vcc_lo
	s_wait_loadcnt 0x1
	v_add_co_u32 v134, vcc_lo, v134, v128
	s_wait_loadcnt 0x0
	s_wait_alu 0xfffd
	v_add_co_ci_u32_e64 v135, null, v135, v129, vcc_lo
	global_load_b64 v[204:205], v[130:131], off
	global_load_b64 v[206:207], v[134:135], off
.LBB120_184:                            ;   in Loop: Header=BB120_145 Depth=1
	s_wait_alu 0xfffe
	s_or_b32 exec_lo, exec_lo, s8
	v_add_co_u32 v130, vcc_lo, v132, 18
	v_mov_b32_e32 v208, 0
	s_wait_alu 0xfffd
	v_add_co_ci_u32_e64 v131, null, 0, v133, vcc_lo
	v_mov_b32_e32 v209, 0
	s_mov_b32 s8, exec_lo
	s_delay_alu instid0(VALU_DEP_2)
	v_cmpx_gt_i64_e64 s[4:5], v[130:131]
	s_cbranch_execz .LBB120_186
; %bb.185:                              ;   in Loop: Header=BB120_145 Depth=1
	s_clause 0x3
	scratch_load_b32 v130, off, off offset:240
	scratch_load_b32 v131, off, off offset:244
	;; [unrolled: 1-line block ×4, first 2 shown]
	s_wait_loadcnt 0x3
	v_add_co_u32 v130, vcc_lo, v130, v128
	s_wait_loadcnt 0x2
	s_wait_alu 0xfffd
	v_add_co_ci_u32_e64 v131, null, v131, v129, vcc_lo
	s_wait_loadcnt 0x1
	v_add_co_u32 v134, vcc_lo, v134, v128
	s_wait_loadcnt 0x0
	s_wait_alu 0xfffd
	v_add_co_ci_u32_e64 v135, null, v135, v129, vcc_lo
	global_load_b64 v[130:131], v[130:131], off
	global_load_b64 v[208:209], v[134:135], off
	s_wait_loadcnt 0x1
	scratch_store_b64 off, v[130:131], off offset:568 ; 8-byte Folded Spill
.LBB120_186:                            ;   in Loop: Header=BB120_145 Depth=1
	s_wait_alu 0xfffe
	s_or_b32 exec_lo, exec_lo, s8
	v_add_co_u32 v130, vcc_lo, v132, 19
	v_mov_b32_e32 v210, 0
	v_dual_mov_b32 v211, 0 :: v_dual_mov_b32 v212, 0
	v_mov_b32_e32 v214, 0
	s_wait_alu 0xfffd
	v_add_co_ci_u32_e64 v131, null, 0, v133, vcc_lo
	v_mov_b32_e32 v213, 0
	v_mov_b32_e32 v215, 0
	s_mov_b32 s8, exec_lo
	s_delay_alu instid0(VALU_DEP_3)
	v_cmpx_gt_i64_e64 s[4:5], v[130:131]
	s_cbranch_execz .LBB120_188
; %bb.187:                              ;   in Loop: Header=BB120_145 Depth=1
	s_clause 0x3
	scratch_load_b32 v130, off, off offset:224
	scratch_load_b32 v131, off, off offset:228
	scratch_load_b32 v134, off, off offset:232
	scratch_load_b32 v135, off, off offset:236
	s_wait_loadcnt 0x3
	v_add_co_u32 v130, vcc_lo, v130, v128
	s_wait_loadcnt 0x2
	s_wait_alu 0xfffd
	v_add_co_ci_u32_e64 v131, null, v131, v129, vcc_lo
	s_wait_loadcnt 0x1
	v_add_co_u32 v134, vcc_lo, v134, v128
	s_wait_loadcnt 0x0
	s_wait_alu 0xfffd
	v_add_co_ci_u32_e64 v135, null, v135, v129, vcc_lo
	global_load_b64 v[212:213], v[130:131], off
	global_load_b64 v[214:215], v[134:135], off
.LBB120_188:                            ;   in Loop: Header=BB120_145 Depth=1
	s_wait_alu 0xfffe
	s_or_b32 exec_lo, exec_lo, s8
	v_add_co_u32 v130, vcc_lo, v132, 20
	v_mov_b32_e32 v216, 0
	s_wait_alu 0xfffd
	v_add_co_ci_u32_e64 v131, null, 0, v133, vcc_lo
	v_mov_b32_e32 v217, 0
	s_mov_b32 s8, exec_lo
	s_delay_alu instid0(VALU_DEP_2)
	v_cmpx_gt_i64_e64 s[4:5], v[130:131]
	s_cbranch_execz .LBB120_190
; %bb.189:                              ;   in Loop: Header=BB120_145 Depth=1
	s_clause 0x3
	scratch_load_b32 v130, off, off offset:208
	scratch_load_b32 v131, off, off offset:212
	scratch_load_b32 v134, off, off offset:216
	scratch_load_b32 v135, off, off offset:220
	s_wait_loadcnt 0x3
	v_add_co_u32 v130, vcc_lo, v130, v128
	s_wait_loadcnt 0x2
	s_wait_alu 0xfffd
	v_add_co_ci_u32_e64 v131, null, v131, v129, vcc_lo
	s_wait_loadcnt 0x1
	v_add_co_u32 v134, vcc_lo, v134, v128
	s_wait_loadcnt 0x0
	s_wait_alu 0xfffd
	v_add_co_ci_u32_e64 v135, null, v135, v129, vcc_lo
	global_load_b64 v[210:211], v[130:131], off
	global_load_b64 v[216:217], v[134:135], off
.LBB120_190:                            ;   in Loop: Header=BB120_145 Depth=1
	s_wait_alu 0xfffe
	s_or_b32 exec_lo, exec_lo, s8
	v_add_co_u32 v130, vcc_lo, v132, 21
	v_mov_b32_e32 v218, 0
	v_dual_mov_b32 v219, 0 :: v_dual_mov_b32 v220, 0
	v_mov_b32_e32 v222, 0
	s_wait_alu 0xfffd
	v_add_co_ci_u32_e64 v131, null, 0, v133, vcc_lo
	v_mov_b32_e32 v221, 0
	v_mov_b32_e32 v223, 0
	s_mov_b32 s8, exec_lo
	s_delay_alu instid0(VALU_DEP_3)
	v_cmpx_gt_i64_e64 s[4:5], v[130:131]
	s_cbranch_execz .LBB120_192
; %bb.191:                              ;   in Loop: Header=BB120_145 Depth=1
	s_clause 0x3
	scratch_load_b32 v130, off, off offset:192
	scratch_load_b32 v131, off, off offset:196
	scratch_load_b32 v134, off, off offset:200
	scratch_load_b32 v135, off, off offset:204
	s_wait_loadcnt 0x3
	v_add_co_u32 v130, vcc_lo, v130, v128
	s_wait_loadcnt 0x2
	s_wait_alu 0xfffd
	v_add_co_ci_u32_e64 v131, null, v131, v129, vcc_lo
	s_wait_loadcnt 0x1
	v_add_co_u32 v134, vcc_lo, v134, v128
	s_wait_loadcnt 0x0
	s_wait_alu 0xfffd
	v_add_co_ci_u32_e64 v135, null, v135, v129, vcc_lo
	global_load_b64 v[220:221], v[130:131], off
	global_load_b64 v[222:223], v[134:135], off
.LBB120_192:                            ;   in Loop: Header=BB120_145 Depth=1
	s_wait_alu 0xfffe
	s_or_b32 exec_lo, exec_lo, s8
	v_add_co_u32 v130, vcc_lo, v132, 22
	v_mov_b32_e32 v224, 0
	s_wait_alu 0xfffd
	v_add_co_ci_u32_e64 v131, null, 0, v133, vcc_lo
	v_mov_b32_e32 v225, 0
	s_mov_b32 s8, exec_lo
	s_delay_alu instid0(VALU_DEP_2)
	v_cmpx_gt_i64_e64 s[4:5], v[130:131]
	s_cbranch_execz .LBB120_194
; %bb.193:                              ;   in Loop: Header=BB120_145 Depth=1
	s_clause 0x3
	scratch_load_b32 v130, off, off offset:176
	scratch_load_b32 v131, off, off offset:180
	scratch_load_b32 v134, off, off offset:184
	scratch_load_b32 v135, off, off offset:188
	s_wait_loadcnt 0x3
	v_add_co_u32 v130, vcc_lo, v130, v128
	s_wait_loadcnt 0x2
	s_wait_alu 0xfffd
	v_add_co_ci_u32_e64 v131, null, v131, v129, vcc_lo
	s_wait_loadcnt 0x1
	v_add_co_u32 v134, vcc_lo, v134, v128
	s_wait_loadcnt 0x0
	s_wait_alu 0xfffd
	v_add_co_ci_u32_e64 v135, null, v135, v129, vcc_lo
	global_load_b64 v[218:219], v[130:131], off
	global_load_b64 v[224:225], v[134:135], off
.LBB120_194:                            ;   in Loop: Header=BB120_145 Depth=1
	;; [unrolled: 63-line block ×5, first 2 shown]
	s_wait_alu 0xfffe
	s_or_b32 exec_lo, exec_lo, s8
	v_add_co_u32 v130, vcc_lo, v132, 29
	v_mov_b32_e32 v250, 0
	v_dual_mov_b32 v251, 0 :: v_dual_mov_b32 v252, 0
	v_mov_b32_e32 v254, 0
	s_wait_alu 0xfffd
	v_add_co_ci_u32_e64 v131, null, 0, v133, vcc_lo
	v_mov_b32_e32 v253, 0
	v_mov_b32_e32 v255, 0
	s_mov_b32 s8, exec_lo
	s_delay_alu instid0(VALU_DEP_3)
	v_cmpx_gt_i64_e64 s[4:5], v[130:131]
	s_cbranch_execz .LBB120_208
; %bb.207:                              ;   in Loop: Header=BB120_145 Depth=1
	s_clause 0x3
	scratch_load_b32 v130, off, off offset:64
	scratch_load_b32 v131, off, off offset:68
	scratch_load_b32 v134, off, off offset:72
	scratch_load_b32 v135, off, off offset:76
	s_wait_loadcnt 0x3
	v_add_co_u32 v130, vcc_lo, v130, v128
	s_wait_loadcnt 0x2
	s_wait_alu 0xfffd
	v_add_co_ci_u32_e64 v131, null, v131, v129, vcc_lo
	s_wait_loadcnt 0x1
	v_add_co_u32 v134, vcc_lo, v134, v128
	s_wait_loadcnt 0x0
	s_wait_alu 0xfffd
	v_add_co_ci_u32_e64 v135, null, v135, v129, vcc_lo
	global_load_b64 v[252:253], v[130:131], off
	global_load_b64 v[254:255], v[134:135], off
.LBB120_208:                            ;   in Loop: Header=BB120_145 Depth=1
	s_wait_alu 0xfffe
	s_or_b32 exec_lo, exec_lo, s8
	v_add_co_u32 v130, vcc_lo, v132, 30
	s_wait_alu 0xfffd
	v_add_co_ci_u32_e64 v131, null, 0, v133, vcc_lo
	s_delay_alu instid0(VALU_DEP_1)
	v_cmp_gt_i64_e32 vcc_lo, s[4:5], v[130:131]
	v_mov_b32_e32 v130, 0
	v_mov_b32_e32 v131, 0
	s_and_saveexec_b32 s8, vcc_lo
	s_cbranch_execz .LBB120_210
; %bb.209:                              ;   in Loop: Header=BB120_145 Depth=1
	s_clause 0x3
	scratch_load_b32 v130, off, off offset:40
	scratch_load_b32 v131, off, off offset:48
	;; [unrolled: 1-line block ×4, first 2 shown]
	s_wait_loadcnt 0x3
	v_add_co_u32 v130, vcc_lo, v130, v128
	s_wait_loadcnt 0x2
	s_wait_alu 0xfffd
	v_add_co_ci_u32_e64 v131, null, v131, v129, vcc_lo
	s_wait_loadcnt 0x1
	v_add_co_u32 v134, vcc_lo, v134, v128
	s_wait_loadcnt 0x0
	s_wait_alu 0xfffd
	v_add_co_ci_u32_e64 v135, null, v135, v129, vcc_lo
	global_load_b64 v[250:251], v[130:131], off
	global_load_b64 v[130:131], v[134:135], off
.LBB120_210:                            ;   in Loop: Header=BB120_145 Depth=1
	s_wait_alu 0xfffe
	s_or_b32 exec_lo, exec_lo, s8
	v_add_co_u32 v134, vcc_lo, v132, 31
	s_wait_alu 0xfffd
	v_add_co_ci_u32_e64 v135, null, 0, v133, vcc_lo
	s_delay_alu instid0(VALU_DEP_1)
	v_cmp_gt_i64_e32 vcc_lo, s[4:5], v[134:135]
	v_mov_b32_e32 v134, 0
	v_mov_b32_e32 v135, 0
	s_and_saveexec_b32 s8, vcc_lo
	s_cbranch_execz .LBB120_212
; %bb.211:                              ;   in Loop: Header=BB120_145 Depth=1
	s_clause 0x2
	scratch_load_b32 v134, off, off offset:8
	scratch_load_b32 v135, off, off offset:16
	;; [unrolled: 1-line block ×3, first 2 shown]
	v_dual_mov_b32 v148, v151 :: v_dual_mov_b32 v173, v171
	v_dual_mov_b32 v171, v169 :: v_dual_mov_b32 v172, v170
	;; [unrolled: 1-line block ×5, first 2 shown]
	v_mov_b32_e32 v166, v201
	v_dual_mov_b32 v200, v163 :: v_dual_mov_b32 v163, v162
	v_dual_mov_b32 v162, v161 :: v_dual_mov_b32 v161, v160
	;; [unrolled: 1-line block ×6, first 2 shown]
	s_wait_loadcnt 0x4
	v_dual_mov_b32 v152, v147 :: v_dual_mov_b32 v151, v146
	s_wait_loadcnt 0x3
	v_dual_mov_b32 v146, v198 :: v_dual_mov_b32 v147, v199
	s_wait_loadcnt 0x2
	v_add_co_u32 v134, vcc_lo, v134, v128
	s_wait_loadcnt 0x1
	s_wait_alu 0xfffd
	v_add_co_ci_u32_e64 v135, null, v135, v129, vcc_lo
	s_wait_loadcnt 0x0
	v_add_co_u32 v198, vcc_lo, v145, v128
	scratch_load_b32 v145, off, off offset:32 ; 4-byte Folded Reload
	s_wait_loadcnt 0x0
	s_wait_alu 0xfffd
	v_add_co_ci_u32_e64 v199, null, v145, v129, vcc_lo
	global_load_b64 v[134:135], v[134:135], off
	global_load_b64 v[198:199], v[198:199], off
	s_wait_loadcnt 0x0
	v_mul_f64_e32 v[134:135], v[134:135], v[198:199]
	v_dual_mov_b32 v199, v147 :: v_dual_mov_b32 v198, v146
	v_dual_mov_b32 v146, v151 :: v_dual_mov_b32 v147, v152
	;; [unrolled: 1-line block ×13, first 2 shown]
	v_mov_b32_e32 v151, v148
.LBB120_212:                            ;   in Loop: Header=BB120_145 Depth=1
	s_wait_alu 0xfffe
	s_or_b32 exec_lo, exec_lo, s8
	s_wait_loadcnt 0x0
	v_mul_f64_e32 v[198:199], v[146:147], v[198:199]
	scratch_load_b64 v[145:146], off, off offset:328 th:TH_LOAD_LU ; 8-byte Folded Reload
	ds_bpermute_b32 v147, v127, v125
	ds_bpermute_b32 v148, v127, v126
	v_mul_f64_e32 v[130:131], v[250:251], v[130:131]
	s_mov_b32 s8, 0
	s_wait_dscnt 0x0
	v_fma_f64 v[147:148], v[198:199], v[147:148], v[149:150]
	ds_bpermute_b32 v198, v127, v125 offset:4
	ds_bpermute_b32 v199, v127, v126 offset:4
	s_wait_loadcnt 0x0
	v_mul_f64_e32 v[145:146], v[200:201], v[145:146]
	ds_bpermute_b32 v200, v127, v125 offset:64
	ds_bpermute_b32 v201, v127, v126 offset:64
	s_wait_dscnt 0x2
	v_fma_f64 v[145:146], v[145:146], v[198:199], v[147:148]
	s_clause 0x1
	scratch_load_b64 v[147:148], off, off offset:320 th:TH_LOAD_LU
	scratch_load_b64 v[198:199], off, off offset:336 th:TH_LOAD_LU
	s_wait_loadcnt 0x0
	v_mul_f64_e32 v[147:148], v[147:148], v[198:199]
	ds_bpermute_b32 v198, v127, v125 offset:8
	ds_bpermute_b32 v199, v127, v126 offset:8
	s_wait_dscnt 0x0
	v_fma_f64 v[145:146], v[147:148], v[198:199], v[145:146]
	s_clause 0x1
	scratch_load_b64 v[147:148], off, off offset:352 th:TH_LOAD_LU
	scratch_load_b64 v[198:199], off, off offset:360 th:TH_LOAD_LU
	s_wait_loadcnt 0x0
	v_mul_f64_e32 v[147:148], v[147:148], v[198:199]
	ds_bpermute_b32 v198, v127, v125 offset:12
	ds_bpermute_b32 v199, v127, v126 offset:12
	s_wait_dscnt 0x0
	v_fma_f64 v[145:146], v[147:148], v[198:199], v[145:146]
	s_clause 0x1
	scratch_load_b64 v[147:148], off, off offset:344 th:TH_LOAD_LU
	scratch_load_b64 v[198:199], off, off offset:368 th:TH_LOAD_LU
	s_wait_loadcnt 0x0
	v_mul_f64_e32 v[147:148], v[147:148], v[198:199]
	ds_bpermute_b32 v198, v127, v125 offset:16
	ds_bpermute_b32 v199, v127, v126 offset:16
	s_wait_dscnt 0x0
	v_fma_f64 v[145:146], v[147:148], v[198:199], v[145:146]
	s_clause 0x1
	scratch_load_b64 v[147:148], off, off offset:384 th:TH_LOAD_LU
	scratch_load_b64 v[198:199], off, off offset:392 th:TH_LOAD_LU
	s_wait_loadcnt 0x0
	v_mul_f64_e32 v[147:148], v[147:148], v[198:199]
	ds_bpermute_b32 v198, v127, v125 offset:20
	ds_bpermute_b32 v199, v127, v126 offset:20
	s_wait_dscnt 0x0
	v_fma_f64 v[145:146], v[147:148], v[198:199], v[145:146]
	s_clause 0x1
	scratch_load_b64 v[147:148], off, off offset:376 th:TH_LOAD_LU
	scratch_load_b64 v[198:199], off, off offset:400 th:TH_LOAD_LU
	s_wait_loadcnt 0x0
	v_mul_f64_e32 v[147:148], v[147:148], v[198:199]
	ds_bpermute_b32 v198, v127, v125 offset:24
	ds_bpermute_b32 v199, v127, v126 offset:24
	s_wait_dscnt 0x0
	v_fma_f64 v[145:146], v[147:148], v[198:199], v[145:146]
	s_clause 0x1
	scratch_load_b64 v[147:148], off, off offset:416 th:TH_LOAD_LU
	scratch_load_b64 v[198:199], off, off offset:424 th:TH_LOAD_LU
	s_wait_loadcnt 0x0
	v_mul_f64_e32 v[147:148], v[147:148], v[198:199]
	ds_bpermute_b32 v198, v127, v125 offset:28
	ds_bpermute_b32 v199, v127, v126 offset:28
	s_wait_dscnt 0x0
	v_fma_f64 v[145:146], v[147:148], v[198:199], v[145:146]
	s_clause 0x1
	scratch_load_b64 v[147:148], off, off offset:408 th:TH_LOAD_LU
	scratch_load_b64 v[198:199], off, off offset:432 th:TH_LOAD_LU
	s_wait_loadcnt 0x0
	v_mul_f64_e32 v[147:148], v[147:148], v[198:199]
	ds_bpermute_b32 v198, v127, v125 offset:32
	ds_bpermute_b32 v199, v127, v126 offset:32
	s_wait_dscnt 0x0
	v_fma_f64 v[145:146], v[147:148], v[198:199], v[145:146]
	s_clause 0x1
	scratch_load_b64 v[147:148], off, off offset:448 th:TH_LOAD_LU
	scratch_load_b64 v[198:199], off, off offset:456 th:TH_LOAD_LU
	s_wait_loadcnt 0x0
	v_mul_f64_e32 v[147:148], v[147:148], v[198:199]
	ds_bpermute_b32 v198, v127, v125 offset:36
	ds_bpermute_b32 v199, v127, v126 offset:36
	s_wait_dscnt 0x0
	v_fma_f64 v[145:146], v[147:148], v[198:199], v[145:146]
	s_clause 0x1
	scratch_load_b64 v[147:148], off, off offset:440 th:TH_LOAD_LU
	scratch_load_b64 v[198:199], off, off offset:464 th:TH_LOAD_LU
	s_wait_loadcnt 0x0
	v_mul_f64_e32 v[147:148], v[147:148], v[198:199]
	ds_bpermute_b32 v198, v127, v125 offset:40
	ds_bpermute_b32 v199, v127, v126 offset:40
	s_wait_dscnt 0x0
	v_fma_f64 v[145:146], v[147:148], v[198:199], v[145:146]
	s_clause 0x1
	scratch_load_b64 v[147:148], off, off offset:480 th:TH_LOAD_LU
	scratch_load_b64 v[198:199], off, off offset:488 th:TH_LOAD_LU
	s_wait_loadcnt 0x0
	v_mul_f64_e32 v[147:148], v[147:148], v[198:199]
	ds_bpermute_b32 v198, v127, v125 offset:44
	ds_bpermute_b32 v199, v127, v126 offset:44
	s_wait_dscnt 0x0
	v_fma_f64 v[145:146], v[147:148], v[198:199], v[145:146]
	s_clause 0x1
	scratch_load_b64 v[147:148], off, off offset:472 th:TH_LOAD_LU
	scratch_load_b64 v[198:199], off, off offset:496 th:TH_LOAD_LU
	s_wait_loadcnt 0x0
	v_mul_f64_e32 v[147:148], v[147:148], v[198:199]
	ds_bpermute_b32 v198, v127, v125 offset:48
	ds_bpermute_b32 v199, v127, v126 offset:48
	s_wait_dscnt 0x0
	v_fma_f64 v[145:146], v[147:148], v[198:199], v[145:146]
	s_clause 0x1
	scratch_load_b64 v[147:148], off, off offset:512 th:TH_LOAD_LU
	scratch_load_b64 v[198:199], off, off offset:520 th:TH_LOAD_LU
	s_wait_loadcnt 0x0
	v_mul_f64_e32 v[147:148], v[147:148], v[198:199]
	ds_bpermute_b32 v198, v127, v125 offset:52
	ds_bpermute_b32 v199, v127, v126 offset:52
	s_wait_dscnt 0x0
	v_fma_f64 v[145:146], v[147:148], v[198:199], v[145:146]
	s_clause 0x1
	scratch_load_b64 v[147:148], off, off offset:504 th:TH_LOAD_LU
	scratch_load_b64 v[198:199], off, off offset:528 th:TH_LOAD_LU
	s_wait_loadcnt 0x0
	v_mul_f64_e32 v[147:148], v[147:148], v[198:199]
	ds_bpermute_b32 v198, v127, v125 offset:56
	ds_bpermute_b32 v199, v127, v126 offset:56
	s_wait_dscnt 0x0
	v_fma_f64 v[145:146], v[147:148], v[198:199], v[145:146]
	s_clause 0x1
	scratch_load_b64 v[147:148], off, off offset:544 th:TH_LOAD_LU
	scratch_load_b64 v[198:199], off, off offset:552 th:TH_LOAD_LU
	s_wait_loadcnt 0x0
	v_mul_f64_e32 v[147:148], v[147:148], v[198:199]
	ds_bpermute_b32 v198, v127, v125 offset:60
	ds_bpermute_b32 v199, v127, v126 offset:60
	s_wait_dscnt 0x0
	v_fma_f64 v[145:146], v[147:148], v[198:199], v[145:146]
	s_clause 0x1
	scratch_load_b64 v[147:148], off, off offset:536 th:TH_LOAD_LU
	scratch_load_b64 v[198:199], off, off offset:560 th:TH_LOAD_LU
	s_wait_loadcnt 0x0
	v_mul_f64_e32 v[147:148], v[147:148], v[198:199]
	v_mul_f64_e32 v[198:199], v[204:205], v[206:207]
	s_delay_alu instid0(VALU_DEP_2)
	v_fma_f64 v[145:146], v[147:148], v[200:201], v[145:146]
	scratch_load_b64 v[200:201], off, off offset:568 th:TH_LOAD_LU ; 8-byte Folded Reload
	ds_bpermute_b32 v147, v127, v125 offset:68
	ds_bpermute_b32 v148, v127, v126 offset:68
	s_wait_dscnt 0x0
	v_fma_f64 v[145:146], v[198:199], v[147:148], v[145:146]
	ds_bpermute_b32 v147, v127, v125 offset:72
	ds_bpermute_b32 v148, v127, v126 offset:72
	v_mul_f64_e32 v[198:199], v[212:213], v[214:215]
	s_wait_loadcnt 0x0
	v_mul_f64_e32 v[200:201], v[200:201], v[208:209]
	s_wait_dscnt 0x0
	s_delay_alu instid0(VALU_DEP_1)
	v_fma_f64 v[145:146], v[200:201], v[147:148], v[145:146]
	ds_bpermute_b32 v147, v127, v125 offset:76
	ds_bpermute_b32 v148, v127, v126 offset:76
	v_mul_f64_e32 v[200:201], v[210:211], v[216:217]
	s_wait_dscnt 0x0
	v_fma_f64 v[145:146], v[198:199], v[147:148], v[145:146]
	ds_bpermute_b32 v147, v127, v125 offset:80
	ds_bpermute_b32 v148, v127, v126 offset:80
	v_mul_f64_e32 v[198:199], v[220:221], v[222:223]
	s_wait_dscnt 0x0
	;; [unrolled: 5-line block ×10, first 2 shown]
	v_fma_f64 v[145:146], v[200:201], v[147:148], v[145:146]
	ds_bpermute_b32 v147, v127, v125 offset:116
	ds_bpermute_b32 v148, v127, v126 offset:116
	s_wait_dscnt 0x0
	v_fma_f64 v[145:146], v[198:199], v[147:148], v[145:146]
	ds_bpermute_b32 v147, v127, v125 offset:120
	ds_bpermute_b32 v148, v127, v126 offset:120
	;; [unrolled: 1-line block ×4, first 2 shown]
	s_wait_dscnt 0x2
	v_fma_f64 v[130:131], v[130:131], v[147:148], v[145:146]
	s_wait_dscnt 0x0
	s_delay_alu instid0(VALU_DEP_1)
	v_fma_f64 v[125:126], v[134:135], v[125:126], v[130:131]
.LBB120_213:                            ;   in Loop: Header=BB120_145 Depth=1
	s_wait_alu 0xfffe
	s_and_b32 vcc_lo, exec_lo, s8
	s_wait_alu 0xfffe
	s_cbranch_vccz .LBB120_217
; %bb.214:                              ;   in Loop: Header=BB120_145 Depth=1
	s_load_b32 s8, s[16:17], 0x0
	s_wait_kmcnt 0x0
	s_cmp_lt_u32 ttmp9, s8
	s_cselect_b32 s8, 12, 18
	s_wait_alu 0xfffe
	s_add_nc_u64 s[24:25], s[16:17], s[8:9]
	s_load_u16 s8, s[24:25], 0x0
	s_clause 0x1
	scratch_load_b32 v125, off, off offset:576
	scratch_load_b32 v126, off, off offset:580
	s_wait_loadcnt 0x0
	s_wait_kmcnt 0x0
	v_mad_u32_u24 v125, v125, s8, v126
	s_mov_b32 s8, exec_lo
	s_delay_alu instid0(VALU_DEP_1) | instskip(NEXT) | instid1(VALU_DEP_1)
	v_and_b32_e32 v125, 31, v125
	v_add_co_u32 v130, vcc_lo, v132, v125
	v_mov_b32_e32 v125, 0
	s_wait_alu 0xfffd
	v_add_co_ci_u32_e64 v131, null, 0, v133, vcc_lo
	v_mov_b32_e32 v126, 0
	s_delay_alu instid0(VALU_DEP_2)
	v_cmpx_gt_i64_e64 s[4:5], v[130:131]
	s_cbranch_execz .LBB120_216
; %bb.215:                              ;   in Loop: Header=BB120_145 Depth=1
	v_lshlrev_b64_e32 v[125:126], 3, v[130:131]
	s_delay_alu instid0(VALU_DEP_1) | instskip(SKIP_1) | instid1(VALU_DEP_2)
	v_add_co_u32 v125, vcc_lo, s12, v125
	s_wait_alu 0xfffd
	v_add_co_ci_u32_e64 v126, null, s13, v126, vcc_lo
	global_load_b64 v[125:126], v[125:126], off
.LBB120_216:                            ;   in Loop: Header=BB120_145 Depth=1
	s_wait_alu 0xfffe
	s_or_b32 exec_lo, exec_lo, s8
	v_add_co_u32 v130, vcc_lo, v136, v128
	s_wait_alu 0xfffd
	v_add_co_ci_u32_e64 v131, null, v137, v129, vcc_lo
	v_add_co_u32 v132, vcc_lo, v138, v128
	s_wait_alu 0xfffd
	v_add_co_ci_u32_e64 v133, null, v139, v129, vcc_lo
	global_load_b64 v[130:131], v[130:131], off
	global_load_b64 v[132:133], v[132:133], off
	s_wait_loadcnt 0x0
	v_mul_f64_e32 v[130:131], v[130:131], v[132:133]
	ds_bpermute_b32 v132, v127, v125
	ds_bpermute_b32 v133, v127, v126
	s_wait_dscnt 0x0
	v_fma_f64 v[130:131], v[130:131], v[132:133], v[149:150]
	v_add_co_u32 v132, vcc_lo, v1, v128
	s_wait_alu 0xfffd
	v_add_co_ci_u32_e64 v133, null, v2, v129, vcc_lo
	v_add_co_u32 v134, vcc_lo, v9, v128
	s_wait_alu 0xfffd
	v_add_co_ci_u32_e64 v135, null, v10, v129, vcc_lo
	global_load_b64 v[132:133], v[132:133], off
	global_load_b64 v[134:135], v[134:135], off
	s_wait_loadcnt 0x0
	v_mul_f64_e32 v[132:133], v[132:133], v[134:135]
	ds_bpermute_b32 v134, v127, v125 offset:4
	ds_bpermute_b32 v135, v127, v126 offset:4
	s_wait_dscnt 0x0
	v_fma_f64 v[130:131], v[132:133], v[134:135], v[130:131]
	v_add_co_u32 v132, vcc_lo, v3, v128
	s_wait_alu 0xfffd
	v_add_co_ci_u32_e64 v133, null, v4, v129, vcc_lo
	v_add_co_u32 v134, vcc_lo, v13, v128
	s_wait_alu 0xfffd
	v_add_co_ci_u32_e64 v135, null, v14, v129, vcc_lo
	global_load_b64 v[132:133], v[132:133], off
	global_load_b64 v[134:135], v[134:135], off
	s_wait_loadcnt 0x0
	v_mul_f64_e32 v[132:133], v[132:133], v[134:135]
	ds_bpermute_b32 v134, v127, v125 offset:8
	ds_bpermute_b32 v135, v127, v126 offset:8
	;; [unrolled: 14-line block ×30, first 2 shown]
	ds_bpermute_b32 v125, v127, v125 offset:124
	ds_bpermute_b32 v126, v127, v126 offset:124
	s_wait_dscnt 0x2
	v_fma_f64 v[130:131], v[132:133], v[134:135], v[130:131]
	v_add_co_u32 v132, vcc_lo, v121, v128
	s_wait_alu 0xfffd
	v_add_co_ci_u32_e64 v133, null, v122, v129, vcc_lo
	v_add_co_u32 v134, vcc_lo, v123, v128
	s_wait_alu 0xfffd
	v_add_co_ci_u32_e64 v135, null, v124, v129, vcc_lo
	global_load_b64 v[132:133], v[132:133], off
	global_load_b64 v[134:135], v[134:135], off
	s_wait_loadcnt 0x0
	v_mul_f64_e32 v[132:133], v[132:133], v[134:135]
	s_wait_dscnt 0x0
	s_delay_alu instid0(VALU_DEP_1)
	v_fma_f64 v[125:126], v[132:133], v[125:126], v[130:131]
.LBB120_217:                            ;   in Loop: Header=BB120_145 Depth=1
	scratch_load_b32 v130, off, off         ; 4-byte Folded Reload
	v_add_co_u32 v136, vcc_lo, v136, s18
	s_wait_alu 0xfffd
	v_add_co_ci_u32_e64 v137, null, s19, v137, vcc_lo
	v_add_co_u32 v138, vcc_lo, v138, s18
	s_wait_alu 0xfffd
	v_add_co_ci_u32_e64 v139, null, s19, v139, vcc_lo
	;; [unrolled: 3-line block ×64, first 2 shown]
	s_add_nc_u64 s[22:23], s[22:23], s[10:11]
	s_add_nc_u64 s[20:21], s[20:21], s[10:11]
	s_wait_alu 0xfffe
	v_cmp_ge_i64_e64 s8, s[22:23], s[4:5]
	s_wait_loadcnt 0x0
	v_add_co_u32 v130, vcc_lo, v130, s10
	s_wait_alu 0xfffd
	v_add_co_ci_u32_e64 v144, null, 0, v144, vcc_lo
	scratch_store_b32 off, v130, off        ; 4-byte Folded Spill
	scratch_load_b32 v130, off, off offset:8 ; 4-byte Folded Reload
	s_wait_loadcnt 0x0
	v_add_co_u32 v130, vcc_lo, v130, s18
	scratch_store_b32 off, v130, off offset:8 ; 4-byte Folded Spill
	scratch_load_b32 v130, off, off offset:16 ; 4-byte Folded Reload
	s_wait_loadcnt 0x0
	s_wait_alu 0xfffd
	v_add_co_ci_u32_e64 v130, null, s19, v130, vcc_lo
	scratch_store_b32 off, v130, off offset:16 ; 4-byte Folded Spill
	scratch_load_b32 v130, off, off offset:24 ; 4-byte Folded Reload
	s_wait_loadcnt 0x0
	v_add_co_u32 v130, vcc_lo, v130, s18
	scratch_store_b32 off, v130, off offset:24 ; 4-byte Folded Spill
	scratch_load_b32 v130, off, off offset:32 ; 4-byte Folded Reload
	s_wait_loadcnt 0x0
	s_wait_alu 0xfffd
	v_add_co_ci_u32_e64 v130, null, s19, v130, vcc_lo
	scratch_store_b32 off, v130, off offset:32 ; 4-byte Folded Spill
	;; [unrolled: 9-line block ×35, first 2 shown]
	scratch_load_b32 v130, off, off offset:312 ; 4-byte Folded Reload
	s_wait_loadcnt 0x0
	v_add_co_u32 v130, vcc_lo, v130, s18
	scratch_store_b32 off, v130, off offset:312 ; 4-byte Folded Spill
	scratch_load_b32 v130, off, off offset:316 ; 4-byte Folded Reload
	s_wait_loadcnt 0x0
	s_wait_alu 0xfffd
	v_add_co_ci_u32_e64 v130, null, s19, v130, vcc_lo
	v_add_co_u32 v151, vcc_lo, v151, s18
	s_wait_alu 0xfffd
	v_add_co_ci_u32_e64 v152, null, s19, v152, vcc_lo
	v_add_co_u32 v153, vcc_lo, v153, s18
	;; [unrolled: 3-line block ×26, first 2 shown]
	s_wait_alu 0xfffd
	v_add_co_ci_u32_e64 v143, null, s19, v143, vcc_lo
	s_and_b32 vcc_lo, exec_lo, s8
	scratch_store_b32 off, v130, off offset:316 ; 4-byte Folded Spill
	s_wait_alu 0xfffe
	s_cbranch_vccnz .LBB120_219
; %bb.218:                              ;   in Loop: Header=BB120_145 Depth=1
	v_dual_mov_b32 v150, v126 :: v_dual_mov_b32 v149, v125
	s_branch .LBB120_145
.LBB120_219:
	scratch_load_b32 v0, off, off offset:584 ; 4-byte Folded Reload
.LBB120_220:
	s_mov_b32 s4, ttmp9
	s_mov_b32 s5, 0
	s_wait_alu 0xfffe
	s_lshl_b64 s[4:5], s[4:5], 6
	s_wait_kmcnt 0x0
	s_cmp_lg_u64 s[2:3], 0
	s_wait_loadcnt 0x0
	s_wait_alu 0xfffe
	v_and_or_b32 v1, 0x3ff, v0, s4
	v_mov_b32_e32 v2, s5
	s_cselect_b32 s4, -1, 0
	s_delay_alu instid0(VALU_DEP_1)
	v_cmp_gt_i64_e32 vcc_lo, s[6:7], v[1:2]
	s_wait_alu 0xfffe
	s_and_b32 s4, vcc_lo, s4
	s_wait_alu 0xfffe
	s_and_saveexec_b32 s5, s4
	s_cbranch_execz .LBB120_222
; %bb.221:
	s_load_u16 s0, s[0:1], 0x4e
	v_bfe_u32 v3, v0, 10, 10
	v_mov_b32_e32 v4, 0
	s_wait_kmcnt 0x0
	s_delay_alu instid0(VALU_DEP_1) | instskip(NEXT) | instid1(VALU_DEP_1)
	v_mad_co_u64_u32 v[3:4], null, s0, ttmp7, v[3:4]
	v_mul_lo_u32 v0, v4, s6
	s_delay_alu instid0(VALU_DEP_2) | instskip(SKIP_1) | instid1(VALU_DEP_1)
	v_mul_lo_u32 v5, v3, s7
	v_mad_co_u64_u32 v[3:4], null, v3, s6, 0
	v_add3_u32 v4, v4, v5, v0
	v_lshlrev_b64_e32 v[0:1], 3, v[1:2]
	s_delay_alu instid0(VALU_DEP_2) | instskip(NEXT) | instid1(VALU_DEP_1)
	v_lshlrev_b64_e32 v[3:4], 3, v[3:4]
	v_add_co_u32 v2, vcc_lo, s2, v3
	s_wait_alu 0xfffd
	s_delay_alu instid0(VALU_DEP_2) | instskip(NEXT) | instid1(VALU_DEP_2)
	v_add_co_ci_u32_e64 v3, null, s3, v4, vcc_lo
	v_add_co_u32 v0, vcc_lo, v2, v0
	s_wait_alu 0xfffd
	s_delay_alu instid0(VALU_DEP_2)
	v_add_co_ci_u32_e64 v1, null, v3, v1, vcc_lo
	global_store_b64 v[0:1], v[125:126], off
.LBB120_222:
	s_nop 0
	s_sendmsg sendmsg(MSG_DEALLOC_VGPRS)
	s_endpgm
	.section	.rodata,"a",@progbits
	.p2align	6, 0x0
	.amdhsa_kernel _ZN2at6native12_GLOBAL__N_135GammaBetaBackwardCUDAKernelTemplateIddLj64ELj1ELj32ELb1ELb0ELb1EEEvllPKT_S5_PKT0_S8_PS3_S9_
		.amdhsa_group_segment_fixed_size 0
		.amdhsa_private_segment_fixed_size 592
		.amdhsa_kernarg_size 320
		.amdhsa_user_sgpr_count 2
		.amdhsa_user_sgpr_dispatch_ptr 0
		.amdhsa_user_sgpr_queue_ptr 0
		.amdhsa_user_sgpr_kernarg_segment_ptr 1
		.amdhsa_user_sgpr_dispatch_id 0
		.amdhsa_user_sgpr_private_segment_size 0
		.amdhsa_wavefront_size32 1
		.amdhsa_uses_dynamic_stack 0
		.amdhsa_enable_private_segment 1
		.amdhsa_system_sgpr_workgroup_id_x 1
		.amdhsa_system_sgpr_workgroup_id_y 1
		.amdhsa_system_sgpr_workgroup_id_z 0
		.amdhsa_system_sgpr_workgroup_info 0
		.amdhsa_system_vgpr_workitem_id 1
		.amdhsa_next_free_vgpr 256
		.amdhsa_next_free_sgpr 32
		.amdhsa_reserve_vcc 1
		.amdhsa_float_round_mode_32 0
		.amdhsa_float_round_mode_16_64 0
		.amdhsa_float_denorm_mode_32 3
		.amdhsa_float_denorm_mode_16_64 3
		.amdhsa_fp16_overflow 0
		.amdhsa_workgroup_processor_mode 1
		.amdhsa_memory_ordered 1
		.amdhsa_forward_progress 1
		.amdhsa_inst_pref_size 255
		.amdhsa_round_robin_scheduling 0
		.amdhsa_exception_fp_ieee_invalid_op 0
		.amdhsa_exception_fp_denorm_src 0
		.amdhsa_exception_fp_ieee_div_zero 0
		.amdhsa_exception_fp_ieee_overflow 0
		.amdhsa_exception_fp_ieee_underflow 0
		.amdhsa_exception_fp_ieee_inexact 0
		.amdhsa_exception_int_div_zero 0
	.end_amdhsa_kernel
	.section	.text._ZN2at6native12_GLOBAL__N_135GammaBetaBackwardCUDAKernelTemplateIddLj64ELj1ELj32ELb1ELb0ELb1EEEvllPKT_S5_PKT0_S8_PS3_S9_,"axG",@progbits,_ZN2at6native12_GLOBAL__N_135GammaBetaBackwardCUDAKernelTemplateIddLj64ELj1ELj32ELb1ELb0ELb1EEEvllPKT_S5_PKT0_S8_PS3_S9_,comdat
.Lfunc_end120:
	.size	_ZN2at6native12_GLOBAL__N_135GammaBetaBackwardCUDAKernelTemplateIddLj64ELj1ELj32ELb1ELb0ELb1EEEvllPKT_S5_PKT0_S8_PS3_S9_, .Lfunc_end120-_ZN2at6native12_GLOBAL__N_135GammaBetaBackwardCUDAKernelTemplateIddLj64ELj1ELj32ELb1ELb0ELb1EEEvllPKT_S5_PKT0_S8_PS3_S9_
                                        ; -- End function
	.set _ZN2at6native12_GLOBAL__N_135GammaBetaBackwardCUDAKernelTemplateIddLj64ELj1ELj32ELb1ELb0ELb1EEEvllPKT_S5_PKT0_S8_PS3_S9_.num_vgpr, 256
	.set _ZN2at6native12_GLOBAL__N_135GammaBetaBackwardCUDAKernelTemplateIddLj64ELj1ELj32ELb1ELb0ELb1EEEvllPKT_S5_PKT0_S8_PS3_S9_.num_agpr, 0
	.set _ZN2at6native12_GLOBAL__N_135GammaBetaBackwardCUDAKernelTemplateIddLj64ELj1ELj32ELb1ELb0ELb1EEEvllPKT_S5_PKT0_S8_PS3_S9_.numbered_sgpr, 32
	.set _ZN2at6native12_GLOBAL__N_135GammaBetaBackwardCUDAKernelTemplateIddLj64ELj1ELj32ELb1ELb0ELb1EEEvllPKT_S5_PKT0_S8_PS3_S9_.num_named_barrier, 0
	.set _ZN2at6native12_GLOBAL__N_135GammaBetaBackwardCUDAKernelTemplateIddLj64ELj1ELj32ELb1ELb0ELb1EEEvllPKT_S5_PKT0_S8_PS3_S9_.private_seg_size, 592
	.set _ZN2at6native12_GLOBAL__N_135GammaBetaBackwardCUDAKernelTemplateIddLj64ELj1ELj32ELb1ELb0ELb1EEEvllPKT_S5_PKT0_S8_PS3_S9_.uses_vcc, 1
	.set _ZN2at6native12_GLOBAL__N_135GammaBetaBackwardCUDAKernelTemplateIddLj64ELj1ELj32ELb1ELb0ELb1EEEvllPKT_S5_PKT0_S8_PS3_S9_.uses_flat_scratch, 1
	.set _ZN2at6native12_GLOBAL__N_135GammaBetaBackwardCUDAKernelTemplateIddLj64ELj1ELj32ELb1ELb0ELb1EEEvllPKT_S5_PKT0_S8_PS3_S9_.has_dyn_sized_stack, 0
	.set _ZN2at6native12_GLOBAL__N_135GammaBetaBackwardCUDAKernelTemplateIddLj64ELj1ELj32ELb1ELb0ELb1EEEvllPKT_S5_PKT0_S8_PS3_S9_.has_recursion, 0
	.set _ZN2at6native12_GLOBAL__N_135GammaBetaBackwardCUDAKernelTemplateIddLj64ELj1ELj32ELb1ELb0ELb1EEEvllPKT_S5_PKT0_S8_PS3_S9_.has_indirect_call, 0
	.section	.AMDGPU.csdata,"",@progbits
; Kernel info:
; codeLenInByte = 38064
; TotalNumSgprs: 34
; NumVgprs: 256
; ScratchSize: 592
; MemoryBound: 1
; FloatMode: 240
; IeeeMode: 1
; LDSByteSize: 0 bytes/workgroup (compile time only)
; SGPRBlocks: 0
; VGPRBlocks: 31
; NumSGPRsForWavesPerEU: 34
; NumVGPRsForWavesPerEU: 256
; Occupancy: 5
; WaveLimiterHint : 0
; COMPUTE_PGM_RSRC2:SCRATCH_EN: 1
; COMPUTE_PGM_RSRC2:USER_SGPR: 2
; COMPUTE_PGM_RSRC2:TRAP_HANDLER: 0
; COMPUTE_PGM_RSRC2:TGID_X_EN: 1
; COMPUTE_PGM_RSRC2:TGID_Y_EN: 1
; COMPUTE_PGM_RSRC2:TGID_Z_EN: 0
; COMPUTE_PGM_RSRC2:TIDIG_COMP_CNT: 1
	.section	.text._ZN2at6native12_GLOBAL__N_135GammaBetaBackwardCUDAKernelTemplateIddLj64ELj1ELj8ELb1ELb1ELb1EEEvllPKT_S5_PKT0_S8_PS3_S9_,"axG",@progbits,_ZN2at6native12_GLOBAL__N_135GammaBetaBackwardCUDAKernelTemplateIddLj64ELj1ELj8ELb1ELb1ELb1EEEvllPKT_S5_PKT0_S8_PS3_S9_,comdat
	.globl	_ZN2at6native12_GLOBAL__N_135GammaBetaBackwardCUDAKernelTemplateIddLj64ELj1ELj8ELb1ELb1ELb1EEEvllPKT_S5_PKT0_S8_PS3_S9_ ; -- Begin function _ZN2at6native12_GLOBAL__N_135GammaBetaBackwardCUDAKernelTemplateIddLj64ELj1ELj8ELb1ELb1ELb1EEEvllPKT_S5_PKT0_S8_PS3_S9_
	.p2align	8
	.type	_ZN2at6native12_GLOBAL__N_135GammaBetaBackwardCUDAKernelTemplateIddLj64ELj1ELj8ELb1ELb1ELb1EEEvllPKT_S5_PKT0_S8_PS3_S9_,@function
_ZN2at6native12_GLOBAL__N_135GammaBetaBackwardCUDAKernelTemplateIddLj64ELj1ELj8ELb1ELb1ELb1EEEvllPKT_S5_PKT0_S8_PS3_S9_: ; @_ZN2at6native12_GLOBAL__N_135GammaBetaBackwardCUDAKernelTemplateIddLj64ELj1ELj8ELb1ELb1ELb1EEEvllPKT_S5_PKT0_S8_PS3_S9_
; %bb.0:
	s_clause 0x1
	s_load_b128 s[4:7], s[0:1], 0x0
	s_load_b64 s[12:13], s[0:1], 0x30
	s_lshl_b32 s14, ttmp7, 3
	s_mov_b32 s15, 0
	v_mov_b32_e32 v8, 0
	v_mov_b32_e32 v9, 0
	v_bfe_u32 v1, v0, 10, 10
	v_and_b32_e32 v0, 0x3ff, v0
	s_wait_kmcnt 0x0
	v_cmp_le_i64_e64 s2, s[4:5], s[14:15]
	s_and_b32 vcc_lo, exec_lo, s2
	s_cbranch_vccnz .LBB121_7
; %bb.1:
	s_load_b32 s2, s[0:1], 0x4c
	v_dual_mov_b32 v3, 0 :: v_dual_lshlrev_b32 v2, 3, v1
	s_clause 0x2
	s_load_b32 s3, s[0:1], 0x44
	s_load_b128 s[8:11], s[0:1], 0x10
	s_load_b64 s[18:19], s[0:1], 0x28
	s_mov_b32 s17, s15
	v_dual_mov_b32 v12, 8 :: v_dual_mov_b32 v13, 4
	v_add_co_u32 v4, s16, v2, s14
	s_delay_alu instid0(VALU_DEP_1) | instskip(SKIP_1) | instid1(VALU_DEP_3)
	v_add_co_ci_u32_e64 v5, null, 0, 0, s16
	v_lshl_or_b32 v2, ttmp9, 6, v0
	v_mul_lo_u32 v10, s7, v4
	v_mad_co_u64_u32 v[6:7], null, s6, v4, 0
	s_delay_alu instid0(VALU_DEP_4)
	v_mul_lo_u32 v11, s6, v5
	v_dual_mov_b32 v14, 12 :: v_dual_mov_b32 v15, 16
	v_dual_mov_b32 v16, 20 :: v_dual_mov_b32 v17, 24
	s_wait_kmcnt 0x0
	s_and_b32 s2, s2, 0xffff
	s_lshl_b32 s16, s3, 3
	v_mad_u32_u24 v8, v1, s2, v0
	s_delay_alu instid0(VALU_DEP_4)
	v_add3_u32 v7, v7, v11, v10
	s_wait_alu 0xfffe
	s_mul_u64 s[20:21], s[6:7], s[16:17]
	s_lshl_b64 s[22:23], s[6:7], 3
	s_lshl_b64 s[20:21], s[20:21], 3
	v_and_b32_e32 v20, 31, v8
	v_lshlrev_b64_e32 v[8:9], 3, v[2:3]
	v_lshlrev_b64_e32 v[6:7], 3, v[6:7]
	v_mov_b32_e32 v2, 28
	s_delay_alu instid0(VALU_DEP_4) | instskip(NEXT) | instid1(VALU_DEP_1)
	v_add_co_u32 v4, vcc_lo, v4, v20
	v_add_co_ci_u32_e64 v5, null, 0, v5, vcc_lo
	s_delay_alu instid0(VALU_DEP_4) | instskip(SKIP_2) | instid1(VALU_DEP_3)
	v_add_co_u32 v18, vcc_lo, v6, v8
	s_wait_alu 0xfffd
	v_add_co_ci_u32_e64 v19, null, v7, v9, vcc_lo
	v_lshlrev_b64_e32 v[10:11], 3, v[4:5]
	v_mov_b32_e32 v8, 0
	v_mov_b32_e32 v9, 0
	v_cmp_gt_u32_e64 s2, 8, v20
	s_delay_alu instid0(VALU_DEP_4)
	v_add_co_u32 v6, vcc_lo, s18, v10
	s_wait_alu 0xfffd
	v_add_co_ci_u32_e64 v7, null, s19, v11, vcc_lo
	s_lshl_b64 s[18:19], s[16:17], 3
	s_branch .LBB121_4
.LBB121_2:                              ;   in Loop: Header=BB121_4 Depth=1
	s_or_b32 exec_lo, exec_lo, s24
.LBB121_3:                              ;   in Loop: Header=BB121_4 Depth=1
	s_wait_alu 0xfffe
	s_or_b32 exec_lo, exec_lo, s3
	v_add_co_u32 v20, vcc_lo, s8, v18
	s_wait_alu 0xfffd
	v_add_co_ci_u32_e64 v21, null, s9, v19, vcc_lo
	v_add_co_u32 v22, vcc_lo, s10, v18
	s_wait_alu 0xfffd
	v_add_co_ci_u32_e64 v23, null, s11, v19, vcc_lo
	global_load_b64 v[24:25], v[20:21], off
	global_load_b64 v[26:27], v[22:23], off
	v_add_co_u32 v20, vcc_lo, v20, s22
	s_wait_alu 0xfffd
	v_add_co_ci_u32_e64 v21, null, s23, v21, vcc_lo
	v_add_co_u32 v22, vcc_lo, v22, s22
	s_wait_alu 0xfffd
	v_add_co_ci_u32_e64 v23, null, s23, v23, vcc_lo
	global_load_b64 v[28:29], v[20:21], off
	global_load_b64 v[30:31], v[22:23], off
	;; [unrolled: 8-line block ×8, first 2 shown]
	v_add_co_u32 v6, vcc_lo, v6, s18
	s_add_nc_u64 s[14:15], s[14:15], s[16:17]
	s_wait_alu 0xfffd
	v_add_co_ci_u32_e64 v7, null, s19, v7, vcc_lo
	v_add_co_u32 v4, vcc_lo, v4, s16
	s_wait_alu 0xfffe
	v_cmp_lt_i64_e64 s3, s[14:15], s[4:5]
	s_wait_alu 0xfffd
	v_add_co_ci_u32_e64 v5, null, 0, v5, vcc_lo
	v_add_co_u32 v18, vcc_lo, v18, s20
	s_wait_alu 0xfffd
	v_add_co_ci_u32_e64 v19, null, s21, v19, vcc_lo
	s_and_b32 vcc_lo, exec_lo, s3
	s_wait_loadcnt 0xe
	v_mul_f64_e32 v[24:25], v[24:25], v[26:27]
	ds_bpermute_b32 v26, v3, v10
	ds_bpermute_b32 v27, v3, v11
	s_wait_loadcnt 0xc
	v_mul_f64_e32 v[28:29], v[28:29], v[30:31]
	s_wait_dscnt 0x0
	v_fma_f64 v[8:9], v[24:25], v[26:27], v[8:9]
	ds_bpermute_b32 v24, v13, v10
	ds_bpermute_b32 v25, v13, v11
	s_wait_loadcnt 0xa
	v_mul_f64_e32 v[26:27], v[32:33], v[34:35]
	s_wait_dscnt 0x0
	v_fma_f64 v[8:9], v[28:29], v[24:25], v[8:9]
	ds_bpermute_b32 v24, v12, v10
	ds_bpermute_b32 v25, v12, v11
	s_wait_loadcnt 0x8
	v_mul_f64_e32 v[28:29], v[36:37], v[38:39]
	s_wait_loadcnt 0x0
	v_mul_f64_e32 v[20:21], v[20:21], v[22:23]
	s_wait_dscnt 0x0
	v_fma_f64 v[8:9], v[26:27], v[24:25], v[8:9]
	ds_bpermute_b32 v24, v14, v10
	ds_bpermute_b32 v25, v14, v11
	v_mul_f64_e32 v[26:27], v[40:41], v[42:43]
	s_wait_dscnt 0x0
	v_fma_f64 v[8:9], v[28:29], v[24:25], v[8:9]
	ds_bpermute_b32 v24, v15, v10
	ds_bpermute_b32 v25, v15, v11
	v_mul_f64_e32 v[28:29], v[44:45], v[46:47]
	s_wait_dscnt 0x0
	v_fma_f64 v[8:9], v[26:27], v[24:25], v[8:9]
	ds_bpermute_b32 v24, v16, v10
	ds_bpermute_b32 v25, v16, v11
	v_mul_f64_e32 v[26:27], v[48:49], v[50:51]
	s_wait_dscnt 0x0
	v_fma_f64 v[8:9], v[28:29], v[24:25], v[8:9]
	ds_bpermute_b32 v24, v17, v10
	ds_bpermute_b32 v25, v17, v11
	ds_bpermute_b32 v10, v2, v10
	ds_bpermute_b32 v11, v2, v11
	s_wait_dscnt 0x2
	v_fma_f64 v[8:9], v[26:27], v[24:25], v[8:9]
	s_wait_dscnt 0x0
	s_delay_alu instid0(VALU_DEP_1)
	v_fma_f64 v[8:9], v[20:21], v[10:11], v[8:9]
	s_wait_alu 0xfffe
	s_cbranch_vccz .LBB121_7
.LBB121_4:                              ; =>This Inner Loop Header: Depth=1
	v_mov_b32_e32 v10, 0
	v_mov_b32_e32 v11, 0
	s_and_saveexec_b32 s3, s2
	s_cbranch_execz .LBB121_3
; %bb.5:                                ;   in Loop: Header=BB121_4 Depth=1
	v_mov_b32_e32 v10, 0
	v_mov_b32_e32 v11, 0
	s_mov_b32 s24, exec_lo
	v_cmpx_gt_i64_e64 s[4:5], v[4:5]
	s_cbranch_execz .LBB121_2
; %bb.6:                                ;   in Loop: Header=BB121_4 Depth=1
	global_load_b64 v[10:11], v[6:7], off
	s_branch .LBB121_2
.LBB121_7:
	s_cmp_eq_u64 s[12:13], 0
	s_cbranch_scc1 .LBB121_9
; %bb.8:
	s_load_u16 s0, s[0:1], 0x4e
	v_mov_b32_e32 v2, 0
	s_mov_b32 s2, ttmp9
	s_mov_b32 s3, 0
	v_lshlrev_b32_e32 v0, 3, v0
	s_wait_kmcnt 0x0
	v_mad_co_u64_u32 v[1:2], null, s0, ttmp7, v[1:2]
	s_wait_alu 0xfffe
	s_lshl_b64 s[0:1], s[2:3], 9
	s_delay_alu instid0(VALU_DEP_1) | instskip(NEXT) | instid1(VALU_DEP_2)
	v_mul_lo_u32 v3, v2, s6
	v_mul_lo_u32 v4, v1, s7
	v_mad_co_u64_u32 v[1:2], null, v1, s6, 0
	s_delay_alu instid0(VALU_DEP_1) | instskip(NEXT) | instid1(VALU_DEP_1)
	v_add3_u32 v2, v2, v4, v3
	v_lshlrev_b64_e32 v[1:2], 3, v[1:2]
	s_delay_alu instid0(VALU_DEP_1) | instskip(SKIP_1) | instid1(VALU_DEP_2)
	v_add_co_u32 v1, vcc_lo, s12, v1
	s_wait_alu 0xfffd
	v_add_co_ci_u32_e64 v2, null, s13, v2, vcc_lo
	s_wait_alu 0xfffe
	s_delay_alu instid0(VALU_DEP_2) | instskip(SKIP_1) | instid1(VALU_DEP_2)
	v_add_co_u32 v1, vcc_lo, v1, s0
	s_wait_alu 0xfffd
	v_add_co_ci_u32_e64 v2, null, s1, v2, vcc_lo
	s_delay_alu instid0(VALU_DEP_2) | instskip(SKIP_1) | instid1(VALU_DEP_2)
	v_add_co_u32 v0, vcc_lo, v1, v0
	s_wait_alu 0xfffd
	v_add_co_ci_u32_e64 v1, null, 0, v2, vcc_lo
	global_store_b64 v[0:1], v[8:9], off
.LBB121_9:
	s_endpgm
	.section	.rodata,"a",@progbits
	.p2align	6, 0x0
	.amdhsa_kernel _ZN2at6native12_GLOBAL__N_135GammaBetaBackwardCUDAKernelTemplateIddLj64ELj1ELj8ELb1ELb1ELb1EEEvllPKT_S5_PKT0_S8_PS3_S9_
		.amdhsa_group_segment_fixed_size 0
		.amdhsa_private_segment_fixed_size 0
		.amdhsa_kernarg_size 320
		.amdhsa_user_sgpr_count 2
		.amdhsa_user_sgpr_dispatch_ptr 0
		.amdhsa_user_sgpr_queue_ptr 0
		.amdhsa_user_sgpr_kernarg_segment_ptr 1
		.amdhsa_user_sgpr_dispatch_id 0
		.amdhsa_user_sgpr_private_segment_size 0
		.amdhsa_wavefront_size32 1
		.amdhsa_uses_dynamic_stack 0
		.amdhsa_enable_private_segment 0
		.amdhsa_system_sgpr_workgroup_id_x 1
		.amdhsa_system_sgpr_workgroup_id_y 1
		.amdhsa_system_sgpr_workgroup_id_z 0
		.amdhsa_system_sgpr_workgroup_info 0
		.amdhsa_system_vgpr_workitem_id 1
		.amdhsa_next_free_vgpr 52
		.amdhsa_next_free_sgpr 25
		.amdhsa_reserve_vcc 1
		.amdhsa_float_round_mode_32 0
		.amdhsa_float_round_mode_16_64 0
		.amdhsa_float_denorm_mode_32 3
		.amdhsa_float_denorm_mode_16_64 3
		.amdhsa_fp16_overflow 0
		.amdhsa_workgroup_processor_mode 1
		.amdhsa_memory_ordered 1
		.amdhsa_forward_progress 1
		.amdhsa_inst_pref_size 12
		.amdhsa_round_robin_scheduling 0
		.amdhsa_exception_fp_ieee_invalid_op 0
		.amdhsa_exception_fp_denorm_src 0
		.amdhsa_exception_fp_ieee_div_zero 0
		.amdhsa_exception_fp_ieee_overflow 0
		.amdhsa_exception_fp_ieee_underflow 0
		.amdhsa_exception_fp_ieee_inexact 0
		.amdhsa_exception_int_div_zero 0
	.end_amdhsa_kernel
	.section	.text._ZN2at6native12_GLOBAL__N_135GammaBetaBackwardCUDAKernelTemplateIddLj64ELj1ELj8ELb1ELb1ELb1EEEvllPKT_S5_PKT0_S8_PS3_S9_,"axG",@progbits,_ZN2at6native12_GLOBAL__N_135GammaBetaBackwardCUDAKernelTemplateIddLj64ELj1ELj8ELb1ELb1ELb1EEEvllPKT_S5_PKT0_S8_PS3_S9_,comdat
.Lfunc_end121:
	.size	_ZN2at6native12_GLOBAL__N_135GammaBetaBackwardCUDAKernelTemplateIddLj64ELj1ELj8ELb1ELb1ELb1EEEvllPKT_S5_PKT0_S8_PS3_S9_, .Lfunc_end121-_ZN2at6native12_GLOBAL__N_135GammaBetaBackwardCUDAKernelTemplateIddLj64ELj1ELj8ELb1ELb1ELb1EEEvllPKT_S5_PKT0_S8_PS3_S9_
                                        ; -- End function
	.set _ZN2at6native12_GLOBAL__N_135GammaBetaBackwardCUDAKernelTemplateIddLj64ELj1ELj8ELb1ELb1ELb1EEEvllPKT_S5_PKT0_S8_PS3_S9_.num_vgpr, 52
	.set _ZN2at6native12_GLOBAL__N_135GammaBetaBackwardCUDAKernelTemplateIddLj64ELj1ELj8ELb1ELb1ELb1EEEvllPKT_S5_PKT0_S8_PS3_S9_.num_agpr, 0
	.set _ZN2at6native12_GLOBAL__N_135GammaBetaBackwardCUDAKernelTemplateIddLj64ELj1ELj8ELb1ELb1ELb1EEEvllPKT_S5_PKT0_S8_PS3_S9_.numbered_sgpr, 25
	.set _ZN2at6native12_GLOBAL__N_135GammaBetaBackwardCUDAKernelTemplateIddLj64ELj1ELj8ELb1ELb1ELb1EEEvllPKT_S5_PKT0_S8_PS3_S9_.num_named_barrier, 0
	.set _ZN2at6native12_GLOBAL__N_135GammaBetaBackwardCUDAKernelTemplateIddLj64ELj1ELj8ELb1ELb1ELb1EEEvllPKT_S5_PKT0_S8_PS3_S9_.private_seg_size, 0
	.set _ZN2at6native12_GLOBAL__N_135GammaBetaBackwardCUDAKernelTemplateIddLj64ELj1ELj8ELb1ELb1ELb1EEEvllPKT_S5_PKT0_S8_PS3_S9_.uses_vcc, 1
	.set _ZN2at6native12_GLOBAL__N_135GammaBetaBackwardCUDAKernelTemplateIddLj64ELj1ELj8ELb1ELb1ELb1EEEvllPKT_S5_PKT0_S8_PS3_S9_.uses_flat_scratch, 0
	.set _ZN2at6native12_GLOBAL__N_135GammaBetaBackwardCUDAKernelTemplateIddLj64ELj1ELj8ELb1ELb1ELb1EEEvllPKT_S5_PKT0_S8_PS3_S9_.has_dyn_sized_stack, 0
	.set _ZN2at6native12_GLOBAL__N_135GammaBetaBackwardCUDAKernelTemplateIddLj64ELj1ELj8ELb1ELb1ELb1EEEvllPKT_S5_PKT0_S8_PS3_S9_.has_recursion, 0
	.set _ZN2at6native12_GLOBAL__N_135GammaBetaBackwardCUDAKernelTemplateIddLj64ELj1ELj8ELb1ELb1ELb1EEEvllPKT_S5_PKT0_S8_PS3_S9_.has_indirect_call, 0
	.section	.AMDGPU.csdata,"",@progbits
; Kernel info:
; codeLenInByte = 1500
; TotalNumSgprs: 27
; NumVgprs: 52
; ScratchSize: 0
; MemoryBound: 0
; FloatMode: 240
; IeeeMode: 1
; LDSByteSize: 0 bytes/workgroup (compile time only)
; SGPRBlocks: 0
; VGPRBlocks: 6
; NumSGPRsForWavesPerEU: 27
; NumVGPRsForWavesPerEU: 52
; Occupancy: 16
; WaveLimiterHint : 0
; COMPUTE_PGM_RSRC2:SCRATCH_EN: 0
; COMPUTE_PGM_RSRC2:USER_SGPR: 2
; COMPUTE_PGM_RSRC2:TRAP_HANDLER: 0
; COMPUTE_PGM_RSRC2:TGID_X_EN: 1
; COMPUTE_PGM_RSRC2:TGID_Y_EN: 1
; COMPUTE_PGM_RSRC2:TGID_Z_EN: 0
; COMPUTE_PGM_RSRC2:TIDIG_COMP_CNT: 1
	.section	.text._ZN2at6native12_GLOBAL__N_135GammaBetaBackwardCUDAKernelTemplateIddLj64ELj1ELj8ELb1ELb0ELb1EEEvllPKT_S5_PKT0_S8_PS3_S9_,"axG",@progbits,_ZN2at6native12_GLOBAL__N_135GammaBetaBackwardCUDAKernelTemplateIddLj64ELj1ELj8ELb1ELb0ELb1EEEvllPKT_S5_PKT0_S8_PS3_S9_,comdat
	.globl	_ZN2at6native12_GLOBAL__N_135GammaBetaBackwardCUDAKernelTemplateIddLj64ELj1ELj8ELb1ELb0ELb1EEEvllPKT_S5_PKT0_S8_PS3_S9_ ; -- Begin function _ZN2at6native12_GLOBAL__N_135GammaBetaBackwardCUDAKernelTemplateIddLj64ELj1ELj8ELb1ELb0ELb1EEEvllPKT_S5_PKT0_S8_PS3_S9_
	.p2align	8
	.type	_ZN2at6native12_GLOBAL__N_135GammaBetaBackwardCUDAKernelTemplateIddLj64ELj1ELj8ELb1ELb0ELb1EEEvllPKT_S5_PKT0_S8_PS3_S9_,@function
_ZN2at6native12_GLOBAL__N_135GammaBetaBackwardCUDAKernelTemplateIddLj64ELj1ELj8ELb1ELb0ELb1EEEvllPKT_S5_PKT0_S8_PS3_S9_: ; @_ZN2at6native12_GLOBAL__N_135GammaBetaBackwardCUDAKernelTemplateIddLj64ELj1ELj8ELb1ELb0ELb1EEEvllPKT_S5_PKT0_S8_PS3_S9_
; %bb.0:
	s_clause 0x1
	s_load_b256 s[4:11], s[0:1], 0x0
	s_load_b64 s[12:13], s[0:1], 0x28
	s_lshl_b32 s28, ttmp9, 6
	s_mov_b32 s15, 0
	s_or_b32 s14, s28, 63
	s_wait_kmcnt 0x0
	v_cmp_le_i64_e64 s2, s[6:7], s[14:15]
	s_lshl_b32 s14, ttmp7, 3
	s_wait_alu 0xfffe
	v_cmp_gt_i64_e64 s29, s[4:5], s[14:15]
	s_and_b32 vcc_lo, exec_lo, s2
	v_cndmask_b32_e64 v1, 0, 1, s29
	s_delay_alu instid0(VALU_DEP_1)
	v_cmp_ne_u32_e64 s2, 1, v1
	s_cbranch_vccz .LBB122_48
; %bb.1:
	v_mov_b32_e32 v36, 0
	v_mov_b32_e32 v37, 0
	s_and_b32 vcc_lo, exec_lo, s2
	s_cbranch_vccnz .LBB122_49
; %bb.2:
	v_bfe_u32 v44, v0, 10, 10
	v_dual_mov_b32 v1, 0 :: v_dual_and_b32 v46, 0x3ff, v0
	s_load_b32 s3, s[0:1], 0x44
	s_mov_b32 s17, 0
	s_delay_alu instid0(VALU_DEP_2) | instskip(NEXT) | instid1(VALU_DEP_2)
	v_dual_mov_b32 v36, 0 :: v_dual_lshlrev_b32 v45, 3, v44
	v_dual_mov_b32 v5, v1 :: v_dual_add_nc_u32 v4, s28, v46
	s_mov_b32 s21, s17
	s_delay_alu instid0(VALU_DEP_2) | instskip(NEXT) | instid1(VALU_DEP_1)
	v_add_co_u32 v10, s2, v45, s14
	v_add_co_ci_u32_e64 v11, null, 0, 0, s2
	s_delay_alu instid0(VALU_DEP_3) | instskip(NEXT) | instid1(VALU_DEP_3)
	v_cmp_gt_i64_e64 s2, s[6:7], v[4:5]
	v_mul_lo_u32 v6, s7, v10
	v_mad_co_u64_u32 v[2:3], null, s6, v10, 0
	s_delay_alu instid0(VALU_DEP_4)
	v_mul_lo_u32 v7, s6, v11
	v_lshlrev_b64_e32 v[34:35], 3, v[4:5]
	v_mov_b32_e32 v47, v1
	v_mov_b32_e32 v37, 0
	s_add_nc_u64 s[18:19], s[0:1], 64
	s_wait_kmcnt 0x0
	s_lshl_b32 s20, s3, 3
	s_mov_b64 s[24:25], 7
	s_mul_u64 s[22:23], s[6:7], s[20:21]
	v_add3_u32 v3, v3, v7, v6
	v_add_co_u32 v6, vcc_lo, v10, 7
	s_delay_alu instid0(VALU_DEP_1)
	v_add_co_ci_u32_e64 v7, null, 0, v11, vcc_lo
	v_add_co_u32 v8, vcc_lo, v10, 6
	s_wait_alu 0xfffd
	v_add_co_ci_u32_e64 v9, null, 0, v11, vcc_lo
	v_lshlrev_b64_e32 v[4:5], 3, v[2:3]
	v_mul_lo_u32 v12, s7, v6
	v_mul_lo_u32 v13, s6, v7
	v_mad_co_u64_u32 v[6:7], null, s6, v6, 0
	v_mul_lo_u32 v14, s7, v8
	v_mul_lo_u32 v15, s6, v9
	v_mad_co_u64_u32 v[8:9], null, s6, v8, 0
	v_add_co_u32 v48, vcc_lo, s8, v4
	s_wait_alu 0xfffd
	v_add_co_ci_u32_e64 v49, null, s9, v5, vcc_lo
	v_add_co_u32 v50, vcc_lo, s10, v4
	v_add3_u32 v7, v7, v13, v12
	s_wait_alu 0xfffd
	v_add_co_ci_u32_e64 v51, null, s11, v5, vcc_lo
	v_add_co_u32 v12, vcc_lo, v10, 5
	v_add3_u32 v9, v9, v15, v14
	s_wait_alu 0xfffd
	v_add_co_ci_u32_e64 v13, null, 0, v11, vcc_lo
	v_lshlrev_b64_e32 v[4:5], 3, v[6:7]
	v_mul_lo_u32 v14, s7, v12
	v_lshlrev_b64_e32 v[6:7], 3, v[8:9]
	s_delay_alu instid0(VALU_DEP_4)
	v_mul_lo_u32 v13, s6, v13
	v_mad_co_u64_u32 v[8:9], null, s6, v12, 0
	v_add_co_u32 v52, vcc_lo, s8, v4
	s_wait_alu 0xfffd
	v_add_co_ci_u32_e64 v53, null, s9, v5, vcc_lo
	v_add_co_u32 v54, vcc_lo, s10, v4
	s_wait_alu 0xfffd
	v_add_co_ci_u32_e64 v55, null, s11, v5, vcc_lo
	v_add_co_u32 v56, vcc_lo, s8, v6
	v_add3_u32 v9, v9, v13, v14
	s_wait_alu 0xfffd
	v_add_co_ci_u32_e64 v57, null, s9, v7, vcc_lo
	v_add_co_u32 v12, vcc_lo, v10, 4
	v_add_co_u32 v58, s3, s10, v6
	s_wait_alu 0xfffd
	v_add_co_ci_u32_e64 v6, null, 0, v11, vcc_lo
	v_lshlrev_b64_e32 v[4:5], 3, v[8:9]
	v_add_co_u32 v8, vcc_lo, v10, 3
	s_wait_alu 0xfffd
	v_add_co_ci_u32_e64 v9, null, 0, v11, vcc_lo
	s_wait_alu 0xf1ff
	v_add_co_ci_u32_e64 v59, null, s11, v7, s3
	v_mul_lo_u32 v13, s7, v12
	v_mul_lo_u32 v14, s6, v6
	v_mad_co_u64_u32 v[6:7], null, s6, v12, 0
	v_mul_lo_u32 v12, s7, v8
	v_mul_lo_u32 v15, s6, v9
	v_mad_co_u64_u32 v[8:9], null, s6, v8, 0
	v_add_co_u32 v60, vcc_lo, s8, v4
	s_wait_alu 0xfffd
	v_add_co_ci_u32_e64 v61, null, s9, v5, vcc_lo
	v_add3_u32 v7, v7, v14, v13
	v_add_co_u32 v62, vcc_lo, s10, v4
	s_wait_alu 0xfffd
	v_add_co_ci_u32_e64 v63, null, s11, v5, vcc_lo
	v_add_co_u32 v10, vcc_lo, v10, 2
	v_add3_u32 v9, v9, v15, v12
	s_wait_alu 0xfffd
	v_add_co_ci_u32_e64 v11, null, 0, v11, vcc_lo
	v_lshlrev_b64_e32 v[4:5], 3, v[6:7]
	v_mul_lo_u32 v12, s7, v10
	v_lshlrev_b64_e32 v[6:7], 3, v[8:9]
	s_delay_alu instid0(VALU_DEP_4)
	v_mul_lo_u32 v11, s6, v11
	v_mad_co_u64_u32 v[8:9], null, s6, v10, 0
	v_add_co_u32 v64, vcc_lo, s8, v4
	s_wait_alu 0xfffd
	v_add_co_ci_u32_e64 v65, null, s9, v5, vcc_lo
	v_add_co_u32 v66, vcc_lo, s10, v4
	s_wait_alu 0xfffd
	v_add_co_ci_u32_e64 v67, null, s11, v5, vcc_lo
	;; [unrolled: 3-line block ×3, first 2 shown]
	v_add3_u32 v9, v9, v11, v12
	v_add_co_u32 v70, vcc_lo, s10, v6
	s_wait_alu 0xfffd
	v_add_co_ci_u32_e64 v71, null, s11, v7, vcc_lo
	v_add_co_u32 v2, vcc_lo, v2, s6
	s_wait_alu 0xfffd
	v_add_co_ci_u32_e64 v3, null, s7, v3, vcc_lo
	v_lshlrev_b64_e32 v[4:5], 3, v[8:9]
	s_lshl_b64 s[22:23], s[22:23], 3
	s_mov_b64 s[26:27], s[14:15]
	s_delay_alu instid0(VALU_DEP_2) | instskip(NEXT) | instid1(VALU_DEP_2)
	v_lshlrev_b64_e32 v[2:3], 3, v[2:3]
	v_add_co_u32 v72, vcc_lo, s8, v4
	s_wait_alu 0xfffd
	v_add_co_ci_u32_e64 v73, null, s9, v5, vcc_lo
	v_add_co_u32 v74, vcc_lo, s10, v4
	s_wait_alu 0xfffd
	v_add_co_ci_u32_e64 v75, null, s11, v5, vcc_lo
	;; [unrolled: 3-line block ×4, first 2 shown]
	s_branch .LBB122_5
.LBB122_3:                              ;   in Loop: Header=BB122_5 Depth=1
	s_wait_alu 0xfffe
	s_or_b32 exec_lo, exec_lo, s3
	s_wait_loadcnt 0x0
	v_mul_f64_e32 v[2:3], v[18:19], v[2:3]
	ds_bpermute_b32 v18, v1, v40
	ds_bpermute_b32 v19, v1, v41
	v_mul_f64_e32 v[4:5], v[20:21], v[4:5]
	v_mul_f64_e32 v[6:7], v[22:23], v[6:7]
	;; [unrolled: 1-line block ×3, first 2 shown]
	s_wait_dscnt 0x0
	v_fma_f64 v[2:3], v[2:3], v[18:19], v[36:37]
	ds_bpermute_b32 v18, v1, v40 offset:4
	ds_bpermute_b32 v19, v1, v41 offset:4
	s_wait_dscnt 0x0
	v_fma_f64 v[2:3], v[4:5], v[18:19], v[2:3]
	ds_bpermute_b32 v4, v1, v40 offset:8
	ds_bpermute_b32 v5, v1, v41 offset:8
	s_wait_dscnt 0x0
	v_fma_f64 v[2:3], v[6:7], v[4:5], v[2:3]
	ds_bpermute_b32 v4, v1, v40 offset:12
	ds_bpermute_b32 v5, v1, v41 offset:12
	v_mul_f64_e32 v[6:7], v[26:27], v[10:11]
	s_wait_dscnt 0x0
	v_fma_f64 v[2:3], v[8:9], v[4:5], v[2:3]
	ds_bpermute_b32 v4, v1, v40 offset:16
	ds_bpermute_b32 v5, v1, v41 offset:16
	v_mul_f64_e32 v[8:9], v[28:29], v[12:13]
	s_wait_dscnt 0x0
	v_fma_f64 v[2:3], v[6:7], v[4:5], v[2:3]
	ds_bpermute_b32 v4, v1, v40 offset:20
	ds_bpermute_b32 v5, v1, v41 offset:20
	;; [unrolled: 1-line block ×4, first 2 shown]
	s_wait_dscnt 0x2
	v_fma_f64 v[2:3], v[8:9], v[4:5], v[2:3]
	v_mul_f64_e32 v[4:5], v[30:31], v[14:15]
	s_wait_dscnt 0x0
	s_delay_alu instid0(VALU_DEP_1)
	v_fma_f64 v[42:43], v[4:5], v[6:7], v[2:3]
	ds_bpermute_b32 v2, v1, v40 offset:28
	ds_bpermute_b32 v3, v1, v41 offset:28
.LBB122_4:                              ;   in Loop: Header=BB122_5 Depth=1
	v_mul_f64_e32 v[4:5], v[16:17], v[32:33]
	v_add_co_u32 v48, vcc_lo, v48, s22
	s_wait_alu 0xfffd
	v_add_co_ci_u32_e64 v49, null, s23, v49, vcc_lo
	v_add_co_u32 v50, vcc_lo, v50, s22
	s_wait_alu 0xfffd
	v_add_co_ci_u32_e64 v51, null, s23, v51, vcc_lo
	;; [unrolled: 3-line block ×9, first 2 shown]
	v_add_co_u32 v66, vcc_lo, v66, s22
	s_wait_dscnt 0x0
	v_fma_f64 v[36:37], v[4:5], v[2:3], v[42:43]
	s_wait_alu 0xfffd
	v_add_co_ci_u32_e64 v67, null, s23, v67, vcc_lo
	v_add_co_u32 v68, vcc_lo, v68, s22
	s_wait_alu 0xfffd
	v_add_co_ci_u32_e64 v69, null, s23, v69, vcc_lo
	v_add_co_u32 v70, vcc_lo, v70, s22
	;; [unrolled: 3-line block ×5, first 2 shown]
	s_add_nc_u64 s[26:27], s[26:27], s[20:21]
	s_wait_alu 0xfffd
	v_add_co_ci_u32_e64 v77, null, s23, v77, vcc_lo
	v_add_co_u32 v78, vcc_lo, v78, s22
	s_wait_alu 0xfffe
	v_cmp_lt_i64_e64 s3, s[26:27], s[4:5]
	s_wait_alu 0xfffd
	v_add_co_ci_u32_e64 v79, null, s23, v79, vcc_lo
	v_add_co_u32 v45, vcc_lo, v45, s20
	s_wait_alu 0xfffd
	v_add_co_ci_u32_e64 v47, null, 0, v47, vcc_lo
	s_and_b32 vcc_lo, exec_lo, s3
	s_add_nc_u64 s[24:25], s[24:25], s[20:21]
	s_wait_alu 0xfffe
	s_cbranch_vccz .LBB122_49
.LBB122_5:                              ; =>This Inner Loop Header: Depth=1
	s_add_nc_u64 s[30:31], s[14:15], s[24:25]
	v_add_co_u32 v38, vcc_lo, s14, v45
	s_wait_alu 0xfffe
	v_cmp_ge_i64_e64 s3, s[30:31], s[4:5]
	s_wait_alu 0xfffd
	v_add_co_ci_u32_e64 v39, null, 0, v47, vcc_lo
                                        ; implicit-def: $vgpr2_vgpr3_vgpr4_vgpr5_vgpr6_vgpr7_vgpr8_vgpr9_vgpr10_vgpr11_vgpr12_vgpr13_vgpr14_vgpr15_vgpr16_vgpr17
                                        ; implicit-def: $vgpr42_vgpr43
                                        ; implicit-def: $vgpr18_vgpr19_vgpr20_vgpr21_vgpr22_vgpr23_vgpr24_vgpr25_vgpr26_vgpr27_vgpr28_vgpr29_vgpr30_vgpr31_vgpr32_vgpr33
                                        ; implicit-def: $vgpr2
	s_and_b32 vcc_lo, exec_lo, s3
	s_mov_b32 s3, -1
	s_wait_alu 0xfffe
	s_cbranch_vccz .LBB122_27
; %bb.6:                                ;   in Loop: Header=BB122_5 Depth=1
	s_load_b32 s3, s[18:19], 0xc
	v_mov_b32_e32 v40, 0
	v_mov_b32_e32 v41, 0
	s_wait_kmcnt 0x0
	s_and_b32 s3, s3, 0xffff
	s_wait_alu 0xfffe
	v_mad_u32_u24 v2, v44, s3, v46
	s_mov_b32 s3, exec_lo
	s_delay_alu instid0(VALU_DEP_1) | instskip(NEXT) | instid1(VALU_DEP_1)
	v_and_b32_e32 v2, 31, v2
	v_cmpx_gt_u32_e32 8, v2
	s_cbranch_execz .LBB122_10
; %bb.7:                                ;   in Loop: Header=BB122_5 Depth=1
	v_add_co_u32 v2, vcc_lo, v38, v2
	v_mov_b32_e32 v40, 0
	s_wait_alu 0xfffd
	v_add_co_ci_u32_e64 v3, null, 0, v39, vcc_lo
	v_mov_b32_e32 v41, 0
	s_mov_b32 s16, exec_lo
	s_delay_alu instid0(VALU_DEP_2)
	v_cmpx_gt_i64_e64 s[4:5], v[2:3]
	s_cbranch_execz .LBB122_9
; %bb.8:                                ;   in Loop: Header=BB122_5 Depth=1
	v_lshlrev_b64_e32 v[2:3], 3, v[2:3]
	s_delay_alu instid0(VALU_DEP_1) | instskip(SKIP_1) | instid1(VALU_DEP_2)
	v_add_co_u32 v2, vcc_lo, s12, v2
	s_wait_alu 0xfffd
	v_add_co_ci_u32_e64 v3, null, s13, v3, vcc_lo
	global_load_b64 v[40:41], v[2:3], off
.LBB122_9:                              ;   in Loop: Header=BB122_5 Depth=1
	s_or_b32 exec_lo, exec_lo, s16
.LBB122_10:                             ;   in Loop: Header=BB122_5 Depth=1
	s_wait_alu 0xfffe
	s_or_b32 exec_lo, exec_lo, s3
	v_mov_b32_e32 v16, v1
	v_dual_mov_b32 v2, v1 :: v_dual_mov_b32 v3, v1
	v_dual_mov_b32 v4, v1 :: v_dual_mov_b32 v5, v1
	v_dual_mov_b32 v6, v1 :: v_dual_mov_b32 v7, v1
	v_dual_mov_b32 v8, v1 :: v_dual_mov_b32 v9, v1
	v_dual_mov_b32 v10, v1 :: v_dual_mov_b32 v11, v1
	v_dual_mov_b32 v12, v1 :: v_dual_mov_b32 v13, v1
	v_dual_mov_b32 v14, v1 :: v_dual_mov_b32 v15, v1
	v_cmp_gt_i64_e32 vcc_lo, s[4:5], v[38:39]
	s_delay_alu instid0(VALU_DEP_3) | instskip(NEXT) | instid1(VALU_DEP_3)
	v_dual_mov_b32 v33, v16 :: v_dual_mov_b32 v30, v13
	v_dual_mov_b32 v31, v14 :: v_dual_mov_b32 v32, v15
	;; [unrolled: 1-line block ×8, first 2 shown]
	v_mov_b32_e32 v17, v16
	v_mov_b32_e32 v16, v15
	;; [unrolled: 1-line block ×16, first 2 shown]
	s_and_b32 s16, s2, vcc_lo
	s_delay_alu instid0(SALU_CYCLE_1)
	s_and_saveexec_b32 s3, s16
	s_cbranch_execz .LBB122_12
; %bb.11:                               ;   in Loop: Header=BB122_5 Depth=1
	v_add_co_u32 v2, vcc_lo, v48, v34
	s_wait_alu 0xfffd
	v_add_co_ci_u32_e64 v3, null, v49, v35, vcc_lo
	v_add_co_u32 v4, vcc_lo, v50, v34
	s_wait_alu 0xfffd
	v_add_co_ci_u32_e64 v5, null, v51, v35, vcc_lo
	global_load_b64 v[2:3], v[2:3], off
	global_load_b64 v[18:19], v[4:5], off
	v_dual_mov_b32 v4, v1 :: v_dual_mov_b32 v5, v1
	v_dual_mov_b32 v6, v1 :: v_dual_mov_b32 v7, v1
	;; [unrolled: 1-line block ×14, first 2 shown]
.LBB122_12:                             ;   in Loop: Header=BB122_5 Depth=1
	s_wait_alu 0xfffe
	s_or_b32 exec_lo, exec_lo, s3
	v_add_co_u32 v42, vcc_lo, v38, 1
	s_wait_alu 0xfffd
	v_add_co_ci_u32_e64 v43, null, 0, v39, vcc_lo
	s_delay_alu instid0(VALU_DEP_1) | instskip(SKIP_1) | instid1(SALU_CYCLE_1)
	v_cmp_gt_i64_e32 vcc_lo, s[4:5], v[42:43]
	s_and_b32 s16, s2, vcc_lo
	s_and_saveexec_b32 s3, s16
	s_cbranch_execz .LBB122_14
; %bb.13:                               ;   in Loop: Header=BB122_5 Depth=1
	v_add_co_u32 v4, vcc_lo, v76, v34
	s_wait_alu 0xfffd
	v_add_co_ci_u32_e64 v5, null, v77, v35, vcc_lo
	v_add_co_u32 v20, vcc_lo, v78, v34
	s_wait_alu 0xfffd
	v_add_co_ci_u32_e64 v21, null, v79, v35, vcc_lo
	global_load_b64 v[4:5], v[4:5], off
	global_load_b64 v[20:21], v[20:21], off
.LBB122_14:                             ;   in Loop: Header=BB122_5 Depth=1
	s_wait_alu 0xfffe
	s_or_b32 exec_lo, exec_lo, s3
	v_add_co_u32 v42, vcc_lo, v38, 2
	s_wait_alu 0xfffd
	v_add_co_ci_u32_e64 v43, null, 0, v39, vcc_lo
	s_delay_alu instid0(VALU_DEP_1) | instskip(SKIP_1) | instid1(SALU_CYCLE_1)
	v_cmp_gt_i64_e32 vcc_lo, s[4:5], v[42:43]
	s_and_b32 s16, s2, vcc_lo
	s_and_saveexec_b32 s3, s16
	s_cbranch_execz .LBB122_16
; %bb.15:                               ;   in Loop: Header=BB122_5 Depth=1
	v_add_co_u32 v6, vcc_lo, v72, v34
	s_wait_alu 0xfffd
	v_add_co_ci_u32_e64 v7, null, v73, v35, vcc_lo
	v_add_co_u32 v22, vcc_lo, v74, v34
	s_wait_alu 0xfffd
	v_add_co_ci_u32_e64 v23, null, v75, v35, vcc_lo
	global_load_b64 v[6:7], v[6:7], off
	global_load_b64 v[22:23], v[22:23], off
.LBB122_16:                             ;   in Loop: Header=BB122_5 Depth=1
	;; [unrolled: 20-line block ×7, first 2 shown]
	s_wait_alu 0xfffe
	s_or_b32 exec_lo, exec_lo, s3
	s_wait_loadcnt 0x0
	v_mul_f64_e32 v[2:3], v[18:19], v[2:3]
	ds_bpermute_b32 v18, v1, v40
	ds_bpermute_b32 v19, v1, v41
	v_mul_f64_e32 v[4:5], v[20:21], v[4:5]
	v_mul_f64_e32 v[6:7], v[22:23], v[6:7]
	v_mul_f64_e32 v[8:9], v[24:25], v[8:9]
	s_mov_b32 s3, 0
	s_wait_dscnt 0x0
	v_fma_f64 v[2:3], v[2:3], v[18:19], v[36:37]
	ds_bpermute_b32 v18, v1, v40 offset:4
	ds_bpermute_b32 v19, v1, v41 offset:4
	s_wait_dscnt 0x0
	v_fma_f64 v[2:3], v[4:5], v[18:19], v[2:3]
	ds_bpermute_b32 v4, v1, v40 offset:8
	ds_bpermute_b32 v5, v1, v41 offset:8
	;; [unrolled: 4-line block ×3, first 2 shown]
	v_mul_f64_e32 v[6:7], v[26:27], v[10:11]
	s_wait_dscnt 0x0
	v_fma_f64 v[2:3], v[8:9], v[4:5], v[2:3]
	ds_bpermute_b32 v4, v1, v40 offset:16
	ds_bpermute_b32 v5, v1, v41 offset:16
	v_mul_f64_e32 v[8:9], v[28:29], v[12:13]
	s_wait_dscnt 0x0
	v_fma_f64 v[2:3], v[6:7], v[4:5], v[2:3]
	ds_bpermute_b32 v4, v1, v40 offset:20
	ds_bpermute_b32 v5, v1, v41 offset:20
	;; [unrolled: 1-line block ×4, first 2 shown]
	s_wait_dscnt 0x2
	v_fma_f64 v[2:3], v[8:9], v[4:5], v[2:3]
	v_mul_f64_e32 v[4:5], v[30:31], v[14:15]
	s_wait_dscnt 0x0
	s_delay_alu instid0(VALU_DEP_1)
	v_fma_f64 v[42:43], v[4:5], v[6:7], v[2:3]
	ds_bpermute_b32 v2, v1, v40 offset:28
	ds_bpermute_b32 v3, v1, v41 offset:28
.LBB122_27:                             ;   in Loop: Header=BB122_5 Depth=1
	s_wait_alu 0xfffe
	s_and_b32 vcc_lo, exec_lo, s3
	s_wait_alu 0xfffe
	s_cbranch_vccz .LBB122_4
; %bb.28:                               ;   in Loop: Header=BB122_5 Depth=1
	s_load_b32 s3, s[18:19], 0x0
	v_mov_b32_e32 v40, 0
	v_mov_b32_e32 v41, 0
	s_wait_kmcnt 0x0
	s_cmp_lt_u32 ttmp9, s3
	s_cselect_b32 s16, 12, 18
	s_delay_alu instid0(SALU_CYCLE_1)
	s_add_nc_u64 s[30:31], s[18:19], s[16:17]
	s_load_u16 s3, s[30:31], 0x0
	s_wait_dscnt 0x1
	s_wait_kmcnt 0x0
	v_mad_u32_u24 v2, v44, s3, v46
	s_mov_b32 s3, exec_lo
	s_delay_alu instid0(VALU_DEP_1) | instskip(NEXT) | instid1(VALU_DEP_1)
	v_and_b32_e32 v2, 31, v2
	v_cmpx_gt_u32_e32 8, v2
	s_cbranch_execz .LBB122_32
; %bb.29:                               ;   in Loop: Header=BB122_5 Depth=1
	v_add_co_u32 v2, vcc_lo, v38, v2
	v_mov_b32_e32 v40, 0
	s_wait_dscnt 0x0
	s_wait_alu 0xfffd
	v_add_co_ci_u32_e64 v3, null, 0, v39, vcc_lo
	v_mov_b32_e32 v41, 0
	s_mov_b32 s16, exec_lo
	s_delay_alu instid0(VALU_DEP_2)
	v_cmpx_gt_i64_e64 s[4:5], v[2:3]
	s_cbranch_execz .LBB122_31
; %bb.30:                               ;   in Loop: Header=BB122_5 Depth=1
	v_lshlrev_b64_e32 v[2:3], 3, v[2:3]
	s_delay_alu instid0(VALU_DEP_1) | instskip(SKIP_1) | instid1(VALU_DEP_2)
	v_add_co_u32 v2, vcc_lo, s12, v2
	s_wait_alu 0xfffd
	v_add_co_ci_u32_e64 v3, null, s13, v3, vcc_lo
	global_load_b64 v[40:41], v[2:3], off
.LBB122_31:                             ;   in Loop: Header=BB122_5 Depth=1
	s_or_b32 exec_lo, exec_lo, s16
.LBB122_32:                             ;   in Loop: Header=BB122_5 Depth=1
	s_wait_alu 0xfffe
	s_or_b32 exec_lo, exec_lo, s3
	v_mov_b32_e32 v16, v1
	s_wait_dscnt 0x0
	v_dual_mov_b32 v2, v1 :: v_dual_mov_b32 v3, v1
	v_dual_mov_b32 v4, v1 :: v_dual_mov_b32 v5, v1
	;; [unrolled: 1-line block ×7, first 2 shown]
	v_mov_b32_e32 v33, v16
	s_delay_alu instid0(VALU_DEP_3) | instskip(NEXT) | instid1(VALU_DEP_3)
	v_dual_mov_b32 v29, v12 :: v_dual_mov_b32 v28, v11
	v_dual_mov_b32 v31, v14 :: v_dual_mov_b32 v30, v13
	s_delay_alu instid0(VALU_DEP_4)
	v_dual_mov_b32 v32, v15 :: v_dual_mov_b32 v27, v10
	v_dual_mov_b32 v26, v9 :: v_dual_mov_b32 v25, v8
	;; [unrolled: 1-line block ×6, first 2 shown]
	v_mov_b32_e32 v16, v15
	v_mov_b32_e32 v15, v14
	;; [unrolled: 1-line block ×15, first 2 shown]
	s_and_saveexec_b32 s3, s2
	s_cbranch_execnz .LBB122_40
; %bb.33:                               ;   in Loop: Header=BB122_5 Depth=1
	s_wait_alu 0xfffe
	s_or_b32 exec_lo, exec_lo, s3
	s_and_saveexec_b32 s3, s2
	s_cbranch_execnz .LBB122_41
.LBB122_34:                             ;   in Loop: Header=BB122_5 Depth=1
	s_wait_alu 0xfffe
	s_or_b32 exec_lo, exec_lo, s3
	s_and_saveexec_b32 s3, s2
	s_cbranch_execnz .LBB122_42
.LBB122_35:                             ;   in Loop: Header=BB122_5 Depth=1
	s_wait_alu 0xfffe
	s_or_b32 exec_lo, exec_lo, s3
	s_and_saveexec_b32 s3, s2
	s_cbranch_execnz .LBB122_43
.LBB122_36:                             ;   in Loop: Header=BB122_5 Depth=1
	s_wait_alu 0xfffe
	s_or_b32 exec_lo, exec_lo, s3
	s_and_saveexec_b32 s3, s2
	s_cbranch_execnz .LBB122_44
.LBB122_37:                             ;   in Loop: Header=BB122_5 Depth=1
	s_wait_alu 0xfffe
	s_or_b32 exec_lo, exec_lo, s3
	s_and_saveexec_b32 s3, s2
	s_cbranch_execnz .LBB122_45
.LBB122_38:                             ;   in Loop: Header=BB122_5 Depth=1
	s_wait_alu 0xfffe
	s_or_b32 exec_lo, exec_lo, s3
	s_and_saveexec_b32 s3, s2
	s_cbranch_execnz .LBB122_46
.LBB122_39:                             ;   in Loop: Header=BB122_5 Depth=1
	s_wait_alu 0xfffe
	s_or_b32 exec_lo, exec_lo, s3
	s_and_saveexec_b32 s3, s2
	s_cbranch_execz .LBB122_3
	s_branch .LBB122_47
.LBB122_40:                             ;   in Loop: Header=BB122_5 Depth=1
	v_add_co_u32 v2, vcc_lo, v48, v34
	s_wait_alu 0xfffd
	v_add_co_ci_u32_e64 v3, null, v49, v35, vcc_lo
	v_add_co_u32 v4, vcc_lo, v50, v34
	s_wait_alu 0xfffd
	v_add_co_ci_u32_e64 v5, null, v51, v35, vcc_lo
	global_load_b64 v[2:3], v[2:3], off
	global_load_b64 v[18:19], v[4:5], off
	v_dual_mov_b32 v4, v1 :: v_dual_mov_b32 v5, v1
	v_dual_mov_b32 v6, v1 :: v_dual_mov_b32 v7, v1
	;; [unrolled: 1-line block ×14, first 2 shown]
	s_wait_alu 0xfffe
	s_or_b32 exec_lo, exec_lo, s3
	s_and_saveexec_b32 s3, s2
	s_cbranch_execz .LBB122_34
.LBB122_41:                             ;   in Loop: Header=BB122_5 Depth=1
	v_add_co_u32 v4, vcc_lo, v76, v34
	s_wait_alu 0xfffd
	v_add_co_ci_u32_e64 v5, null, v77, v35, vcc_lo
	v_add_co_u32 v20, vcc_lo, v78, v34
	s_wait_alu 0xfffd
	v_add_co_ci_u32_e64 v21, null, v79, v35, vcc_lo
	global_load_b64 v[4:5], v[4:5], off
	global_load_b64 v[20:21], v[20:21], off
	s_wait_alu 0xfffe
	s_or_b32 exec_lo, exec_lo, s3
	s_and_saveexec_b32 s3, s2
	s_cbranch_execz .LBB122_35
.LBB122_42:                             ;   in Loop: Header=BB122_5 Depth=1
	v_add_co_u32 v6, vcc_lo, v72, v34
	s_wait_alu 0xfffd
	v_add_co_ci_u32_e64 v7, null, v73, v35, vcc_lo
	v_add_co_u32 v22, vcc_lo, v74, v34
	s_wait_alu 0xfffd
	v_add_co_ci_u32_e64 v23, null, v75, v35, vcc_lo
	global_load_b64 v[6:7], v[6:7], off
	global_load_b64 v[22:23], v[22:23], off
	s_wait_alu 0xfffe
	s_or_b32 exec_lo, exec_lo, s3
	s_and_saveexec_b32 s3, s2
	s_cbranch_execz .LBB122_36
.LBB122_43:                             ;   in Loop: Header=BB122_5 Depth=1
	v_add_co_u32 v8, vcc_lo, v68, v34
	s_wait_alu 0xfffd
	v_add_co_ci_u32_e64 v9, null, v69, v35, vcc_lo
	v_add_co_u32 v24, vcc_lo, v70, v34
	s_wait_alu 0xfffd
	v_add_co_ci_u32_e64 v25, null, v71, v35, vcc_lo
	global_load_b64 v[8:9], v[8:9], off
	global_load_b64 v[24:25], v[24:25], off
	s_wait_alu 0xfffe
	s_or_b32 exec_lo, exec_lo, s3
	s_and_saveexec_b32 s3, s2
	s_cbranch_execz .LBB122_37
.LBB122_44:                             ;   in Loop: Header=BB122_5 Depth=1
	v_add_co_u32 v10, vcc_lo, v64, v34
	s_wait_alu 0xfffd
	v_add_co_ci_u32_e64 v11, null, v65, v35, vcc_lo
	v_add_co_u32 v26, vcc_lo, v66, v34
	s_wait_alu 0xfffd
	v_add_co_ci_u32_e64 v27, null, v67, v35, vcc_lo
	global_load_b64 v[10:11], v[10:11], off
	global_load_b64 v[26:27], v[26:27], off
	s_wait_alu 0xfffe
	s_or_b32 exec_lo, exec_lo, s3
	s_and_saveexec_b32 s3, s2
	s_cbranch_execz .LBB122_38
.LBB122_45:                             ;   in Loop: Header=BB122_5 Depth=1
	v_add_co_u32 v12, vcc_lo, v60, v34
	s_wait_alu 0xfffd
	v_add_co_ci_u32_e64 v13, null, v61, v35, vcc_lo
	v_add_co_u32 v28, vcc_lo, v62, v34
	s_wait_alu 0xfffd
	v_add_co_ci_u32_e64 v29, null, v63, v35, vcc_lo
	global_load_b64 v[12:13], v[12:13], off
	global_load_b64 v[28:29], v[28:29], off
	s_wait_alu 0xfffe
	s_or_b32 exec_lo, exec_lo, s3
	s_and_saveexec_b32 s3, s2
	s_cbranch_execz .LBB122_39
.LBB122_46:                             ;   in Loop: Header=BB122_5 Depth=1
	v_add_co_u32 v14, vcc_lo, v56, v34
	s_wait_alu 0xfffd
	v_add_co_ci_u32_e64 v15, null, v57, v35, vcc_lo
	v_add_co_u32 v30, vcc_lo, v58, v34
	s_wait_alu 0xfffd
	v_add_co_ci_u32_e64 v31, null, v59, v35, vcc_lo
	global_load_b64 v[14:15], v[14:15], off
	global_load_b64 v[30:31], v[30:31], off
	s_wait_alu 0xfffe
	s_or_b32 exec_lo, exec_lo, s3
	s_and_saveexec_b32 s3, s2
	s_cbranch_execz .LBB122_3
.LBB122_47:                             ;   in Loop: Header=BB122_5 Depth=1
	v_add_co_u32 v16, vcc_lo, v52, v34
	s_wait_alu 0xfffd
	v_add_co_ci_u32_e64 v17, null, v53, v35, vcc_lo
	v_add_co_u32 v32, vcc_lo, v54, v34
	s_wait_alu 0xfffd
	v_add_co_ci_u32_e64 v33, null, v55, v35, vcc_lo
	global_load_b64 v[16:17], v[16:17], off
	global_load_b64 v[32:33], v[32:33], off
	s_branch .LBB122_3
.LBB122_48:
                                        ; implicit-def: $vgpr36_vgpr37
	s_load_b64 s[16:17], s[0:1], 0x30
	s_branch .LBB122_50
.LBB122_49:
	s_load_b64 s[16:17], s[0:1], 0x30
	s_cbranch_execnz .LBB122_82
.LBB122_50:
	v_mov_b32_e32 v36, 0
	v_mov_b32_e32 v37, 0
	s_and_not1_b32 vcc_lo, exec_lo, s29
	s_wait_alu 0xfffe
	s_cbranch_vccnz .LBB122_82
; %bb.51:
	v_bfe_u32 v70, v0, 10, 10
	v_dual_mov_b32 v1, 0 :: v_dual_and_b32 v72, 0x3ff, v0
	s_lshl_b64 s[22:23], s[14:15], 3
	s_mov_b32 s3, 0
	s_delay_alu instid0(VALU_DEP_2) | instskip(NEXT) | instid1(VALU_DEP_2)
	v_dual_mov_b32 v66, 0 :: v_dual_lshlrev_b32 v71, 3, v70
	v_dual_mov_b32 v73, v1 :: v_dual_lshlrev_b32 v8, 6, v70
	v_dual_mov_b32 v5, v1 :: v_dual_add_nc_u32 v4, s28, v72
	s_delay_alu instid0(VALU_DEP_3) | instskip(SKIP_2) | instid1(VALU_DEP_3)
	v_add_co_u32 v10, s2, v71, s14
	s_wait_alu 0xf1ff
	v_add_co_ci_u32_e64 v11, null, 0, 0, s2
	v_lshlrev_b64_e32 v[34:35], 3, v[4:5]
	s_delay_alu instid0(VALU_DEP_3) | instskip(SKIP_1) | instid1(VALU_DEP_4)
	v_mul_lo_u32 v6, s7, v10
	v_mad_co_u64_u32 v[2:3], null, s6, v10, 0
	v_mul_lo_u32 v7, s6, v11
	s_load_b32 s2, s[0:1], 0x44
	s_mov_b32 s21, s3
	v_mov_b32_e32 v67, 0
	s_add_nc_u64 s[18:19], s[0:1], 64
	s_delay_alu instid0(VALU_DEP_2) | instskip(SKIP_3) | instid1(VALU_DEP_3)
	v_add3_u32 v3, v3, v7, v6
	v_add_co_u32 v6, s20, v8, s22
	s_wait_alu 0xf1ff
	v_add_co_ci_u32_e64 v7, null, 0, s23, s20
	v_lshlrev_b64_e32 v[4:5], 3, v[2:3]
	s_delay_alu instid0(VALU_DEP_3) | instskip(SKIP_1) | instid1(VALU_DEP_3)
	v_add_co_u32 v8, vcc_lo, v6, 8
	s_wait_alu 0xfffd
	v_add_co_ci_u32_e64 v9, null, 0, v7, vcc_lo
	s_delay_alu instid0(VALU_DEP_3)
	v_add_co_u32 v74, vcc_lo, s8, v4
	s_wait_alu 0xfffd
	v_add_co_ci_u32_e64 v75, null, s9, v5, vcc_lo
	v_add_co_u32 v76, vcc_lo, s10, v4
	s_wait_alu 0xfffd
	v_add_co_ci_u32_e64 v77, null, s11, v5, vcc_lo
	;; [unrolled: 3-line block ×5, first 2 shown]
	v_add_co_u32 v19, vcc_lo, v6, 40
	v_mad_co_u64_u32 v[40:41], null, s6, v4, s[8:9]
	v_mul_lo_u32 v5, s6, v5
	v_mul_lo_u32 v15, s7, v4
	v_mad_co_u64_u32 v[54:55], null, s6, v4, s[10:11]
	s_wait_alu 0xfffd
	v_add_co_ci_u32_e64 v20, null, 0, v7, vcc_lo
	v_add_co_u32 v22, vcc_lo, v6, 48
	s_wait_alu 0xfffd
	v_add_co_ci_u32_e64 v24, null, 0, v7, vcc_lo
	v_add_co_u32 v6, vcc_lo, v6, 56
	v_mad_co_u64_u32 v[38:39], null, s6, v8, s[8:9]
	v_mul_lo_u32 v9, s6, v9
	v_mul_lo_u32 v12, s7, v8
	v_mad_co_u64_u32 v[52:53], null, s6, v8, s[10:11]
	s_wait_alu 0xfffd
	v_add_co_ci_u32_e64 v7, null, 0, v7, vcc_lo
	v_add_co_u32 v4, vcc_lo, v10, 7
	v_add3_u32 v41, v15, v41, v5
	v_add3_u32 v55, v15, v55, v5
	s_wait_alu 0xfffd
	v_add_co_ci_u32_e64 v5, null, 0, v11, vcc_lo
	v_mul_lo_u32 v26, s6, v7
	v_add_co_u32 v7, vcc_lo, v10, 6
	v_add3_u32 v39, v12, v39, v9
	v_add3_u32 v53, v12, v53, v9
	s_wait_alu 0xfffd
	v_add_co_ci_u32_e64 v12, null, 0, v11, vcc_lo
	v_mul_lo_u32 v8, s7, v4
	v_mul_lo_u32 v9, s6, v5
	v_mad_co_u64_u32 v[4:5], null, s6, v4, 0
	v_mad_co_u64_u32 v[42:43], null, s6, v13, s[8:9]
	v_mul_lo_u32 v17, s7, v13
	v_mad_co_u64_u32 v[50:51], null, s6, v6, s[8:9]
	v_mul_lo_u32 v27, s7, v6
	v_mad_co_u64_u32 v[56:57], null, s6, v13, s[10:11]
	v_mad_co_u64_u32 v[64:65], null, s6, v6, s[10:11]
	v_mul_lo_u32 v13, s7, v7
	v_mul_lo_u32 v12, s6, v12
	v_mad_co_u64_u32 v[6:7], null, s6, v7, 0
	v_add3_u32 v5, v5, v9, v8
	v_add_co_u32 v8, vcc_lo, v10, 5
	s_wait_alu 0xfffd
	v_add_co_ci_u32_e64 v9, null, 0, v11, vcc_lo
	s_delay_alu instid0(VALU_DEP_3) | instskip(SKIP_2) | instid1(VALU_DEP_4)
	v_lshlrev_b64_e32 v[4:5], 3, v[4:5]
	v_add3_u32 v7, v7, v12, v13
	v_mul_lo_u32 v12, s7, v8
	v_mul_lo_u32 v13, s6, v9
	v_mad_co_u64_u32 v[8:9], null, s6, v8, 0
	s_delay_alu instid0(VALU_DEP_4)
	v_lshlrev_b64_e32 v[6:7], 3, v[6:7]
	v_add_co_u32 v78, vcc_lo, s8, v4
	s_wait_alu 0xfffd
	v_add_co_ci_u32_e64 v79, null, s9, v5, vcc_lo
	v_add_co_u32 v80, vcc_lo, s10, v4
	s_wait_alu 0xfffd
	v_add_co_ci_u32_e64 v81, null, s11, v5, vcc_lo
	v_add_co_u32 v82, vcc_lo, s8, v6
	v_mul_lo_u32 v14, s6, v14
	v_add3_u32 v9, v9, v13, v12
	s_wait_alu 0xfffd
	v_add_co_ci_u32_e64 v83, null, s9, v7, vcc_lo
	v_add_co_u32 v12, vcc_lo, v10, 4
	s_wait_kmcnt 0x0
	s_lshl_b32 s20, s2, 3
	v_add_co_u32 v84, s2, s10, v6
	s_wait_alu 0xfffd
	v_add_co_ci_u32_e64 v6, null, 0, v11, vcc_lo
	v_lshlrev_b64_e32 v[4:5], 3, v[8:9]
	v_add_co_u32 v8, vcc_lo, v10, 3
	s_wait_alu 0xfffd
	v_add_co_ci_u32_e64 v9, null, 0, v11, vcc_lo
	v_add3_u32 v43, v17, v43, v14
	v_add3_u32 v57, v17, v57, v14
	s_wait_alu 0xf1ff
	v_add_co_ci_u32_e64 v85, null, s11, v7, s2
	v_mul_lo_u32 v13, s7, v12
	v_mul_lo_u32 v14, s6, v6
	v_mad_co_u64_u32 v[6:7], null, s6, v12, 0
	v_mul_lo_u32 v12, s7, v8
	v_mul_lo_u32 v15, s6, v9
	v_mad_co_u64_u32 v[8:9], null, s6, v8, 0
	v_add_co_u32 v86, vcc_lo, s8, v4
	s_wait_alu 0xfffd
	v_add_co_ci_u32_e64 v87, null, s9, v5, vcc_lo
	v_add3_u32 v7, v7, v14, v13
	v_add_co_u32 v88, vcc_lo, s10, v4
	s_wait_alu 0xfffd
	v_add_co_ci_u32_e64 v89, null, s11, v5, vcc_lo
	v_add_co_u32 v10, vcc_lo, v10, 2
	v_add3_u32 v9, v9, v15, v12
	s_wait_alu 0xfffd
	v_add_co_ci_u32_e64 v11, null, 0, v11, vcc_lo
	v_lshlrev_b64_e32 v[4:5], 3, v[6:7]
	v_mul_lo_u32 v12, s7, v10
	v_lshlrev_b64_e32 v[6:7], 3, v[8:9]
	s_delay_alu instid0(VALU_DEP_4)
	v_mul_lo_u32 v11, s6, v11
	v_mad_co_u64_u32 v[8:9], null, s6, v10, 0
	v_add_co_u32 v90, vcc_lo, s8, v4
	s_wait_alu 0xfffd
	v_add_co_ci_u32_e64 v91, null, s9, v5, vcc_lo
	v_add_co_u32 v92, vcc_lo, s10, v4
	s_wait_alu 0xfffd
	v_add_co_ci_u32_e64 v93, null, s11, v5, vcc_lo
	;; [unrolled: 3-line block ×3, first 2 shown]
	v_add3_u32 v9, v9, v11, v12
	v_add_co_u32 v96, vcc_lo, s10, v6
	s_wait_alu 0xfffd
	v_add_co_ci_u32_e64 v97, null, s11, v7, vcc_lo
	v_add_co_u32 v2, vcc_lo, v2, s6
	s_wait_alu 0xfffd
	v_add_co_ci_u32_e64 v3, null, s7, v3, vcc_lo
	v_lshlrev_b64_e32 v[4:5], 3, v[8:9]
	v_mad_co_u64_u32 v[44:45], null, s6, v16, s[8:9]
	s_delay_alu instid0(VALU_DEP_3)
	v_lshlrev_b64_e32 v[2:3], 3, v[2:3]
	v_mul_lo_u32 v18, s6, v18
	v_mul_lo_u32 v21, s7, v16
	v_mad_co_u64_u32 v[46:47], null, s6, v19, s[8:9]
	v_mul_lo_u32 v20, s6, v20
	v_mul_lo_u32 v23, s7, v19
	v_mad_co_u64_u32 v[48:49], null, s6, v22, s[8:9]
	;; [unrolled: 3-line block ×3, first 2 shown]
	v_mad_co_u64_u32 v[60:61], null, s6, v19, s[10:11]
	v_mad_co_u64_u32 v[62:63], null, s6, v22, s[10:11]
	v_add_co_u32 v98, vcc_lo, s8, v4
	s_wait_alu 0xfffd
	v_add_co_ci_u32_e64 v99, null, s9, v5, vcc_lo
	v_add_co_u32 v100, vcc_lo, s10, v4
	s_wait_alu 0xfffd
	v_add_co_ci_u32_e64 v101, null, s11, v5, vcc_lo
	;; [unrolled: 3-line block ×3, first 2 shown]
	v_add_co_u32 v104, vcc_lo, s10, v2
	v_add3_u32 v45, v21, v45, v18
	v_add3_u32 v47, v23, v47, v20
	;; [unrolled: 1-line block ×8, first 2 shown]
	s_wait_alu 0xfffd
	v_add_co_ci_u32_e64 v105, null, s11, v3, vcc_lo
	s_wait_alu 0xfffe
	s_mul_u64 s[22:23], s[6:7], s[20:21]
	s_mov_b64 s[10:11], 7
	s_wait_alu 0xfffe
	s_lshl_b64 s[8:9], s[22:23], 3
	s_mov_b64 s[22:23], s[14:15]
.LBB122_52:                             ; =>This Inner Loop Header: Depth=1
	s_add_nc_u64 s[24:25], s[14:15], s[10:11]
	v_add_co_u32 v68, vcc_lo, s14, v71
	s_wait_alu 0xfffe
	v_cmp_ge_i64_e64 s2, s[24:25], s[4:5]
	s_wait_alu 0xfffd
	v_add_co_ci_u32_e64 v69, null, 0, v73, vcc_lo
                                        ; implicit-def: $vgpr36_vgpr37
	s_and_b32 vcc_lo, exec_lo, s2
	s_mov_b32 s2, -1
	s_wait_alu 0xfffe
	s_cbranch_vccz .LBB122_74
; %bb.53:                               ;   in Loop: Header=BB122_52 Depth=1
	s_load_b32 s2, s[18:19], 0xc
	v_mov_b32_e32 v36, 0
	v_mov_b32_e32 v37, 0
	s_wait_kmcnt 0x0
	s_and_b32 s2, s2, 0xffff
	s_wait_alu 0xfffe
	v_mad_u32_u24 v2, v70, s2, v72
	s_mov_b32 s2, exec_lo
	s_delay_alu instid0(VALU_DEP_1) | instskip(NEXT) | instid1(VALU_DEP_1)
	v_and_b32_e32 v2, 31, v2
	v_cmpx_gt_u32_e32 8, v2
	s_cbranch_execz .LBB122_57
; %bb.54:                               ;   in Loop: Header=BB122_52 Depth=1
	v_add_co_u32 v2, vcc_lo, v68, v2
	v_mov_b32_e32 v36, 0
	s_wait_alu 0xfffd
	v_add_co_ci_u32_e64 v3, null, 0, v69, vcc_lo
	v_mov_b32_e32 v37, 0
	s_mov_b32 s24, exec_lo
	s_delay_alu instid0(VALU_DEP_2)
	v_cmpx_gt_i64_e64 s[4:5], v[2:3]
	s_cbranch_execz .LBB122_56
; %bb.55:                               ;   in Loop: Header=BB122_52 Depth=1
	v_lshlrev_b64_e32 v[2:3], 3, v[2:3]
	s_delay_alu instid0(VALU_DEP_1) | instskip(SKIP_1) | instid1(VALU_DEP_2)
	v_add_co_u32 v2, vcc_lo, s12, v2
	s_wait_alu 0xfffd
	v_add_co_ci_u32_e64 v3, null, s13, v3, vcc_lo
	global_load_b64 v[36:37], v[2:3], off
.LBB122_56:                             ;   in Loop: Header=BB122_52 Depth=1
	s_wait_alu 0xfffe
	s_or_b32 exec_lo, exec_lo, s24
.LBB122_57:                             ;   in Loop: Header=BB122_52 Depth=1
	s_wait_alu 0xfffe
	s_or_b32 exec_lo, exec_lo, s2
	v_mov_b32_e32 v16, v1
	v_dual_mov_b32 v2, v1 :: v_dual_mov_b32 v3, v1
	v_dual_mov_b32 v4, v1 :: v_dual_mov_b32 v5, v1
	;; [unrolled: 1-line block ×7, first 2 shown]
	v_mov_b32_e32 v33, v16
	s_delay_alu instid0(VALU_DEP_3) | instskip(NEXT) | instid1(VALU_DEP_3)
	v_dual_mov_b32 v29, v12 :: v_dual_mov_b32 v28, v11
	v_dual_mov_b32 v31, v14 :: v_dual_mov_b32 v30, v13
	s_delay_alu instid0(VALU_DEP_4)
	v_dual_mov_b32 v32, v15 :: v_dual_mov_b32 v27, v10
	v_dual_mov_b32 v26, v9 :: v_dual_mov_b32 v25, v8
	;; [unrolled: 1-line block ×6, first 2 shown]
	v_mov_b32_e32 v16, v15
	v_mov_b32_e32 v15, v14
	;; [unrolled: 1-line block ×15, first 2 shown]
	s_mov_b32 s2, exec_lo
	v_cmpx_gt_i64_e64 s[4:5], v[68:69]
	s_cbranch_execz .LBB122_59
; %bb.58:                               ;   in Loop: Header=BB122_52 Depth=1
	v_add_co_u32 v2, vcc_lo, v74, v34
	s_wait_alu 0xfffd
	v_add_co_ci_u32_e64 v3, null, v75, v35, vcc_lo
	v_add_co_u32 v4, vcc_lo, v76, v34
	s_wait_alu 0xfffd
	v_add_co_ci_u32_e64 v5, null, v77, v35, vcc_lo
	global_load_b64 v[2:3], v[2:3], off
	global_load_b64 v[18:19], v[4:5], off
	v_dual_mov_b32 v4, v1 :: v_dual_mov_b32 v5, v1
	v_dual_mov_b32 v6, v1 :: v_dual_mov_b32 v7, v1
	;; [unrolled: 1-line block ×14, first 2 shown]
.LBB122_59:                             ;   in Loop: Header=BB122_52 Depth=1
	s_wait_alu 0xfffe
	s_or_b32 exec_lo, exec_lo, s2
	v_add_co_u32 v106, vcc_lo, v68, 1
	s_wait_alu 0xfffd
	v_add_co_ci_u32_e64 v107, null, 0, v69, vcc_lo
	s_mov_b32 s2, exec_lo
	v_cmpx_gt_i64_e64 s[4:5], v[106:107]
	s_cbranch_execz .LBB122_61
; %bb.60:                               ;   in Loop: Header=BB122_52 Depth=1
	v_add_co_u32 v4, vcc_lo, v102, v34
	s_wait_alu 0xfffd
	v_add_co_ci_u32_e64 v5, null, v103, v35, vcc_lo
	v_add_co_u32 v20, vcc_lo, v104, v34
	s_wait_alu 0xfffd
	v_add_co_ci_u32_e64 v21, null, v105, v35, vcc_lo
	global_load_b64 v[4:5], v[4:5], off
	global_load_b64 v[20:21], v[20:21], off
.LBB122_61:                             ;   in Loop: Header=BB122_52 Depth=1
	s_wait_alu 0xfffe
	s_or_b32 exec_lo, exec_lo, s2
	v_add_co_u32 v106, vcc_lo, v68, 2
	s_wait_alu 0xfffd
	v_add_co_ci_u32_e64 v107, null, 0, v69, vcc_lo
	s_mov_b32 s2, exec_lo
	v_cmpx_gt_i64_e64 s[4:5], v[106:107]
	s_cbranch_execz .LBB122_63
; %bb.62:                               ;   in Loop: Header=BB122_52 Depth=1
	v_add_co_u32 v6, vcc_lo, v98, v34
	s_wait_alu 0xfffd
	v_add_co_ci_u32_e64 v7, null, v99, v35, vcc_lo
	v_add_co_u32 v22, vcc_lo, v100, v34
	s_wait_alu 0xfffd
	v_add_co_ci_u32_e64 v23, null, v101, v35, vcc_lo
	global_load_b64 v[6:7], v[6:7], off
	global_load_b64 v[22:23], v[22:23], off
.LBB122_63:                             ;   in Loop: Header=BB122_52 Depth=1
	;; [unrolled: 18-line block ×7, first 2 shown]
	s_wait_alu 0xfffe
	s_or_b32 exec_lo, exec_lo, s2
	s_wait_loadcnt 0x0
	v_mul_f64_e32 v[2:3], v[18:19], v[2:3]
	ds_bpermute_b32 v18, v1, v36
	ds_bpermute_b32 v19, v1, v37
	v_mul_f64_e32 v[4:5], v[20:21], v[4:5]
	v_mul_f64_e32 v[6:7], v[22:23], v[6:7]
	;; [unrolled: 1-line block ×3, first 2 shown]
	s_mov_b32 s2, 0
	s_wait_dscnt 0x0
	v_fma_f64 v[2:3], v[2:3], v[18:19], v[66:67]
	ds_bpermute_b32 v18, v1, v36 offset:4
	ds_bpermute_b32 v19, v1, v37 offset:4
	s_wait_dscnt 0x0
	v_fma_f64 v[2:3], v[4:5], v[18:19], v[2:3]
	ds_bpermute_b32 v4, v1, v36 offset:8
	ds_bpermute_b32 v5, v1, v37 offset:8
	;; [unrolled: 4-line block ×3, first 2 shown]
	v_mul_f64_e32 v[6:7], v[26:27], v[10:11]
	s_wait_dscnt 0x0
	v_fma_f64 v[2:3], v[8:9], v[4:5], v[2:3]
	ds_bpermute_b32 v4, v1, v36 offset:16
	ds_bpermute_b32 v5, v1, v37 offset:16
	v_mul_f64_e32 v[8:9], v[28:29], v[12:13]
	s_wait_dscnt 0x0
	v_fma_f64 v[2:3], v[6:7], v[4:5], v[2:3]
	ds_bpermute_b32 v4, v1, v36 offset:20
	ds_bpermute_b32 v5, v1, v37 offset:20
	v_mul_f64_e32 v[6:7], v[30:31], v[14:15]
	s_wait_dscnt 0x0
	v_fma_f64 v[2:3], v[8:9], v[4:5], v[2:3]
	ds_bpermute_b32 v4, v1, v36 offset:24
	ds_bpermute_b32 v5, v1, v37 offset:24
	s_wait_dscnt 0x0
	v_fma_f64 v[2:3], v[6:7], v[4:5], v[2:3]
	v_mul_f64_e32 v[4:5], v[32:33], v[16:17]
	ds_bpermute_b32 v6, v1, v36 offset:28
	ds_bpermute_b32 v7, v1, v37 offset:28
	s_wait_dscnt 0x0
	v_fma_f64 v[36:37], v[4:5], v[6:7], v[2:3]
.LBB122_74:                             ;   in Loop: Header=BB122_52 Depth=1
	s_wait_alu 0xfffe
	s_and_b32 vcc_lo, exec_lo, s2
	s_wait_alu 0xfffe
	s_cbranch_vccz .LBB122_80
; %bb.75:                               ;   in Loop: Header=BB122_52 Depth=1
	s_load_b32 s2, s[18:19], 0x0
	s_wait_kmcnt 0x0
	s_cmp_lt_u32 ttmp9, s2
	s_cselect_b32 s2, 12, 18
	s_wait_alu 0xfffe
	s_add_nc_u64 s[24:25], s[18:19], s[2:3]
	s_load_u16 s2, s[24:25], 0x0
	s_wait_kmcnt 0x0
	v_mad_u32_u24 v2, v70, s2, v72
	s_mov_b32 s2, exec_lo
	s_delay_alu instid0(VALU_DEP_1) | instskip(SKIP_2) | instid1(VALU_DEP_3)
	v_and_b32_e32 v4, 31, v2
	v_mov_b32_e32 v2, 0
	v_mov_b32_e32 v3, 0
	v_cmpx_gt_u32_e32 8, v4
	s_cbranch_execz .LBB122_79
; %bb.76:                               ;   in Loop: Header=BB122_52 Depth=1
	v_add_co_u32 v4, vcc_lo, v68, v4
	v_mov_b32_e32 v2, 0
	s_wait_alu 0xfffd
	v_add_co_ci_u32_e64 v5, null, 0, v69, vcc_lo
	v_mov_b32_e32 v3, 0
	s_mov_b32 s24, exec_lo
	s_delay_alu instid0(VALU_DEP_2)
	v_cmpx_gt_i64_e64 s[4:5], v[4:5]
	s_cbranch_execz .LBB122_78
; %bb.77:                               ;   in Loop: Header=BB122_52 Depth=1
	v_lshlrev_b64_e32 v[2:3], 3, v[4:5]
	s_delay_alu instid0(VALU_DEP_1) | instskip(SKIP_1) | instid1(VALU_DEP_2)
	v_add_co_u32 v2, vcc_lo, s12, v2
	s_wait_alu 0xfffd
	v_add_co_ci_u32_e64 v3, null, s13, v3, vcc_lo
	global_load_b64 v[2:3], v[2:3], off
.LBB122_78:                             ;   in Loop: Header=BB122_52 Depth=1
	s_wait_alu 0xfffe
	s_or_b32 exec_lo, exec_lo, s24
.LBB122_79:                             ;   in Loop: Header=BB122_52 Depth=1
	s_wait_alu 0xfffe
	s_or_b32 exec_lo, exec_lo, s2
	v_add_co_u32 v4, vcc_lo, v74, v34
	s_wait_alu 0xfffd
	v_add_co_ci_u32_e64 v5, null, v75, v35, vcc_lo
	v_add_co_u32 v6, vcc_lo, v76, v34
	s_wait_alu 0xfffd
	v_add_co_ci_u32_e64 v7, null, v77, v35, vcc_lo
	global_load_b64 v[4:5], v[4:5], off
	global_load_b64 v[6:7], v[6:7], off
	v_add_co_u32 v8, vcc_lo, v38, v34
	s_wait_alu 0xfffd
	v_add_co_ci_u32_e64 v9, null, v39, v35, vcc_lo
	v_add_co_u32 v10, vcc_lo, v52, v34
	s_wait_alu 0xfffd
	v_add_co_ci_u32_e64 v11, null, v53, v35, vcc_lo
	global_load_b64 v[8:9], v[8:9], off
	global_load_b64 v[10:11], v[10:11], off
	;; [unrolled: 8-line block ×8, first 2 shown]
	s_wait_loadcnt 0xe
	v_mul_f64_e32 v[4:5], v[4:5], v[6:7]
	ds_bpermute_b32 v6, v1, v2
	ds_bpermute_b32 v7, v1, v3
	s_wait_loadcnt 0xc
	v_mul_f64_e32 v[8:9], v[8:9], v[10:11]
	s_wait_loadcnt 0xa
	v_mul_f64_e32 v[10:11], v[12:13], v[14:15]
	s_wait_dscnt 0x0
	v_fma_f64 v[4:5], v[4:5], v[6:7], v[66:67]
	ds_bpermute_b32 v6, v1, v2 offset:4
	ds_bpermute_b32 v7, v1, v3 offset:4
	s_wait_dscnt 0x0
	v_fma_f64 v[4:5], v[8:9], v[6:7], v[4:5]
	ds_bpermute_b32 v6, v1, v2 offset:8
	ds_bpermute_b32 v7, v1, v3 offset:8
	s_wait_loadcnt 0x8
	v_mul_f64_e32 v[8:9], v[16:17], v[18:19]
	s_wait_dscnt 0x0
	v_fma_f64 v[4:5], v[10:11], v[6:7], v[4:5]
	ds_bpermute_b32 v6, v1, v2 offset:12
	ds_bpermute_b32 v7, v1, v3 offset:12
	s_wait_loadcnt 0x6
	v_mul_f64_e32 v[10:11], v[20:21], v[22:23]
	s_wait_dscnt 0x0
	v_fma_f64 v[4:5], v[8:9], v[6:7], v[4:5]
	ds_bpermute_b32 v6, v1, v2 offset:16
	ds_bpermute_b32 v7, v1, v3 offset:16
	s_wait_loadcnt 0x4
	v_mul_f64_e32 v[8:9], v[24:25], v[26:27]
	s_wait_dscnt 0x0
	v_fma_f64 v[4:5], v[10:11], v[6:7], v[4:5]
	ds_bpermute_b32 v6, v1, v2 offset:20
	ds_bpermute_b32 v7, v1, v3 offset:20
	s_wait_loadcnt 0x2
	v_mul_f64_e32 v[10:11], v[28:29], v[30:31]
	s_wait_dscnt 0x0
	v_fma_f64 v[4:5], v[8:9], v[6:7], v[4:5]
	ds_bpermute_b32 v6, v1, v2 offset:24
	ds_bpermute_b32 v7, v1, v3 offset:24
	;; [unrolled: 1-line block ×4, first 2 shown]
	s_wait_dscnt 0x2
	v_fma_f64 v[4:5], v[10:11], v[6:7], v[4:5]
	s_wait_loadcnt 0x0
	v_mul_f64_e32 v[6:7], v[32:33], v[36:37]
	s_wait_dscnt 0x0
	s_delay_alu instid0(VALU_DEP_1)
	v_fma_f64 v[36:37], v[6:7], v[2:3], v[4:5]
.LBB122_80:                             ;   in Loop: Header=BB122_52 Depth=1
	v_add_co_u32 v74, vcc_lo, v74, s8
	s_wait_alu 0xfffd
	v_add_co_ci_u32_e64 v75, null, s9, v75, vcc_lo
	v_add_co_u32 v76, vcc_lo, v76, s8
	s_wait_alu 0xfffd
	v_add_co_ci_u32_e64 v77, null, s9, v77, vcc_lo
	;; [unrolled: 3-line block ×28, first 2 shown]
	v_add_co_u32 v100, vcc_lo, v100, s8
	s_add_nc_u64 s[22:23], s[22:23], s[20:21]
	s_wait_alu 0xfffd
	v_add_co_ci_u32_e64 v101, null, s9, v101, vcc_lo
	v_add_co_u32 v102, vcc_lo, v102, s8
	s_wait_alu 0xfffe
	v_cmp_ge_i64_e64 s2, s[22:23], s[4:5]
	s_wait_alu 0xfffd
	v_add_co_ci_u32_e64 v103, null, s9, v103, vcc_lo
	v_add_co_u32 v104, vcc_lo, v104, s8
	s_wait_alu 0xfffd
	v_add_co_ci_u32_e64 v105, null, s9, v105, vcc_lo
	s_and_b32 vcc_lo, exec_lo, s2
	s_add_nc_u64 s[10:11], s[10:11], s[20:21]
	s_wait_alu 0xfffe
	s_cbranch_vccnz .LBB122_82
; %bb.81:                               ;   in Loop: Header=BB122_52 Depth=1
	v_dual_mov_b32 v67, v37 :: v_dual_mov_b32 v66, v36
	s_branch .LBB122_52
.LBB122_82:
	s_mov_b32 s2, ttmp9
	s_mov_b32 s3, 0
	s_wait_alu 0xfffe
	s_lshl_b64 s[2:3], s[2:3], 6
	s_wait_kmcnt 0x0
	s_cmp_lg_u64 s[16:17], 0
	s_wait_alu 0xfffe
	v_and_or_b32 v1, 0x3ff, v0, s2
	v_mov_b32_e32 v2, s3
	s_cselect_b32 s2, -1, 0
	s_delay_alu instid0(VALU_DEP_1)
	v_cmp_gt_i64_e32 vcc_lo, s[6:7], v[1:2]
	s_wait_alu 0xfffe
	s_and_b32 s2, vcc_lo, s2
	s_wait_alu 0xfffe
	s_and_saveexec_b32 s3, s2
	s_cbranch_execz .LBB122_84
; %bb.83:
	s_load_u16 s0, s[0:1], 0x4e
	v_bfe_u32 v3, v0, 10, 10
	v_mov_b32_e32 v4, 0
	s_wait_kmcnt 0x0
	s_delay_alu instid0(VALU_DEP_1) | instskip(NEXT) | instid1(VALU_DEP_1)
	v_mad_co_u64_u32 v[3:4], null, s0, ttmp7, v[3:4]
	v_mul_lo_u32 v0, v4, s6
	s_delay_alu instid0(VALU_DEP_2) | instskip(SKIP_1) | instid1(VALU_DEP_1)
	v_mul_lo_u32 v5, v3, s7
	v_mad_co_u64_u32 v[3:4], null, v3, s6, 0
	v_add3_u32 v4, v4, v5, v0
	v_lshlrev_b64_e32 v[0:1], 3, v[1:2]
	s_delay_alu instid0(VALU_DEP_2) | instskip(NEXT) | instid1(VALU_DEP_1)
	v_lshlrev_b64_e32 v[3:4], 3, v[3:4]
	v_add_co_u32 v2, vcc_lo, s16, v3
	s_wait_alu 0xfffd
	s_delay_alu instid0(VALU_DEP_2) | instskip(NEXT) | instid1(VALU_DEP_2)
	v_add_co_ci_u32_e64 v3, null, s17, v4, vcc_lo
	v_add_co_u32 v0, vcc_lo, v2, v0
	s_wait_alu 0xfffd
	s_delay_alu instid0(VALU_DEP_2)
	v_add_co_ci_u32_e64 v1, null, v3, v1, vcc_lo
	global_store_b64 v[0:1], v[36:37], off
.LBB122_84:
	s_nop 0
	s_sendmsg sendmsg(MSG_DEALLOC_VGPRS)
	s_endpgm
	.section	.rodata,"a",@progbits
	.p2align	6, 0x0
	.amdhsa_kernel _ZN2at6native12_GLOBAL__N_135GammaBetaBackwardCUDAKernelTemplateIddLj64ELj1ELj8ELb1ELb0ELb1EEEvllPKT_S5_PKT0_S8_PS3_S9_
		.amdhsa_group_segment_fixed_size 0
		.amdhsa_private_segment_fixed_size 0
		.amdhsa_kernarg_size 320
		.amdhsa_user_sgpr_count 2
		.amdhsa_user_sgpr_dispatch_ptr 0
		.amdhsa_user_sgpr_queue_ptr 0
		.amdhsa_user_sgpr_kernarg_segment_ptr 1
		.amdhsa_user_sgpr_dispatch_id 0
		.amdhsa_user_sgpr_private_segment_size 0
		.amdhsa_wavefront_size32 1
		.amdhsa_uses_dynamic_stack 0
		.amdhsa_enable_private_segment 0
		.amdhsa_system_sgpr_workgroup_id_x 1
		.amdhsa_system_sgpr_workgroup_id_y 1
		.amdhsa_system_sgpr_workgroup_id_z 0
		.amdhsa_system_sgpr_workgroup_info 0
		.amdhsa_system_vgpr_workitem_id 1
		.amdhsa_next_free_vgpr 108
		.amdhsa_next_free_sgpr 32
		.amdhsa_reserve_vcc 1
		.amdhsa_float_round_mode_32 0
		.amdhsa_float_round_mode_16_64 0
		.amdhsa_float_denorm_mode_32 3
		.amdhsa_float_denorm_mode_16_64 3
		.amdhsa_fp16_overflow 0
		.amdhsa_workgroup_processor_mode 1
		.amdhsa_memory_ordered 1
		.amdhsa_forward_progress 1
		.amdhsa_inst_pref_size 74
		.amdhsa_round_robin_scheduling 0
		.amdhsa_exception_fp_ieee_invalid_op 0
		.amdhsa_exception_fp_denorm_src 0
		.amdhsa_exception_fp_ieee_div_zero 0
		.amdhsa_exception_fp_ieee_overflow 0
		.amdhsa_exception_fp_ieee_underflow 0
		.amdhsa_exception_fp_ieee_inexact 0
		.amdhsa_exception_int_div_zero 0
	.end_amdhsa_kernel
	.section	.text._ZN2at6native12_GLOBAL__N_135GammaBetaBackwardCUDAKernelTemplateIddLj64ELj1ELj8ELb1ELb0ELb1EEEvllPKT_S5_PKT0_S8_PS3_S9_,"axG",@progbits,_ZN2at6native12_GLOBAL__N_135GammaBetaBackwardCUDAKernelTemplateIddLj64ELj1ELj8ELb1ELb0ELb1EEEvllPKT_S5_PKT0_S8_PS3_S9_,comdat
.Lfunc_end122:
	.size	_ZN2at6native12_GLOBAL__N_135GammaBetaBackwardCUDAKernelTemplateIddLj64ELj1ELj8ELb1ELb0ELb1EEEvllPKT_S5_PKT0_S8_PS3_S9_, .Lfunc_end122-_ZN2at6native12_GLOBAL__N_135GammaBetaBackwardCUDAKernelTemplateIddLj64ELj1ELj8ELb1ELb0ELb1EEEvllPKT_S5_PKT0_S8_PS3_S9_
                                        ; -- End function
	.set _ZN2at6native12_GLOBAL__N_135GammaBetaBackwardCUDAKernelTemplateIddLj64ELj1ELj8ELb1ELb0ELb1EEEvllPKT_S5_PKT0_S8_PS3_S9_.num_vgpr, 108
	.set _ZN2at6native12_GLOBAL__N_135GammaBetaBackwardCUDAKernelTemplateIddLj64ELj1ELj8ELb1ELb0ELb1EEEvllPKT_S5_PKT0_S8_PS3_S9_.num_agpr, 0
	.set _ZN2at6native12_GLOBAL__N_135GammaBetaBackwardCUDAKernelTemplateIddLj64ELj1ELj8ELb1ELb0ELb1EEEvllPKT_S5_PKT0_S8_PS3_S9_.numbered_sgpr, 32
	.set _ZN2at6native12_GLOBAL__N_135GammaBetaBackwardCUDAKernelTemplateIddLj64ELj1ELj8ELb1ELb0ELb1EEEvllPKT_S5_PKT0_S8_PS3_S9_.num_named_barrier, 0
	.set _ZN2at6native12_GLOBAL__N_135GammaBetaBackwardCUDAKernelTemplateIddLj64ELj1ELj8ELb1ELb0ELb1EEEvllPKT_S5_PKT0_S8_PS3_S9_.private_seg_size, 0
	.set _ZN2at6native12_GLOBAL__N_135GammaBetaBackwardCUDAKernelTemplateIddLj64ELj1ELj8ELb1ELb0ELb1EEEvllPKT_S5_PKT0_S8_PS3_S9_.uses_vcc, 1
	.set _ZN2at6native12_GLOBAL__N_135GammaBetaBackwardCUDAKernelTemplateIddLj64ELj1ELj8ELb1ELb0ELb1EEEvllPKT_S5_PKT0_S8_PS3_S9_.uses_flat_scratch, 0
	.set _ZN2at6native12_GLOBAL__N_135GammaBetaBackwardCUDAKernelTemplateIddLj64ELj1ELj8ELb1ELb0ELb1EEEvllPKT_S5_PKT0_S8_PS3_S9_.has_dyn_sized_stack, 0
	.set _ZN2at6native12_GLOBAL__N_135GammaBetaBackwardCUDAKernelTemplateIddLj64ELj1ELj8ELb1ELb0ELb1EEEvllPKT_S5_PKT0_S8_PS3_S9_.has_recursion, 0
	.set _ZN2at6native12_GLOBAL__N_135GammaBetaBackwardCUDAKernelTemplateIddLj64ELj1ELj8ELb1ELb0ELb1EEEvllPKT_S5_PKT0_S8_PS3_S9_.has_indirect_call, 0
	.section	.AMDGPU.csdata,"",@progbits
; Kernel info:
; codeLenInByte = 9472
; TotalNumSgprs: 34
; NumVgprs: 108
; ScratchSize: 0
; MemoryBound: 1
; FloatMode: 240
; IeeeMode: 1
; LDSByteSize: 0 bytes/workgroup (compile time only)
; SGPRBlocks: 0
; VGPRBlocks: 13
; NumSGPRsForWavesPerEU: 34
; NumVGPRsForWavesPerEU: 108
; Occupancy: 12
; WaveLimiterHint : 0
; COMPUTE_PGM_RSRC2:SCRATCH_EN: 0
; COMPUTE_PGM_RSRC2:USER_SGPR: 2
; COMPUTE_PGM_RSRC2:TRAP_HANDLER: 0
; COMPUTE_PGM_RSRC2:TGID_X_EN: 1
; COMPUTE_PGM_RSRC2:TGID_Y_EN: 1
; COMPUTE_PGM_RSRC2:TGID_Z_EN: 0
; COMPUTE_PGM_RSRC2:TIDIG_COMP_CNT: 1
	.section	.text._ZN2at6native12_GLOBAL__N_135GammaBetaBackwardCUDAKernelTemplateIddLj64ELj8ELj64ELb0ELb1ELb1EEEvllPKT_S5_PKT0_S8_PS3_S9_,"axG",@progbits,_ZN2at6native12_GLOBAL__N_135GammaBetaBackwardCUDAKernelTemplateIddLj64ELj8ELj64ELb0ELb1ELb1EEEvllPKT_S5_PKT0_S8_PS3_S9_,comdat
	.globl	_ZN2at6native12_GLOBAL__N_135GammaBetaBackwardCUDAKernelTemplateIddLj64ELj8ELj64ELb0ELb1ELb1EEEvllPKT_S5_PKT0_S8_PS3_S9_ ; -- Begin function _ZN2at6native12_GLOBAL__N_135GammaBetaBackwardCUDAKernelTemplateIddLj64ELj8ELj64ELb0ELb1ELb1EEEvllPKT_S5_PKT0_S8_PS3_S9_
	.p2align	8
	.type	_ZN2at6native12_GLOBAL__N_135GammaBetaBackwardCUDAKernelTemplateIddLj64ELj8ELj64ELb0ELb1ELb1EEEvllPKT_S5_PKT0_S8_PS3_S9_,@function
_ZN2at6native12_GLOBAL__N_135GammaBetaBackwardCUDAKernelTemplateIddLj64ELj8ELj64ELb0ELb1ELb1EEEvllPKT_S5_PKT0_S8_PS3_S9_: ; @_ZN2at6native12_GLOBAL__N_135GammaBetaBackwardCUDAKernelTemplateIddLj64ELj8ELj64ELb0ELb1ELb1EEEvllPKT_S5_PKT0_S8_PS3_S9_
; %bb.0:
	s_load_b128 s[4:7], s[0:1], 0x0
	s_lshl_b32 s12, ttmp7, 6
	s_mov_b32 s13, 0
	v_bfe_u32 v11, v0, 10, 10
	s_wait_kmcnt 0x0
	v_cmp_gt_i64_e64 s2, s[4:5], s[12:13]
	s_and_b32 vcc_lo, exec_lo, s2
	s_cbranch_vccnz .LBB123_2
; %bb.1:
	v_bfe_u32 v1, v0, 10, 10
	s_mov_b32 s2, s13
	s_branch .LBB123_3
.LBB123_2:
	s_mov_b32 s2, -1
                                        ; implicit-def: $vgpr1
.LBB123_3:
	v_mov_b32_e32 v6, 0
	v_dual_mov_b32 v7, 0 :: v_dual_and_b32 v10, 0x3ff, v0
	s_and_not1_b32 vcc_lo, exec_lo, s2
	s_cbranch_vccnz .LBB123_11
; %bb.4:
	s_load_b32 s2, s[0:1], 0x4c
	v_dual_mov_b32 v1, 0 :: v_dual_lshlrev_b32 v0, 3, v11
	s_clause 0x2
	s_load_b32 s3, s[0:1], 0x44
	s_load_b128 s[8:11], s[0:1], 0x10
	s_load_b64 s[16:17], s[0:1], 0x28
	s_mov_b32 s15, 0
	v_dual_mov_b32 v12, 8 :: v_dual_mov_b32 v13, 4
	v_add_co_u32 v2, s14, v0, s12
	s_delay_alu instid0(VALU_DEP_1) | instskip(SKIP_1) | instid1(VALU_DEP_3)
	v_add_co_ci_u32_e64 v3, null, 0, 0, s14
	v_lshl_add_u32 v0, ttmp9, 6, v10
	v_mul_lo_u32 v8, s7, v2
	v_mad_co_u64_u32 v[4:5], null, s6, v2, 0
	s_delay_alu instid0(VALU_DEP_4)
	v_mul_lo_u32 v9, s6, v3
	v_dual_mov_b32 v14, 12 :: v_dual_mov_b32 v15, 16
	v_dual_mov_b32 v16, 20 :: v_dual_mov_b32 v17, 28
	s_wait_kmcnt 0x0
	s_and_b32 s2, s2, 0xffff
	s_lshl_b32 s14, s3, 6
	v_mad_u32_u24 v6, v11, s2, v10
	s_delay_alu instid0(VALU_DEP_4)
	v_add3_u32 v5, v5, v9, v8
	s_wait_alu 0xfffe
	s_mul_u64 s[18:19], s[6:7], s[14:15]
	s_lshl_b64 s[6:7], s[6:7], 3
	s_lshl_b64 s[18:19], s[18:19], 3
	v_and_b32_e32 v20, 31, v6
	v_lshlrev_b64_e32 v[6:7], 3, v[0:1]
	v_lshlrev_b64_e32 v[4:5], 3, v[4:5]
	v_mov_b32_e32 v0, 24
	s_delay_alu instid0(VALU_DEP_4) | instskip(NEXT) | instid1(VALU_DEP_1)
	v_add_co_u32 v2, vcc_lo, v2, v20
	v_add_co_ci_u32_e64 v3, null, 0, v3, vcc_lo
	s_delay_alu instid0(VALU_DEP_4) | instskip(SKIP_2) | instid1(VALU_DEP_3)
	v_add_co_u32 v18, vcc_lo, v4, v6
	s_wait_alu 0xfffd
	v_add_co_ci_u32_e64 v19, null, v5, v7, vcc_lo
	v_lshlrev_b64_e32 v[8:9], 3, v[2:3]
	v_mov_b32_e32 v6, 0
	v_cmp_gt_u32_e64 s2, 8, v20
	v_mov_b32_e32 v7, 0
	s_delay_alu instid0(VALU_DEP_4)
	v_add_co_u32 v4, vcc_lo, s16, v8
	s_wait_alu 0xfffd
	v_add_co_ci_u32_e64 v5, null, s17, v9, vcc_lo
	s_lshl_b64 s[16:17], s[14:15], 3
	s_branch .LBB123_7
.LBB123_5:                              ;   in Loop: Header=BB123_7 Depth=1
	s_or_b32 exec_lo, exec_lo, s20
.LBB123_6:                              ;   in Loop: Header=BB123_7 Depth=1
	s_wait_alu 0xfffe
	s_or_b32 exec_lo, exec_lo, s3
	v_add_co_u32 v20, vcc_lo, s8, v18
	s_wait_alu 0xfffd
	v_add_co_ci_u32_e64 v21, null, s9, v19, vcc_lo
	v_add_co_u32 v22, vcc_lo, s10, v18
	s_wait_alu 0xfffd
	v_add_co_ci_u32_e64 v23, null, s11, v19, vcc_lo
	global_load_b64 v[24:25], v[20:21], off
	global_load_b64 v[26:27], v[22:23], off
	v_add_co_u32 v20, vcc_lo, v20, s6
	s_wait_alu 0xfffd
	v_add_co_ci_u32_e64 v21, null, s7, v21, vcc_lo
	v_add_co_u32 v22, vcc_lo, v22, s6
	s_wait_alu 0xfffd
	v_add_co_ci_u32_e64 v23, null, s7, v23, vcc_lo
	global_load_b64 v[28:29], v[20:21], off
	global_load_b64 v[30:31], v[22:23], off
	;; [unrolled: 8-line block ×8, first 2 shown]
	v_add_co_u32 v4, vcc_lo, v4, s16
	s_add_nc_u64 s[12:13], s[12:13], s[14:15]
	s_wait_alu 0xfffd
	v_add_co_ci_u32_e64 v5, null, s17, v5, vcc_lo
	v_add_co_u32 v2, vcc_lo, v2, s14
	s_wait_alu 0xfffe
	v_cmp_lt_i64_e64 s3, s[12:13], s[4:5]
	s_wait_alu 0xfffd
	v_add_co_ci_u32_e64 v3, null, 0, v3, vcc_lo
	v_add_co_u32 v18, vcc_lo, v18, s18
	s_wait_alu 0xfffd
	v_add_co_ci_u32_e64 v19, null, s19, v19, vcc_lo
	s_and_b32 vcc_lo, exec_lo, s3
	s_wait_loadcnt 0xe
	v_mul_f64_e32 v[24:25], v[24:25], v[26:27]
	ds_bpermute_b32 v26, v1, v8
	ds_bpermute_b32 v27, v1, v9
	s_wait_loadcnt 0xc
	v_mul_f64_e32 v[28:29], v[28:29], v[30:31]
	s_wait_dscnt 0x0
	v_fma_f64 v[6:7], v[24:25], v[26:27], v[6:7]
	ds_bpermute_b32 v24, v13, v8
	ds_bpermute_b32 v25, v13, v9
	s_wait_loadcnt 0xa
	v_mul_f64_e32 v[26:27], v[32:33], v[34:35]
	s_wait_dscnt 0x0
	v_fma_f64 v[6:7], v[28:29], v[24:25], v[6:7]
	ds_bpermute_b32 v24, v12, v8
	ds_bpermute_b32 v25, v12, v9
	s_wait_loadcnt 0x8
	v_mul_f64_e32 v[28:29], v[36:37], v[38:39]
	s_wait_loadcnt 0x0
	v_mul_f64_e32 v[20:21], v[20:21], v[22:23]
	s_wait_dscnt 0x0
	v_fma_f64 v[6:7], v[26:27], v[24:25], v[6:7]
	ds_bpermute_b32 v24, v14, v8
	ds_bpermute_b32 v25, v14, v9
	v_mul_f64_e32 v[26:27], v[40:41], v[42:43]
	s_wait_dscnt 0x0
	v_fma_f64 v[6:7], v[28:29], v[24:25], v[6:7]
	ds_bpermute_b32 v24, v15, v8
	ds_bpermute_b32 v25, v15, v9
	v_mul_f64_e32 v[28:29], v[44:45], v[46:47]
	s_wait_dscnt 0x0
	v_fma_f64 v[6:7], v[26:27], v[24:25], v[6:7]
	ds_bpermute_b32 v24, v16, v8
	ds_bpermute_b32 v25, v16, v9
	v_mul_f64_e32 v[26:27], v[48:49], v[50:51]
	s_wait_dscnt 0x0
	v_fma_f64 v[6:7], v[28:29], v[24:25], v[6:7]
	ds_bpermute_b32 v24, v0, v8
	ds_bpermute_b32 v25, v0, v9
	ds_bpermute_b32 v8, v17, v8
	ds_bpermute_b32 v9, v17, v9
	s_wait_dscnt 0x2
	v_fma_f64 v[6:7], v[26:27], v[24:25], v[6:7]
	s_wait_dscnt 0x0
	s_delay_alu instid0(VALU_DEP_1)
	v_fma_f64 v[6:7], v[20:21], v[8:9], v[6:7]
	s_wait_alu 0xfffe
	s_cbranch_vccz .LBB123_10
.LBB123_7:                              ; =>This Inner Loop Header: Depth=1
	v_mov_b32_e32 v8, 0
	v_mov_b32_e32 v9, 0
	s_and_saveexec_b32 s3, s2
	s_cbranch_execz .LBB123_6
; %bb.8:                                ;   in Loop: Header=BB123_7 Depth=1
	v_mov_b32_e32 v8, 0
	v_mov_b32_e32 v9, 0
	s_mov_b32 s20, exec_lo
	v_cmpx_gt_i64_e64 s[4:5], v[2:3]
	s_cbranch_execz .LBB123_5
; %bb.9:                                ;   in Loop: Header=BB123_7 Depth=1
	global_load_b64 v[8:9], v[4:5], off
	s_branch .LBB123_5
.LBB123_10:
	v_mov_b32_e32 v1, v11
.LBB123_11:
	s_load_b64 s[2:3], s[0:1], 0x30
	s_delay_alu instid0(VALU_DEP_1) | instskip(SKIP_2) | instid1(VALU_DEP_2)
	v_mad_u32_u24 v0, 0x41, v1, v10
	v_mov_b32_e32 v3, 0
	s_mov_b32 s0, exec_lo
	v_lshl_add_u32 v5, v0, 3, 0
	v_sub_nc_u32_e32 v2, v0, v1
	s_delay_alu instid0(VALU_DEP_3)
	v_mov_b32_e32 v4, v3
	ds_store_b64 v5, v[6:7]
	ds_store_b64 v5, v[3:4] offset:4160
	s_wait_dscnt 0x0
	s_barrier_signal -1
	s_barrier_wait -1
	global_inv scope:SCOPE_SE
	v_cmpx_gt_u32_e32 0x800, v2
	s_cbranch_execz .LBB123_31
; %bb.12:
	v_and_b32_e32 v0, 31, v10
	v_lshrrev_b32_e32 v1, 5, v2
	s_delay_alu instid0(VALU_DEP_2) | instskip(SKIP_1) | instid1(VALU_DEP_3)
	v_cmp_gt_u32_e32 vcc_lo, 8, v0
	v_mul_u32_u24_e32 v3, 0x41, v0
	v_lshlrev_b32_e32 v4, 3, v1
                                        ; implicit-def: $vgpr0_vgpr1
	s_and_saveexec_b32 s0, vcc_lo
; %bb.13:
	s_delay_alu instid0(VALU_DEP_2) | instskip(NEXT) | instid1(VALU_DEP_1)
	v_lshlrev_b32_e32 v0, 3, v3
	v_add3_u32 v0, 0, v4, v0
	ds_load_b64 v[0:1], v0
; %bb.14:
	s_wait_alu 0xfffe
	s_or_b32 exec_lo, exec_lo, s0
	v_mbcnt_lo_u32_b32 v9, -1, 0
	s_mov_b32 s4, ttmp9
	s_wait_kmcnt 0x0
	s_cmp_lg_u64 s[2:3], 0
	s_mov_b32 s5, 0
	s_cselect_b32 s1, -1, 0
	v_xor_b32_e32 v5, 4, v9
	s_wait_alu 0xfffe
	s_lshl_b64 s[4:5], s[4:5], 9
	s_wait_alu 0xfffe
	s_add_nc_u64 s[2:3], s[2:3], s[4:5]
	v_cmp_gt_i32_e64 s0, 32, v5
	s_wait_alu 0xf1ff
	s_delay_alu instid0(VALU_DEP_1) | instskip(NEXT) | instid1(VALU_DEP_1)
	v_cndmask_b32_e64 v5, v9, v5, s0
	v_lshlrev_b32_e32 v5, 2, v5
	s_wait_dscnt 0x0
	ds_bpermute_b32 v6, v5, v0
	ds_bpermute_b32 v7, v5, v1
	s_wait_dscnt 0x0
	v_add_f64_e32 v[0:1], v[0:1], v[6:7]
	v_xor_b32_e32 v6, 2, v9
	s_delay_alu instid0(VALU_DEP_1) | instskip(SKIP_1) | instid1(VALU_DEP_1)
	v_cmp_gt_i32_e64 s0, 32, v6
	s_wait_alu 0xf1ff
	v_cndmask_b32_e64 v6, v9, v6, s0
	s_delay_alu instid0(VALU_DEP_1)
	v_lshlrev_b32_e32 v6, 2, v6
	ds_bpermute_b32 v7, v6, v0
	ds_bpermute_b32 v8, v6, v1
	s_wait_dscnt 0x0
	v_add_f64_e32 v[0:1], v[0:1], v[7:8]
	v_xor_b32_e32 v7, 1, v9
	s_delay_alu instid0(VALU_DEP_1) | instskip(SKIP_1) | instid1(VALU_DEP_1)
	v_cmp_gt_i32_e64 s0, 32, v7
	s_wait_alu 0xf1ff
	v_cndmask_b32_e64 v7, v9, v7, s0
	v_cmp_eq_u32_e64 s0, 0, v10
	s_delay_alu instid0(VALU_DEP_2)
	v_lshlrev_b32_e32 v7, 2, v7
	s_and_b32 s1, s0, s1
	ds_bpermute_b32 v8, v7, v0
	ds_bpermute_b32 v9, v7, v1
	s_wait_dscnt 0x0
	v_add_f64_e32 v[0:1], v[0:1], v[8:9]
	s_wait_alu 0xfffe
	s_and_saveexec_b32 s0, s1
	s_cbranch_execz .LBB123_16
; %bb.15:
	global_store_b64 v4, v[0:1], s[2:3]
.LBB123_16:
	s_wait_alu 0xfffe
	s_or_b32 exec_lo, exec_lo, s0
	v_cmp_gt_u32_e64 s0, 0x600, v2
	s_and_b32 exec_lo, exec_lo, s0
	s_cbranch_execz .LBB123_31
; %bb.17:
	s_and_saveexec_b32 s0, vcc_lo
; %bb.18:
	v_lshlrev_b32_e32 v0, 3, v3
	s_delay_alu instid0(VALU_DEP_1)
	v_add3_u32 v0, 0, v4, v0
	ds_load_b64 v[0:1], v0 offset:128
; %bb.19:
	s_wait_alu 0xfffe
	s_or_b32 exec_lo, exec_lo, s0
	s_wait_dscnt 0x0
	ds_bpermute_b32 v8, v5, v0
	ds_bpermute_b32 v9, v5, v1
	s_wait_dscnt 0x0
	v_add_f64_e32 v[0:1], v[0:1], v[8:9]
	ds_bpermute_b32 v8, v6, v0
	ds_bpermute_b32 v9, v6, v1
	s_wait_dscnt 0x0
	v_add_f64_e32 v[0:1], v[0:1], v[8:9]
	;; [unrolled: 4-line block ×3, first 2 shown]
	s_and_saveexec_b32 s0, s1
	s_cbranch_execz .LBB123_21
; %bb.20:
	global_store_b64 v4, v[0:1], s[2:3] offset:128
.LBB123_21:
	s_wait_alu 0xfffe
	s_or_b32 exec_lo, exec_lo, s0
	v_cmp_gt_u32_e64 s0, 0x400, v2
	s_and_b32 exec_lo, exec_lo, s0
	s_cbranch_execz .LBB123_31
; %bb.22:
	s_and_saveexec_b32 s0, vcc_lo
; %bb.23:
	v_lshlrev_b32_e32 v0, 3, v3
	s_delay_alu instid0(VALU_DEP_1)
	v_add3_u32 v0, 0, v4, v0
	ds_load_b64 v[0:1], v0 offset:256
; %bb.24:
	s_wait_alu 0xfffe
	s_or_b32 exec_lo, exec_lo, s0
	s_wait_dscnt 0x0
	ds_bpermute_b32 v8, v5, v0
	ds_bpermute_b32 v9, v5, v1
	s_wait_dscnt 0x0
	v_add_f64_e32 v[0:1], v[0:1], v[8:9]
	ds_bpermute_b32 v8, v6, v0
	ds_bpermute_b32 v9, v6, v1
	s_wait_dscnt 0x0
	v_add_f64_e32 v[0:1], v[0:1], v[8:9]
	;; [unrolled: 4-line block ×3, first 2 shown]
	s_and_saveexec_b32 s0, s1
	s_cbranch_execz .LBB123_26
; %bb.25:
	global_store_b64 v4, v[0:1], s[2:3] offset:256
.LBB123_26:
	s_wait_alu 0xfffe
	s_or_b32 exec_lo, exec_lo, s0
	v_cmp_gt_u32_e64 s0, 0x200, v2
	s_and_b32 exec_lo, exec_lo, s0
	s_cbranch_execz .LBB123_31
; %bb.27:
	s_and_saveexec_b32 s0, vcc_lo
; %bb.28:
	v_lshlrev_b32_e32 v0, 3, v3
	s_delay_alu instid0(VALU_DEP_1)
	v_add3_u32 v0, 0, v4, v0
	ds_load_b64 v[0:1], v0 offset:384
; %bb.29:
	s_wait_alu 0xfffe
	s_or_b32 exec_lo, exec_lo, s0
	s_wait_dscnt 0x0
	ds_bpermute_b32 v2, v5, v0
	ds_bpermute_b32 v3, v5, v1
	s_wait_dscnt 0x0
	v_add_f64_e32 v[0:1], v[0:1], v[2:3]
	ds_bpermute_b32 v2, v6, v0
	ds_bpermute_b32 v3, v6, v1
	s_wait_dscnt 0x0
	v_add_f64_e32 v[0:1], v[0:1], v[2:3]
	ds_bpermute_b32 v2, v7, v0
	ds_bpermute_b32 v3, v7, v1
	s_and_saveexec_b32 s0, s1
	s_wait_alu 0xfffe
	s_xor_b32 s0, exec_lo, s0
	s_cbranch_execz .LBB123_31
; %bb.30:
	s_wait_dscnt 0x0
	v_add_f64_e32 v[0:1], v[0:1], v[2:3]
	global_store_b64 v4, v[0:1], s[2:3] offset:384
.LBB123_31:
	s_endpgm
	.section	.rodata,"a",@progbits
	.p2align	6, 0x0
	.amdhsa_kernel _ZN2at6native12_GLOBAL__N_135GammaBetaBackwardCUDAKernelTemplateIddLj64ELj8ELj64ELb0ELb1ELb1EEEvllPKT_S5_PKT0_S8_PS3_S9_
		.amdhsa_group_segment_fixed_size 0
		.amdhsa_private_segment_fixed_size 0
		.amdhsa_kernarg_size 320
		.amdhsa_user_sgpr_count 2
		.amdhsa_user_sgpr_dispatch_ptr 0
		.amdhsa_user_sgpr_queue_ptr 0
		.amdhsa_user_sgpr_kernarg_segment_ptr 1
		.amdhsa_user_sgpr_dispatch_id 0
		.amdhsa_user_sgpr_private_segment_size 0
		.amdhsa_wavefront_size32 1
		.amdhsa_uses_dynamic_stack 0
		.amdhsa_enable_private_segment 0
		.amdhsa_system_sgpr_workgroup_id_x 1
		.amdhsa_system_sgpr_workgroup_id_y 1
		.amdhsa_system_sgpr_workgroup_id_z 0
		.amdhsa_system_sgpr_workgroup_info 0
		.amdhsa_system_vgpr_workitem_id 1
		.amdhsa_next_free_vgpr 52
		.amdhsa_next_free_sgpr 21
		.amdhsa_reserve_vcc 1
		.amdhsa_float_round_mode_32 0
		.amdhsa_float_round_mode_16_64 0
		.amdhsa_float_denorm_mode_32 3
		.amdhsa_float_denorm_mode_16_64 3
		.amdhsa_fp16_overflow 0
		.amdhsa_workgroup_processor_mode 1
		.amdhsa_memory_ordered 1
		.amdhsa_forward_progress 1
		.amdhsa_inst_pref_size 18
		.amdhsa_round_robin_scheduling 0
		.amdhsa_exception_fp_ieee_invalid_op 0
		.amdhsa_exception_fp_denorm_src 0
		.amdhsa_exception_fp_ieee_div_zero 0
		.amdhsa_exception_fp_ieee_overflow 0
		.amdhsa_exception_fp_ieee_underflow 0
		.amdhsa_exception_fp_ieee_inexact 0
		.amdhsa_exception_int_div_zero 0
	.end_amdhsa_kernel
	.section	.text._ZN2at6native12_GLOBAL__N_135GammaBetaBackwardCUDAKernelTemplateIddLj64ELj8ELj64ELb0ELb1ELb1EEEvllPKT_S5_PKT0_S8_PS3_S9_,"axG",@progbits,_ZN2at6native12_GLOBAL__N_135GammaBetaBackwardCUDAKernelTemplateIddLj64ELj8ELj64ELb0ELb1ELb1EEEvllPKT_S5_PKT0_S8_PS3_S9_,comdat
.Lfunc_end123:
	.size	_ZN2at6native12_GLOBAL__N_135GammaBetaBackwardCUDAKernelTemplateIddLj64ELj8ELj64ELb0ELb1ELb1EEEvllPKT_S5_PKT0_S8_PS3_S9_, .Lfunc_end123-_ZN2at6native12_GLOBAL__N_135GammaBetaBackwardCUDAKernelTemplateIddLj64ELj8ELj64ELb0ELb1ELb1EEEvllPKT_S5_PKT0_S8_PS3_S9_
                                        ; -- End function
	.set _ZN2at6native12_GLOBAL__N_135GammaBetaBackwardCUDAKernelTemplateIddLj64ELj8ELj64ELb0ELb1ELb1EEEvllPKT_S5_PKT0_S8_PS3_S9_.num_vgpr, 52
	.set _ZN2at6native12_GLOBAL__N_135GammaBetaBackwardCUDAKernelTemplateIddLj64ELj8ELj64ELb0ELb1ELb1EEEvllPKT_S5_PKT0_S8_PS3_S9_.num_agpr, 0
	.set _ZN2at6native12_GLOBAL__N_135GammaBetaBackwardCUDAKernelTemplateIddLj64ELj8ELj64ELb0ELb1ELb1EEEvllPKT_S5_PKT0_S8_PS3_S9_.numbered_sgpr, 21
	.set _ZN2at6native12_GLOBAL__N_135GammaBetaBackwardCUDAKernelTemplateIddLj64ELj8ELj64ELb0ELb1ELb1EEEvllPKT_S5_PKT0_S8_PS3_S9_.num_named_barrier, 0
	.set _ZN2at6native12_GLOBAL__N_135GammaBetaBackwardCUDAKernelTemplateIddLj64ELj8ELj64ELb0ELb1ELb1EEEvllPKT_S5_PKT0_S8_PS3_S9_.private_seg_size, 0
	.set _ZN2at6native12_GLOBAL__N_135GammaBetaBackwardCUDAKernelTemplateIddLj64ELj8ELj64ELb0ELb1ELb1EEEvllPKT_S5_PKT0_S8_PS3_S9_.uses_vcc, 1
	.set _ZN2at6native12_GLOBAL__N_135GammaBetaBackwardCUDAKernelTemplateIddLj64ELj8ELj64ELb0ELb1ELb1EEEvllPKT_S5_PKT0_S8_PS3_S9_.uses_flat_scratch, 0
	.set _ZN2at6native12_GLOBAL__N_135GammaBetaBackwardCUDAKernelTemplateIddLj64ELj8ELj64ELb0ELb1ELb1EEEvllPKT_S5_PKT0_S8_PS3_S9_.has_dyn_sized_stack, 0
	.set _ZN2at6native12_GLOBAL__N_135GammaBetaBackwardCUDAKernelTemplateIddLj64ELj8ELj64ELb0ELb1ELb1EEEvllPKT_S5_PKT0_S8_PS3_S9_.has_recursion, 0
	.set _ZN2at6native12_GLOBAL__N_135GammaBetaBackwardCUDAKernelTemplateIddLj64ELj8ELj64ELb0ELb1ELb1EEEvllPKT_S5_PKT0_S8_PS3_S9_.has_indirect_call, 0
	.section	.AMDGPU.csdata,"",@progbits
; Kernel info:
; codeLenInByte = 2252
; TotalNumSgprs: 23
; NumVgprs: 52
; ScratchSize: 0
; MemoryBound: 0
; FloatMode: 240
; IeeeMode: 1
; LDSByteSize: 0 bytes/workgroup (compile time only)
; SGPRBlocks: 0
; VGPRBlocks: 6
; NumSGPRsForWavesPerEU: 23
; NumVGPRsForWavesPerEU: 52
; Occupancy: 16
; WaveLimiterHint : 0
; COMPUTE_PGM_RSRC2:SCRATCH_EN: 0
; COMPUTE_PGM_RSRC2:USER_SGPR: 2
; COMPUTE_PGM_RSRC2:TRAP_HANDLER: 0
; COMPUTE_PGM_RSRC2:TGID_X_EN: 1
; COMPUTE_PGM_RSRC2:TGID_Y_EN: 1
; COMPUTE_PGM_RSRC2:TGID_Z_EN: 0
; COMPUTE_PGM_RSRC2:TIDIG_COMP_CNT: 1
	.section	.text._ZN2at6native12_GLOBAL__N_135GammaBetaBackwardCUDAKernelTemplateIddLj64ELj8ELj64ELb0ELb0ELb1EEEvllPKT_S5_PKT0_S8_PS3_S9_,"axG",@progbits,_ZN2at6native12_GLOBAL__N_135GammaBetaBackwardCUDAKernelTemplateIddLj64ELj8ELj64ELb0ELb0ELb1EEEvllPKT_S5_PKT0_S8_PS3_S9_,comdat
	.globl	_ZN2at6native12_GLOBAL__N_135GammaBetaBackwardCUDAKernelTemplateIddLj64ELj8ELj64ELb0ELb0ELb1EEEvllPKT_S5_PKT0_S8_PS3_S9_ ; -- Begin function _ZN2at6native12_GLOBAL__N_135GammaBetaBackwardCUDAKernelTemplateIddLj64ELj8ELj64ELb0ELb0ELb1EEEvllPKT_S5_PKT0_S8_PS3_S9_
	.p2align	8
	.type	_ZN2at6native12_GLOBAL__N_135GammaBetaBackwardCUDAKernelTemplateIddLj64ELj8ELj64ELb0ELb0ELb1EEEvllPKT_S5_PKT0_S8_PS3_S9_,@function
_ZN2at6native12_GLOBAL__N_135GammaBetaBackwardCUDAKernelTemplateIddLj64ELj8ELj64ELb0ELb0ELb1EEEvllPKT_S5_PKT0_S8_PS3_S9_: ; @_ZN2at6native12_GLOBAL__N_135GammaBetaBackwardCUDAKernelTemplateIddLj64ELj8ELj64ELb0ELb0ELb1EEEvllPKT_S5_PKT0_S8_PS3_S9_
; %bb.0:
	s_clause 0x1
	s_load_b256 s[4:11], s[0:1], 0x0
	s_load_b64 s[12:13], s[0:1], 0x28
	s_lshl_b32 s28, ttmp9, 6
	s_mov_b32 s15, 0
	s_or_b32 s14, s28, 63
	s_wait_kmcnt 0x0
	v_cmp_le_i64_e64 s2, s[6:7], s[14:15]
	s_lshl_b32 s14, ttmp7, 6
	s_wait_alu 0xfffe
	v_cmp_gt_i64_e64 s29, s[4:5], s[14:15]
	s_and_b32 vcc_lo, exec_lo, s2
	v_cndmask_b32_e64 v1, 0, 1, s29
	s_delay_alu instid0(VALU_DEP_1)
	v_cmp_ne_u32_e64 s2, 1, v1
	s_cbranch_vccz .LBB124_48
; %bb.1:
	v_mov_b32_e32 v36, 0
	v_mov_b32_e32 v37, 0
	s_and_b32 vcc_lo, exec_lo, s2
	s_cbranch_vccnz .LBB124_49
; %bb.2:
	v_bfe_u32 v42, v0, 10, 10
	v_dual_mov_b32 v1, 0 :: v_dual_and_b32 v44, 0x3ff, v0
	s_load_b32 s3, s[0:1], 0x44
	s_mov_b32 s17, 0
	s_delay_alu instid0(VALU_DEP_2) | instskip(NEXT) | instid1(VALU_DEP_2)
	v_dual_mov_b32 v36, 0 :: v_dual_lshlrev_b32 v43, 3, v42
	v_dual_mov_b32 v3, v1 :: v_dual_add_nc_u32 v2, s28, v44
	s_mov_b32 s21, s17
	s_delay_alu instid0(VALU_DEP_2) | instskip(NEXT) | instid1(VALU_DEP_1)
	v_add_co_u32 v10, s2, v43, s14
	v_add_co_ci_u32_e64 v11, null, 0, 0, s2
	s_delay_alu instid0(VALU_DEP_3) | instskip(NEXT) | instid1(VALU_DEP_3)
	v_cmp_gt_i64_e64 s2, s[6:7], v[2:3]
	v_mul_lo_u32 v6, s7, v10
	v_mad_co_u64_u32 v[4:5], null, s6, v10, 0
	s_delay_alu instid0(VALU_DEP_4) | instskip(SKIP_1) | instid1(VALU_DEP_1)
	v_mul_lo_u32 v7, s6, v11
	v_add_co_u32 v8, vcc_lo, v10, 7
	v_add_co_ci_u32_e64 v9, null, 0, v11, vcc_lo
	v_lshlrev_b64_e32 v[34:35], 3, v[2:3]
	s_delay_alu instid0(VALU_DEP_3)
	v_mul_lo_u32 v12, s7, v8
	s_wait_kmcnt 0x0
	s_lshl_b32 s20, s3, 6
	v_add3_u32 v5, v5, v7, v6
	v_mad_co_u64_u32 v[6:7], null, s6, v8, 0
	v_add_co_u32 v8, vcc_lo, v10, 6
	v_mul_lo_u32 v13, s6, v9
	s_wait_alu 0xfffd
	v_add_co_ci_u32_e64 v9, null, 0, v11, vcc_lo
	v_lshlrev_b64_e32 v[2:3], 3, v[4:5]
	v_mul_lo_u32 v14, s7, v8
	v_mov_b32_e32 v37, 0
	s_delay_alu instid0(VALU_DEP_4)
	v_mul_lo_u32 v15, s6, v9
	v_mad_co_u64_u32 v[8:9], null, s6, v8, 0
	v_add_co_u32 v45, vcc_lo, s8, v2
	s_wait_alu 0xfffd
	v_add_co_ci_u32_e64 v46, null, s9, v3, vcc_lo
	v_add_co_u32 v47, vcc_lo, s10, v2
	v_add3_u32 v7, v7, v13, v12
	s_wait_alu 0xfffd
	v_add_co_ci_u32_e64 v48, null, s11, v3, vcc_lo
	v_add_co_u32 v12, vcc_lo, v10, 5
	v_add3_u32 v9, v9, v15, v14
	s_wait_alu 0xfffd
	v_add_co_ci_u32_e64 v13, null, 0, v11, vcc_lo
	v_lshlrev_b64_e32 v[2:3], 3, v[6:7]
	v_mul_lo_u32 v14, s7, v12
	v_lshlrev_b64_e32 v[6:7], 3, v[8:9]
	s_delay_alu instid0(VALU_DEP_4)
	v_mul_lo_u32 v13, s6, v13
	v_mad_co_u64_u32 v[8:9], null, s6, v12, 0
	v_add_co_u32 v49, vcc_lo, s8, v2
	s_wait_alu 0xfffd
	v_add_co_ci_u32_e64 v50, null, s9, v3, vcc_lo
	v_add_co_u32 v51, vcc_lo, s10, v2
	s_wait_alu 0xfffd
	v_add_co_ci_u32_e64 v52, null, s11, v3, vcc_lo
	v_add_co_u32 v53, vcc_lo, s8, v6
	v_add3_u32 v9, v9, v13, v14
	s_wait_alu 0xfffd
	v_add_co_ci_u32_e64 v54, null, s9, v7, vcc_lo
	v_add_co_u32 v12, vcc_lo, v10, 4
	v_add_co_u32 v55, s3, s10, v6
	s_wait_alu 0xfffd
	v_add_co_ci_u32_e64 v6, null, 0, v11, vcc_lo
	v_lshlrev_b64_e32 v[2:3], 3, v[8:9]
	v_add_co_u32 v8, vcc_lo, v10, 3
	s_wait_alu 0xfffd
	v_add_co_ci_u32_e64 v9, null, 0, v11, vcc_lo
	s_wait_alu 0xf1ff
	v_add_co_ci_u32_e64 v56, null, s11, v7, s3
	v_mul_lo_u32 v13, s7, v12
	v_mul_lo_u32 v14, s6, v6
	v_mad_co_u64_u32 v[6:7], null, s6, v12, 0
	v_mul_lo_u32 v12, s7, v8
	v_mul_lo_u32 v15, s6, v9
	v_mad_co_u64_u32 v[8:9], null, s6, v8, 0
	v_add_co_u32 v57, vcc_lo, s8, v2
	s_wait_alu 0xfffd
	v_add_co_ci_u32_e64 v58, null, s9, v3, vcc_lo
	v_add3_u32 v7, v7, v14, v13
	v_add_co_u32 v59, vcc_lo, s10, v2
	s_wait_alu 0xfffd
	v_add_co_ci_u32_e64 v60, null, s11, v3, vcc_lo
	v_add_co_u32 v10, vcc_lo, v10, 2
	v_add3_u32 v9, v9, v15, v12
	s_wait_alu 0xfffd
	v_add_co_ci_u32_e64 v11, null, 0, v11, vcc_lo
	v_lshlrev_b64_e32 v[2:3], 3, v[6:7]
	v_mul_lo_u32 v12, s7, v10
	v_lshlrev_b64_e32 v[6:7], 3, v[8:9]
	s_delay_alu instid0(VALU_DEP_4)
	v_mul_lo_u32 v11, s6, v11
	v_mad_co_u64_u32 v[8:9], null, s6, v10, 0
	v_add_co_u32 v61, vcc_lo, s8, v2
	s_wait_alu 0xfffd
	v_add_co_ci_u32_e64 v62, null, s9, v3, vcc_lo
	v_add_co_u32 v63, vcc_lo, s10, v2
	s_wait_alu 0xfffd
	v_add_co_ci_u32_e64 v64, null, s11, v3, vcc_lo
	;; [unrolled: 3-line block ×3, first 2 shown]
	v_add3_u32 v9, v9, v11, v12
	v_add_co_u32 v67, vcc_lo, s10, v6
	s_wait_alu 0xfffd
	v_add_co_ci_u32_e64 v68, null, s11, v7, vcc_lo
	v_add_co_u32 v4, vcc_lo, v4, s6
	s_wait_alu 0xfffd
	v_add_co_ci_u32_e64 v5, null, s7, v5, vcc_lo
	v_lshlrev_b64_e32 v[2:3], 3, v[8:9]
	s_mul_u64 s[22:23], s[6:7], s[20:21]
	s_add_nc_u64 s[18:19], s[0:1], 64
	s_delay_alu instid0(VALU_DEP_2)
	v_lshlrev_b64_e32 v[4:5], 3, v[4:5]
	s_lshl_b64 s[22:23], s[22:23], 3
	s_add_nc_u64 s[24:25], s[14:15], 63
	v_add_co_u32 v69, vcc_lo, s8, v2
	s_wait_alu 0xfffd
	v_add_co_ci_u32_e64 v70, null, s9, v3, vcc_lo
	v_add_co_u32 v71, vcc_lo, s10, v2
	s_wait_alu 0xfffd
	v_add_co_ci_u32_e64 v72, null, s11, v3, vcc_lo
	;; [unrolled: 3-line block ×4, first 2 shown]
	s_mov_b64 s[26:27], s[14:15]
	s_branch .LBB124_5
.LBB124_3:                              ;   in Loop: Header=BB124_5 Depth=1
	s_wait_alu 0xfffe
	s_or_b32 exec_lo, exec_lo, s3
	s_wait_loadcnt 0x0
	v_mul_f64_e32 v[2:3], v[18:19], v[2:3]
	ds_bpermute_b32 v18, v1, v38
	ds_bpermute_b32 v19, v1, v39
	v_mul_f64_e32 v[4:5], v[20:21], v[4:5]
	v_mul_f64_e32 v[6:7], v[22:23], v[6:7]
	;; [unrolled: 1-line block ×3, first 2 shown]
	s_wait_dscnt 0x0
	v_fma_f64 v[2:3], v[2:3], v[18:19], v[36:37]
	ds_bpermute_b32 v18, v1, v38 offset:4
	ds_bpermute_b32 v19, v1, v39 offset:4
	s_wait_dscnt 0x0
	v_fma_f64 v[2:3], v[4:5], v[18:19], v[2:3]
	ds_bpermute_b32 v4, v1, v38 offset:8
	ds_bpermute_b32 v5, v1, v39 offset:8
	;; [unrolled: 4-line block ×3, first 2 shown]
	v_mul_f64_e32 v[6:7], v[26:27], v[10:11]
	s_wait_dscnt 0x0
	v_fma_f64 v[2:3], v[8:9], v[4:5], v[2:3]
	ds_bpermute_b32 v4, v1, v38 offset:16
	ds_bpermute_b32 v5, v1, v39 offset:16
	v_mul_f64_e32 v[8:9], v[28:29], v[12:13]
	s_wait_dscnt 0x0
	v_fma_f64 v[2:3], v[6:7], v[4:5], v[2:3]
	ds_bpermute_b32 v4, v1, v38 offset:20
	ds_bpermute_b32 v5, v1, v39 offset:20
	;; [unrolled: 1-line block ×4, first 2 shown]
	s_wait_dscnt 0x2
	v_fma_f64 v[2:3], v[8:9], v[4:5], v[2:3]
	v_mul_f64_e32 v[4:5], v[30:31], v[14:15]
	s_wait_dscnt 0x0
	s_delay_alu instid0(VALU_DEP_1)
	v_fma_f64 v[40:41], v[4:5], v[6:7], v[2:3]
	ds_bpermute_b32 v2, v1, v38 offset:28
	ds_bpermute_b32 v3, v1, v39 offset:28
.LBB124_4:                              ;   in Loop: Header=BB124_5 Depth=1
	v_mul_f64_e32 v[4:5], v[16:17], v[32:33]
	v_add_co_u32 v45, vcc_lo, v45, s22
	s_wait_alu 0xfffd
	v_add_co_ci_u32_e64 v46, null, s23, v46, vcc_lo
	v_add_co_u32 v47, vcc_lo, v47, s22
	s_wait_alu 0xfffd
	v_add_co_ci_u32_e64 v48, null, s23, v48, vcc_lo
	;; [unrolled: 3-line block ×9, first 2 shown]
	v_add_co_u32 v63, vcc_lo, v63, s22
	s_wait_dscnt 0x0
	v_fma_f64 v[36:37], v[4:5], v[2:3], v[40:41]
	s_wait_alu 0xfffd
	v_add_co_ci_u32_e64 v64, null, s23, v64, vcc_lo
	v_add_co_u32 v65, vcc_lo, v65, s22
	s_wait_alu 0xfffd
	v_add_co_ci_u32_e64 v66, null, s23, v66, vcc_lo
	v_add_co_u32 v67, vcc_lo, v67, s22
	;; [unrolled: 3-line block ×4, first 2 shown]
	s_add_nc_u64 s[26:27], s[26:27], s[20:21]
	s_wait_alu 0xfffd
	v_add_co_ci_u32_e64 v72, null, s23, v72, vcc_lo
	v_add_co_u32 v73, vcc_lo, v73, s22
	s_wait_alu 0xfffe
	v_cmp_lt_i64_e64 s3, s[26:27], s[4:5]
	s_wait_alu 0xfffd
	v_add_co_ci_u32_e64 v74, null, s23, v74, vcc_lo
	v_add_co_u32 v75, vcc_lo, v75, s22
	s_wait_alu 0xfffd
	v_add_co_ci_u32_e64 v76, null, s23, v76, vcc_lo
	s_and_b32 vcc_lo, exec_lo, s3
	s_add_nc_u64 s[24:25], s[24:25], s[20:21]
	s_wait_alu 0xfffe
	s_cbranch_vccz .LBB124_49
.LBB124_5:                              ; =>This Inner Loop Header: Depth=1
	v_cmp_ge_i64_e64 s3, s[24:25], s[4:5]
	v_add_co_u32 v77, s16, v43, s24
	s_wait_alu 0xf1ff
	v_add_co_ci_u32_e64 v78, null, 0, s25, s16
                                        ; implicit-def: $vgpr2_vgpr3_vgpr4_vgpr5_vgpr6_vgpr7_vgpr8_vgpr9_vgpr10_vgpr11_vgpr12_vgpr13_vgpr14_vgpr15_vgpr16_vgpr17
                                        ; implicit-def: $vgpr40_vgpr41
                                        ; implicit-def: $vgpr18_vgpr19_vgpr20_vgpr21_vgpr22_vgpr23_vgpr24_vgpr25_vgpr26_vgpr27_vgpr28_vgpr29_vgpr30_vgpr31_vgpr32_vgpr33
                                        ; implicit-def: $vgpr2
	s_and_b32 vcc_lo, exec_lo, s3
	s_mov_b32 s3, -1
	s_wait_alu 0xfffe
	s_cbranch_vccz .LBB124_27
; %bb.6:                                ;   in Loop: Header=BB124_5 Depth=1
	s_load_b32 s3, s[18:19], 0xc
	v_mov_b32_e32 v38, 0
	v_mov_b32_e32 v39, 0
	s_wait_kmcnt 0x0
	s_and_b32 s3, s3, 0xffff
	s_wait_alu 0xfffe
	v_mad_u32_u24 v2, v42, s3, v44
	s_mov_b32 s3, exec_lo
	s_delay_alu instid0(VALU_DEP_1) | instskip(NEXT) | instid1(VALU_DEP_1)
	v_and_b32_e32 v2, 31, v2
	v_cmpx_gt_u32_e32 8, v2
	s_cbranch_execz .LBB124_10
; %bb.7:                                ;   in Loop: Header=BB124_5 Depth=1
	v_add_co_u32 v2, vcc_lo, v77, v2
	s_wait_alu 0xfffd
	v_add_co_ci_u32_e64 v3, null, 0, v78, vcc_lo
	v_mov_b32_e32 v38, 0
	s_delay_alu instid0(VALU_DEP_3) | instskip(SKIP_1) | instid1(VALU_DEP_3)
	v_add_co_u32 v2, vcc_lo, 0xffffffc1, v2
	s_wait_alu 0xfffd
	v_add_co_ci_u32_e64 v3, null, -1, v3, vcc_lo
	v_mov_b32_e32 v39, 0
	s_mov_b32 s16, exec_lo
	s_delay_alu instid0(VALU_DEP_2)
	v_cmpx_gt_i64_e64 s[4:5], v[2:3]
	s_cbranch_execz .LBB124_9
; %bb.8:                                ;   in Loop: Header=BB124_5 Depth=1
	v_lshlrev_b64_e32 v[2:3], 3, v[2:3]
	s_delay_alu instid0(VALU_DEP_1) | instskip(SKIP_1) | instid1(VALU_DEP_2)
	v_add_co_u32 v2, vcc_lo, s12, v2
	s_wait_alu 0xfffd
	v_add_co_ci_u32_e64 v3, null, s13, v3, vcc_lo
	global_load_b64 v[38:39], v[2:3], off
.LBB124_9:                              ;   in Loop: Header=BB124_5 Depth=1
	s_wait_alu 0xfffe
	s_or_b32 exec_lo, exec_lo, s16
.LBB124_10:                             ;   in Loop: Header=BB124_5 Depth=1
	s_wait_alu 0xfffe
	s_or_b32 exec_lo, exec_lo, s3
	v_add_co_u32 v17, vcc_lo, 0xffffffc1, v77
	s_wait_alu 0xfffd
	v_add_co_ci_u32_e64 v18, null, -1, v78, vcc_lo
	v_mov_b32_e32 v16, v1
	v_dual_mov_b32 v2, v1 :: v_dual_mov_b32 v3, v1
	v_dual_mov_b32 v4, v1 :: v_dual_mov_b32 v5, v1
	;; [unrolled: 1-line block ×7, first 2 shown]
	v_cmp_gt_i64_e32 vcc_lo, s[4:5], v[17:18]
	s_delay_alu instid0(VALU_DEP_3) | instskip(NEXT) | instid1(VALU_DEP_3)
	v_dual_mov_b32 v33, v16 :: v_dual_mov_b32 v30, v13
	v_dual_mov_b32 v31, v14 :: v_dual_mov_b32 v32, v15
	;; [unrolled: 1-line block ×8, first 2 shown]
	v_mov_b32_e32 v17, v16
	v_mov_b32_e32 v16, v15
	v_mov_b32_e32 v15, v14
	v_mov_b32_e32 v14, v13
	v_mov_b32_e32 v13, v12
	v_mov_b32_e32 v12, v11
	v_mov_b32_e32 v11, v10
	v_mov_b32_e32 v10, v9
	v_mov_b32_e32 v9, v8
	v_mov_b32_e32 v8, v7
	v_mov_b32_e32 v7, v6
	v_mov_b32_e32 v6, v5
	v_mov_b32_e32 v5, v4
	v_mov_b32_e32 v4, v3
	v_mov_b32_e32 v3, v2
	v_mov_b32_e32 v2, v1
	s_and_b32 s16, s2, vcc_lo
	s_wait_alu 0xfffe
	s_and_saveexec_b32 s3, s16
	s_cbranch_execz .LBB124_12
; %bb.11:                               ;   in Loop: Header=BB124_5 Depth=1
	v_add_co_u32 v2, vcc_lo, v45, v34
	s_wait_alu 0xfffd
	v_add_co_ci_u32_e64 v3, null, v46, v35, vcc_lo
	v_add_co_u32 v4, vcc_lo, v47, v34
	s_wait_alu 0xfffd
	v_add_co_ci_u32_e64 v5, null, v48, v35, vcc_lo
	global_load_b64 v[2:3], v[2:3], off
	global_load_b64 v[18:19], v[4:5], off
	v_dual_mov_b32 v4, v1 :: v_dual_mov_b32 v5, v1
	v_dual_mov_b32 v6, v1 :: v_dual_mov_b32 v7, v1
	;; [unrolled: 1-line block ×14, first 2 shown]
.LBB124_12:                             ;   in Loop: Header=BB124_5 Depth=1
	s_wait_alu 0xfffe
	s_or_b32 exec_lo, exec_lo, s3
	v_add_co_u32 v40, vcc_lo, 0xffffffc2, v77
	s_wait_alu 0xfffd
	v_add_co_ci_u32_e64 v41, null, -1, v78, vcc_lo
	s_delay_alu instid0(VALU_DEP_1)
	v_cmp_gt_i64_e32 vcc_lo, s[4:5], v[40:41]
	s_and_b32 s16, s2, vcc_lo
	s_wait_alu 0xfffe
	s_and_saveexec_b32 s3, s16
	s_cbranch_execz .LBB124_14
; %bb.13:                               ;   in Loop: Header=BB124_5 Depth=1
	v_add_co_u32 v4, vcc_lo, v73, v34
	s_wait_alu 0xfffd
	v_add_co_ci_u32_e64 v5, null, v74, v35, vcc_lo
	v_add_co_u32 v20, vcc_lo, v75, v34
	s_wait_alu 0xfffd
	v_add_co_ci_u32_e64 v21, null, v76, v35, vcc_lo
	global_load_b64 v[4:5], v[4:5], off
	global_load_b64 v[20:21], v[20:21], off
.LBB124_14:                             ;   in Loop: Header=BB124_5 Depth=1
	s_wait_alu 0xfffe
	s_or_b32 exec_lo, exec_lo, s3
	v_add_co_u32 v40, vcc_lo, 0xffffffc3, v77
	s_wait_alu 0xfffd
	v_add_co_ci_u32_e64 v41, null, -1, v78, vcc_lo
	s_delay_alu instid0(VALU_DEP_1)
	v_cmp_gt_i64_e32 vcc_lo, s[4:5], v[40:41]
	s_and_b32 s16, s2, vcc_lo
	s_wait_alu 0xfffe
	s_and_saveexec_b32 s3, s16
	s_cbranch_execz .LBB124_16
; %bb.15:                               ;   in Loop: Header=BB124_5 Depth=1
	v_add_co_u32 v6, vcc_lo, v69, v34
	s_wait_alu 0xfffd
	v_add_co_ci_u32_e64 v7, null, v70, v35, vcc_lo
	v_add_co_u32 v22, vcc_lo, v71, v34
	s_wait_alu 0xfffd
	v_add_co_ci_u32_e64 v23, null, v72, v35, vcc_lo
	global_load_b64 v[6:7], v[6:7], off
	global_load_b64 v[22:23], v[22:23], off
.LBB124_16:                             ;   in Loop: Header=BB124_5 Depth=1
	;; [unrolled: 21-line block ×7, first 2 shown]
	s_wait_alu 0xfffe
	s_or_b32 exec_lo, exec_lo, s3
	s_wait_loadcnt 0x0
	v_mul_f64_e32 v[2:3], v[18:19], v[2:3]
	ds_bpermute_b32 v18, v1, v38
	ds_bpermute_b32 v19, v1, v39
	v_mul_f64_e32 v[4:5], v[20:21], v[4:5]
	v_mul_f64_e32 v[6:7], v[22:23], v[6:7]
	;; [unrolled: 1-line block ×3, first 2 shown]
	s_mov_b32 s3, 0
	s_wait_dscnt 0x0
	v_fma_f64 v[2:3], v[2:3], v[18:19], v[36:37]
	ds_bpermute_b32 v18, v1, v38 offset:4
	ds_bpermute_b32 v19, v1, v39 offset:4
	s_wait_dscnt 0x0
	v_fma_f64 v[2:3], v[4:5], v[18:19], v[2:3]
	ds_bpermute_b32 v4, v1, v38 offset:8
	ds_bpermute_b32 v5, v1, v39 offset:8
	;; [unrolled: 4-line block ×3, first 2 shown]
	v_mul_f64_e32 v[6:7], v[26:27], v[10:11]
	s_wait_dscnt 0x0
	v_fma_f64 v[2:3], v[8:9], v[4:5], v[2:3]
	ds_bpermute_b32 v4, v1, v38 offset:16
	ds_bpermute_b32 v5, v1, v39 offset:16
	v_mul_f64_e32 v[8:9], v[28:29], v[12:13]
	s_wait_dscnt 0x0
	v_fma_f64 v[2:3], v[6:7], v[4:5], v[2:3]
	ds_bpermute_b32 v4, v1, v38 offset:20
	ds_bpermute_b32 v5, v1, v39 offset:20
	;; [unrolled: 1-line block ×4, first 2 shown]
	s_wait_dscnt 0x2
	v_fma_f64 v[2:3], v[8:9], v[4:5], v[2:3]
	v_mul_f64_e32 v[4:5], v[30:31], v[14:15]
	s_wait_dscnt 0x0
	s_delay_alu instid0(VALU_DEP_1)
	v_fma_f64 v[40:41], v[4:5], v[6:7], v[2:3]
	ds_bpermute_b32 v2, v1, v38 offset:28
	ds_bpermute_b32 v3, v1, v39 offset:28
.LBB124_27:                             ;   in Loop: Header=BB124_5 Depth=1
	s_wait_alu 0xfffe
	s_and_b32 vcc_lo, exec_lo, s3
	s_wait_alu 0xfffe
	s_cbranch_vccz .LBB124_4
; %bb.28:                               ;   in Loop: Header=BB124_5 Depth=1
	s_load_b32 s3, s[18:19], 0x0
	v_mov_b32_e32 v38, 0
	v_mov_b32_e32 v39, 0
	s_wait_kmcnt 0x0
	s_cmp_lt_u32 ttmp9, s3
	s_cselect_b32 s16, 12, 18
	s_wait_alu 0xfffe
	s_add_nc_u64 s[30:31], s[18:19], s[16:17]
	s_load_u16 s3, s[30:31], 0x0
	s_wait_dscnt 0x1
	s_wait_kmcnt 0x0
	v_mad_u32_u24 v2, v42, s3, v44
	s_mov_b32 s3, exec_lo
	s_delay_alu instid0(VALU_DEP_1) | instskip(NEXT) | instid1(VALU_DEP_1)
	v_and_b32_e32 v2, 31, v2
	v_cmpx_gt_u32_e32 8, v2
	s_cbranch_execz .LBB124_32
; %bb.29:                               ;   in Loop: Header=BB124_5 Depth=1
	v_add_co_u32 v2, vcc_lo, v77, v2
	s_wait_dscnt 0x0
	s_wait_alu 0xfffd
	v_add_co_ci_u32_e64 v3, null, 0, v78, vcc_lo
	v_mov_b32_e32 v38, 0
	v_add_co_u32 v2, vcc_lo, 0xffffffc1, v2
	s_wait_alu 0xfffd
	s_delay_alu instid0(VALU_DEP_3) | instskip(SKIP_2) | instid1(VALU_DEP_2)
	v_add_co_ci_u32_e64 v3, null, -1, v3, vcc_lo
	v_mov_b32_e32 v39, 0
	s_mov_b32 s16, exec_lo
	v_cmpx_gt_i64_e64 s[4:5], v[2:3]
	s_cbranch_execz .LBB124_31
; %bb.30:                               ;   in Loop: Header=BB124_5 Depth=1
	v_lshlrev_b64_e32 v[2:3], 3, v[2:3]
	s_delay_alu instid0(VALU_DEP_1) | instskip(SKIP_1) | instid1(VALU_DEP_2)
	v_add_co_u32 v2, vcc_lo, s12, v2
	s_wait_alu 0xfffd
	v_add_co_ci_u32_e64 v3, null, s13, v3, vcc_lo
	global_load_b64 v[38:39], v[2:3], off
.LBB124_31:                             ;   in Loop: Header=BB124_5 Depth=1
	s_wait_alu 0xfffe
	s_or_b32 exec_lo, exec_lo, s16
.LBB124_32:                             ;   in Loop: Header=BB124_5 Depth=1
	s_wait_alu 0xfffe
	s_or_b32 exec_lo, exec_lo, s3
	v_mov_b32_e32 v16, v1
	s_wait_dscnt 0x0
	v_dual_mov_b32 v2, v1 :: v_dual_mov_b32 v3, v1
	v_dual_mov_b32 v4, v1 :: v_dual_mov_b32 v5, v1
	;; [unrolled: 1-line block ×7, first 2 shown]
	v_mov_b32_e32 v33, v16
	s_delay_alu instid0(VALU_DEP_3) | instskip(NEXT) | instid1(VALU_DEP_3)
	v_dual_mov_b32 v29, v12 :: v_dual_mov_b32 v28, v11
	v_dual_mov_b32 v31, v14 :: v_dual_mov_b32 v30, v13
	s_delay_alu instid0(VALU_DEP_4)
	v_dual_mov_b32 v32, v15 :: v_dual_mov_b32 v27, v10
	v_dual_mov_b32 v26, v9 :: v_dual_mov_b32 v25, v8
	;; [unrolled: 1-line block ×6, first 2 shown]
	v_mov_b32_e32 v16, v15
	v_mov_b32_e32 v15, v14
	v_mov_b32_e32 v14, v13
	v_mov_b32_e32 v13, v12
	v_mov_b32_e32 v12, v11
	v_mov_b32_e32 v11, v10
	v_mov_b32_e32 v10, v9
	v_mov_b32_e32 v9, v8
	v_mov_b32_e32 v8, v7
	v_mov_b32_e32 v7, v6
	v_mov_b32_e32 v6, v5
	v_mov_b32_e32 v5, v4
	v_mov_b32_e32 v4, v3
	v_mov_b32_e32 v3, v2
	v_mov_b32_e32 v2, v1
	s_and_saveexec_b32 s3, s2
	s_cbranch_execnz .LBB124_40
; %bb.33:                               ;   in Loop: Header=BB124_5 Depth=1
	s_wait_alu 0xfffe
	s_or_b32 exec_lo, exec_lo, s3
	s_and_saveexec_b32 s3, s2
	s_cbranch_execnz .LBB124_41
.LBB124_34:                             ;   in Loop: Header=BB124_5 Depth=1
	s_wait_alu 0xfffe
	s_or_b32 exec_lo, exec_lo, s3
	s_and_saveexec_b32 s3, s2
	s_cbranch_execnz .LBB124_42
.LBB124_35:                             ;   in Loop: Header=BB124_5 Depth=1
	s_wait_alu 0xfffe
	s_or_b32 exec_lo, exec_lo, s3
	s_and_saveexec_b32 s3, s2
	s_cbranch_execnz .LBB124_43
.LBB124_36:                             ;   in Loop: Header=BB124_5 Depth=1
	s_wait_alu 0xfffe
	s_or_b32 exec_lo, exec_lo, s3
	s_and_saveexec_b32 s3, s2
	s_cbranch_execnz .LBB124_44
.LBB124_37:                             ;   in Loop: Header=BB124_5 Depth=1
	s_wait_alu 0xfffe
	s_or_b32 exec_lo, exec_lo, s3
	s_and_saveexec_b32 s3, s2
	s_cbranch_execnz .LBB124_45
.LBB124_38:                             ;   in Loop: Header=BB124_5 Depth=1
	s_wait_alu 0xfffe
	s_or_b32 exec_lo, exec_lo, s3
	s_and_saveexec_b32 s3, s2
	s_cbranch_execnz .LBB124_46
.LBB124_39:                             ;   in Loop: Header=BB124_5 Depth=1
	s_wait_alu 0xfffe
	s_or_b32 exec_lo, exec_lo, s3
	s_and_saveexec_b32 s3, s2
	s_cbranch_execz .LBB124_3
	s_branch .LBB124_47
.LBB124_40:                             ;   in Loop: Header=BB124_5 Depth=1
	v_add_co_u32 v2, vcc_lo, v45, v34
	s_wait_alu 0xfffd
	v_add_co_ci_u32_e64 v3, null, v46, v35, vcc_lo
	v_add_co_u32 v4, vcc_lo, v47, v34
	s_wait_alu 0xfffd
	v_add_co_ci_u32_e64 v5, null, v48, v35, vcc_lo
	global_load_b64 v[2:3], v[2:3], off
	global_load_b64 v[18:19], v[4:5], off
	v_dual_mov_b32 v4, v1 :: v_dual_mov_b32 v5, v1
	v_dual_mov_b32 v6, v1 :: v_dual_mov_b32 v7, v1
	;; [unrolled: 1-line block ×14, first 2 shown]
	s_wait_alu 0xfffe
	s_or_b32 exec_lo, exec_lo, s3
	s_and_saveexec_b32 s3, s2
	s_cbranch_execz .LBB124_34
.LBB124_41:                             ;   in Loop: Header=BB124_5 Depth=1
	v_add_co_u32 v4, vcc_lo, v73, v34
	s_wait_alu 0xfffd
	v_add_co_ci_u32_e64 v5, null, v74, v35, vcc_lo
	v_add_co_u32 v20, vcc_lo, v75, v34
	s_wait_alu 0xfffd
	v_add_co_ci_u32_e64 v21, null, v76, v35, vcc_lo
	global_load_b64 v[4:5], v[4:5], off
	global_load_b64 v[20:21], v[20:21], off
	s_wait_alu 0xfffe
	s_or_b32 exec_lo, exec_lo, s3
	s_and_saveexec_b32 s3, s2
	s_cbranch_execz .LBB124_35
.LBB124_42:                             ;   in Loop: Header=BB124_5 Depth=1
	v_add_co_u32 v6, vcc_lo, v69, v34
	s_wait_alu 0xfffd
	v_add_co_ci_u32_e64 v7, null, v70, v35, vcc_lo
	v_add_co_u32 v22, vcc_lo, v71, v34
	s_wait_alu 0xfffd
	v_add_co_ci_u32_e64 v23, null, v72, v35, vcc_lo
	global_load_b64 v[6:7], v[6:7], off
	global_load_b64 v[22:23], v[22:23], off
	s_wait_alu 0xfffe
	s_or_b32 exec_lo, exec_lo, s3
	s_and_saveexec_b32 s3, s2
	s_cbranch_execz .LBB124_36
.LBB124_43:                             ;   in Loop: Header=BB124_5 Depth=1
	v_add_co_u32 v8, vcc_lo, v65, v34
	s_wait_alu 0xfffd
	v_add_co_ci_u32_e64 v9, null, v66, v35, vcc_lo
	v_add_co_u32 v24, vcc_lo, v67, v34
	s_wait_alu 0xfffd
	v_add_co_ci_u32_e64 v25, null, v68, v35, vcc_lo
	global_load_b64 v[8:9], v[8:9], off
	global_load_b64 v[24:25], v[24:25], off
	s_wait_alu 0xfffe
	s_or_b32 exec_lo, exec_lo, s3
	s_and_saveexec_b32 s3, s2
	s_cbranch_execz .LBB124_37
.LBB124_44:                             ;   in Loop: Header=BB124_5 Depth=1
	v_add_co_u32 v10, vcc_lo, v61, v34
	s_wait_alu 0xfffd
	v_add_co_ci_u32_e64 v11, null, v62, v35, vcc_lo
	v_add_co_u32 v26, vcc_lo, v63, v34
	s_wait_alu 0xfffd
	v_add_co_ci_u32_e64 v27, null, v64, v35, vcc_lo
	global_load_b64 v[10:11], v[10:11], off
	global_load_b64 v[26:27], v[26:27], off
	s_wait_alu 0xfffe
	s_or_b32 exec_lo, exec_lo, s3
	s_and_saveexec_b32 s3, s2
	s_cbranch_execz .LBB124_38
.LBB124_45:                             ;   in Loop: Header=BB124_5 Depth=1
	v_add_co_u32 v12, vcc_lo, v57, v34
	s_wait_alu 0xfffd
	v_add_co_ci_u32_e64 v13, null, v58, v35, vcc_lo
	v_add_co_u32 v28, vcc_lo, v59, v34
	s_wait_alu 0xfffd
	v_add_co_ci_u32_e64 v29, null, v60, v35, vcc_lo
	global_load_b64 v[12:13], v[12:13], off
	global_load_b64 v[28:29], v[28:29], off
	s_wait_alu 0xfffe
	s_or_b32 exec_lo, exec_lo, s3
	s_and_saveexec_b32 s3, s2
	s_cbranch_execz .LBB124_39
.LBB124_46:                             ;   in Loop: Header=BB124_5 Depth=1
	v_add_co_u32 v14, vcc_lo, v53, v34
	s_wait_alu 0xfffd
	v_add_co_ci_u32_e64 v15, null, v54, v35, vcc_lo
	v_add_co_u32 v30, vcc_lo, v55, v34
	s_wait_alu 0xfffd
	v_add_co_ci_u32_e64 v31, null, v56, v35, vcc_lo
	global_load_b64 v[14:15], v[14:15], off
	global_load_b64 v[30:31], v[30:31], off
	s_wait_alu 0xfffe
	s_or_b32 exec_lo, exec_lo, s3
	s_and_saveexec_b32 s3, s2
	s_cbranch_execz .LBB124_3
.LBB124_47:                             ;   in Loop: Header=BB124_5 Depth=1
	v_add_co_u32 v16, vcc_lo, v49, v34
	s_wait_alu 0xfffd
	v_add_co_ci_u32_e64 v17, null, v50, v35, vcc_lo
	v_add_co_u32 v32, vcc_lo, v51, v34
	s_wait_alu 0xfffd
	v_add_co_ci_u32_e64 v33, null, v52, v35, vcc_lo
	global_load_b64 v[16:17], v[16:17], off
	global_load_b64 v[32:33], v[32:33], off
	s_branch .LBB124_3
.LBB124_48:
                                        ; implicit-def: $vgpr36_vgpr37
	s_branch .LBB124_50
.LBB124_49:
	s_cbranch_execnz .LBB124_82
.LBB124_50:
	v_mov_b32_e32 v36, 0
	v_mov_b32_e32 v37, 0
	s_and_not1_b32 vcc_lo, exec_lo, s29
	s_wait_alu 0xfffe
	s_cbranch_vccnz .LBB124_82
; %bb.51:
	v_bfe_u32 v68, v0, 10, 10
	v_dual_mov_b32 v1, 0 :: v_dual_and_b32 v70, 0x3ff, v0
	s_lshl_b64 s[18:19], s[14:15], 3
	s_mov_b32 s3, 0
	s_delay_alu instid0(VALU_DEP_2) | instskip(SKIP_2) | instid1(VALU_DEP_3)
	v_dual_mov_b32 v66, 0 :: v_dual_lshlrev_b32 v69, 3, v68
	v_dual_mov_b32 v67, 0 :: v_dual_lshlrev_b32 v8, 6, v68
	v_dual_mov_b32 v5, v1 :: v_dual_add_nc_u32 v4, s28, v70
	v_add_co_u32 v10, s2, v69, s14
	s_wait_alu 0xf1ff
	v_add_co_ci_u32_e64 v11, null, 0, 0, s2
	s_delay_alu instid0(VALU_DEP_3) | instskip(NEXT) | instid1(VALU_DEP_3)
	v_lshlrev_b64_e32 v[34:35], 3, v[4:5]
	v_mul_lo_u32 v6, s7, v10
	v_mad_co_u64_u32 v[2:3], null, s6, v10, 0
	s_delay_alu instid0(VALU_DEP_4) | instskip(SKIP_2) | instid1(VALU_DEP_1)
	v_mul_lo_u32 v7, s6, v11
	s_load_b32 s2, s[0:1], 0x44
	s_mov_b32 s17, s3
	v_add3_u32 v3, v3, v7, v6
	v_add_co_u32 v6, s16, v8, s18
	s_wait_alu 0xf1ff
	v_add_co_ci_u32_e64 v7, null, 0, s19, s16
	s_delay_alu instid0(VALU_DEP_3) | instskip(NEXT) | instid1(VALU_DEP_3)
	v_lshlrev_b64_e32 v[4:5], 3, v[2:3]
	v_add_co_u32 v8, vcc_lo, v6, 8
	s_wait_alu 0xfffd
	s_delay_alu instid0(VALU_DEP_3) | instskip(NEXT) | instid1(VALU_DEP_3)
	v_add_co_ci_u32_e64 v9, null, 0, v7, vcc_lo
	v_add_co_u32 v71, vcc_lo, s8, v4
	s_wait_alu 0xfffd
	v_add_co_ci_u32_e64 v72, null, s9, v5, vcc_lo
	v_add_co_u32 v73, vcc_lo, s10, v4
	s_wait_alu 0xfffd
	;; [unrolled: 3-line block ×5, first 2 shown]
	v_add_co_ci_u32_e64 v18, null, 0, v7, vcc_lo
	v_add_co_u32 v19, vcc_lo, v6, 40
	v_mad_co_u64_u32 v[40:41], null, s6, v4, s[8:9]
	v_mul_lo_u32 v5, s6, v5
	v_mul_lo_u32 v15, s7, v4
	v_mad_co_u64_u32 v[54:55], null, s6, v4, s[10:11]
	s_wait_alu 0xfffd
	v_add_co_ci_u32_e64 v20, null, 0, v7, vcc_lo
	v_add_co_u32 v22, vcc_lo, v6, 48
	s_wait_alu 0xfffd
	v_add_co_ci_u32_e64 v24, null, 0, v7, vcc_lo
	v_add_co_u32 v6, vcc_lo, v6, 56
	v_mad_co_u64_u32 v[38:39], null, s6, v8, s[8:9]
	v_mul_lo_u32 v9, s6, v9
	v_mul_lo_u32 v12, s7, v8
	v_mad_co_u64_u32 v[52:53], null, s6, v8, s[10:11]
	s_wait_alu 0xfffd
	v_add_co_ci_u32_e64 v7, null, 0, v7, vcc_lo
	v_add_co_u32 v4, vcc_lo, v10, 7
	v_add3_u32 v41, v15, v41, v5
	v_add3_u32 v55, v15, v55, v5
	s_wait_alu 0xfffd
	v_add_co_ci_u32_e64 v5, null, 0, v11, vcc_lo
	v_mul_lo_u32 v26, s6, v7
	v_add_co_u32 v7, vcc_lo, v10, 6
	v_add3_u32 v39, v12, v39, v9
	v_add3_u32 v53, v12, v53, v9
	s_wait_alu 0xfffd
	v_add_co_ci_u32_e64 v12, null, 0, v11, vcc_lo
	v_mul_lo_u32 v8, s7, v4
	v_mul_lo_u32 v9, s6, v5
	v_mad_co_u64_u32 v[4:5], null, s6, v4, 0
	v_mad_co_u64_u32 v[42:43], null, s6, v13, s[8:9]
	v_mul_lo_u32 v17, s7, v13
	v_mad_co_u64_u32 v[50:51], null, s6, v6, s[8:9]
	v_mul_lo_u32 v27, s7, v6
	v_mad_co_u64_u32 v[56:57], null, s6, v13, s[10:11]
	v_mad_co_u64_u32 v[64:65], null, s6, v6, s[10:11]
	v_mul_lo_u32 v13, s7, v7
	v_mul_lo_u32 v12, s6, v12
	v_mad_co_u64_u32 v[6:7], null, s6, v7, 0
	v_add3_u32 v5, v5, v9, v8
	v_add_co_u32 v8, vcc_lo, v10, 5
	s_wait_alu 0xfffd
	v_add_co_ci_u32_e64 v9, null, 0, v11, vcc_lo
	s_delay_alu instid0(VALU_DEP_3) | instskip(SKIP_2) | instid1(VALU_DEP_4)
	v_lshlrev_b64_e32 v[4:5], 3, v[4:5]
	v_add3_u32 v7, v7, v12, v13
	v_mul_lo_u32 v12, s7, v8
	v_mul_lo_u32 v13, s6, v9
	v_mad_co_u64_u32 v[8:9], null, s6, v8, 0
	s_delay_alu instid0(VALU_DEP_4)
	v_lshlrev_b64_e32 v[6:7], 3, v[6:7]
	v_add_co_u32 v75, vcc_lo, s8, v4
	s_wait_alu 0xfffd
	v_add_co_ci_u32_e64 v76, null, s9, v5, vcc_lo
	v_add_co_u32 v77, vcc_lo, s10, v4
	s_wait_alu 0xfffd
	v_add_co_ci_u32_e64 v78, null, s11, v5, vcc_lo
	v_add_co_u32 v79, vcc_lo, s8, v6
	v_mul_lo_u32 v14, s6, v14
	v_add3_u32 v9, v9, v13, v12
	s_wait_alu 0xfffd
	v_add_co_ci_u32_e64 v80, null, s9, v7, vcc_lo
	v_add_co_u32 v12, vcc_lo, v10, 4
	s_wait_kmcnt 0x0
	s_lshl_b32 s16, s2, 6
	v_add_co_u32 v81, s2, s10, v6
	s_wait_alu 0xfffd
	v_add_co_ci_u32_e64 v6, null, 0, v11, vcc_lo
	v_lshlrev_b64_e32 v[4:5], 3, v[8:9]
	v_add_co_u32 v8, vcc_lo, v10, 3
	s_wait_alu 0xfffd
	v_add_co_ci_u32_e64 v9, null, 0, v11, vcc_lo
	v_add3_u32 v43, v17, v43, v14
	v_add3_u32 v57, v17, v57, v14
	s_wait_alu 0xf1ff
	v_add_co_ci_u32_e64 v82, null, s11, v7, s2
	v_mul_lo_u32 v13, s7, v12
	v_mul_lo_u32 v14, s6, v6
	v_mad_co_u64_u32 v[6:7], null, s6, v12, 0
	v_mul_lo_u32 v12, s7, v8
	v_mul_lo_u32 v15, s6, v9
	v_mad_co_u64_u32 v[8:9], null, s6, v8, 0
	v_add_co_u32 v83, vcc_lo, s8, v4
	s_wait_alu 0xfffd
	v_add_co_ci_u32_e64 v84, null, s9, v5, vcc_lo
	v_add3_u32 v7, v7, v14, v13
	v_add_co_u32 v85, vcc_lo, s10, v4
	s_wait_alu 0xfffd
	v_add_co_ci_u32_e64 v86, null, s11, v5, vcc_lo
	v_add_co_u32 v10, vcc_lo, v10, 2
	v_add3_u32 v9, v9, v15, v12
	s_wait_alu 0xfffd
	v_add_co_ci_u32_e64 v11, null, 0, v11, vcc_lo
	v_lshlrev_b64_e32 v[4:5], 3, v[6:7]
	v_mul_lo_u32 v12, s7, v10
	v_lshlrev_b64_e32 v[6:7], 3, v[8:9]
	s_delay_alu instid0(VALU_DEP_4)
	v_mul_lo_u32 v11, s6, v11
	v_mad_co_u64_u32 v[8:9], null, s6, v10, 0
	v_add_co_u32 v87, vcc_lo, s8, v4
	s_wait_alu 0xfffd
	v_add_co_ci_u32_e64 v88, null, s9, v5, vcc_lo
	v_add_co_u32 v89, vcc_lo, s10, v4
	s_wait_alu 0xfffd
	v_add_co_ci_u32_e64 v90, null, s11, v5, vcc_lo
	;; [unrolled: 3-line block ×3, first 2 shown]
	v_add3_u32 v9, v9, v11, v12
	v_add_co_u32 v93, vcc_lo, s10, v6
	s_wait_alu 0xfffd
	v_add_co_ci_u32_e64 v94, null, s11, v7, vcc_lo
	v_add_co_u32 v2, vcc_lo, v2, s6
	s_wait_alu 0xfffd
	v_add_co_ci_u32_e64 v3, null, s7, v3, vcc_lo
	v_lshlrev_b64_e32 v[4:5], 3, v[8:9]
	v_mad_co_u64_u32 v[44:45], null, s6, v16, s[8:9]
	s_delay_alu instid0(VALU_DEP_3)
	v_lshlrev_b64_e32 v[2:3], 3, v[2:3]
	v_mul_lo_u32 v18, s6, v18
	v_mul_lo_u32 v21, s7, v16
	v_mad_co_u64_u32 v[46:47], null, s6, v19, s[8:9]
	v_mul_lo_u32 v20, s6, v20
	v_mul_lo_u32 v23, s7, v19
	v_mad_co_u64_u32 v[48:49], null, s6, v22, s[8:9]
	;; [unrolled: 3-line block ×3, first 2 shown]
	v_mad_co_u64_u32 v[60:61], null, s6, v19, s[10:11]
	v_mad_co_u64_u32 v[62:63], null, s6, v22, s[10:11]
	v_add_co_u32 v95, vcc_lo, s8, v4
	s_wait_alu 0xfffd
	v_add_co_ci_u32_e64 v96, null, s9, v5, vcc_lo
	v_add_co_u32 v97, vcc_lo, s10, v4
	s_wait_alu 0xfffd
	v_add_co_ci_u32_e64 v98, null, s11, v5, vcc_lo
	;; [unrolled: 3-line block ×3, first 2 shown]
	v_add_co_u32 v101, vcc_lo, s10, v2
	v_add3_u32 v45, v21, v45, v18
	v_add3_u32 v47, v23, v47, v20
	;; [unrolled: 1-line block ×8, first 2 shown]
	s_wait_alu 0xfffd
	v_add_co_ci_u32_e64 v102, null, s11, v3, vcc_lo
	s_wait_alu 0xfffe
	s_mul_u64 s[18:19], s[6:7], s[16:17]
	s_add_nc_u64 s[8:9], s[0:1], 64
	s_wait_alu 0xfffe
	s_lshl_b64 s[10:11], s[18:19], 3
	s_add_nc_u64 s[18:19], s[14:15], 63
.LBB124_52:                             ; =>This Inner Loop Header: Depth=1
	s_wait_alu 0xfffe
	v_cmp_ge_i64_e64 s2, s[18:19], s[4:5]
	v_add_co_u32 v103, s20, v69, s18
	s_wait_alu 0xf1ff
	v_add_co_ci_u32_e64 v104, null, 0, s19, s20
                                        ; implicit-def: $vgpr36_vgpr37
	s_and_b32 vcc_lo, exec_lo, s2
	s_mov_b32 s2, -1
	s_wait_alu 0xfffe
	s_cbranch_vccz .LBB124_74
; %bb.53:                               ;   in Loop: Header=BB124_52 Depth=1
	s_load_b32 s2, s[8:9], 0xc
	v_mov_b32_e32 v36, 0
	v_mov_b32_e32 v37, 0
	s_wait_kmcnt 0x0
	s_and_b32 s2, s2, 0xffff
	s_wait_alu 0xfffe
	v_mad_u32_u24 v2, v68, s2, v70
	s_mov_b32 s2, exec_lo
	s_delay_alu instid0(VALU_DEP_1) | instskip(NEXT) | instid1(VALU_DEP_1)
	v_and_b32_e32 v2, 31, v2
	v_cmpx_gt_u32_e32 8, v2
	s_cbranch_execz .LBB124_57
; %bb.54:                               ;   in Loop: Header=BB124_52 Depth=1
	v_add_co_u32 v2, vcc_lo, v103, v2
	s_wait_alu 0xfffd
	v_add_co_ci_u32_e64 v3, null, 0, v104, vcc_lo
	v_mov_b32_e32 v36, 0
	s_delay_alu instid0(VALU_DEP_3) | instskip(SKIP_1) | instid1(VALU_DEP_3)
	v_add_co_u32 v2, vcc_lo, 0xffffffc1, v2
	s_wait_alu 0xfffd
	v_add_co_ci_u32_e64 v3, null, -1, v3, vcc_lo
	v_mov_b32_e32 v37, 0
	s_mov_b32 s20, exec_lo
	s_delay_alu instid0(VALU_DEP_2)
	v_cmpx_gt_i64_e64 s[4:5], v[2:3]
	s_cbranch_execz .LBB124_56
; %bb.55:                               ;   in Loop: Header=BB124_52 Depth=1
	v_lshlrev_b64_e32 v[2:3], 3, v[2:3]
	s_delay_alu instid0(VALU_DEP_1) | instskip(SKIP_1) | instid1(VALU_DEP_2)
	v_add_co_u32 v2, vcc_lo, s12, v2
	s_wait_alu 0xfffd
	v_add_co_ci_u32_e64 v3, null, s13, v3, vcc_lo
	global_load_b64 v[36:37], v[2:3], off
.LBB124_56:                             ;   in Loop: Header=BB124_52 Depth=1
	s_wait_alu 0xfffe
	s_or_b32 exec_lo, exec_lo, s20
.LBB124_57:                             ;   in Loop: Header=BB124_52 Depth=1
	s_wait_alu 0xfffe
	s_or_b32 exec_lo, exec_lo, s2
	v_add_co_u32 v17, vcc_lo, 0xffffffc1, v103
	s_wait_alu 0xfffd
	v_add_co_ci_u32_e64 v18, null, -1, v104, vcc_lo
	v_mov_b32_e32 v16, v1
	v_dual_mov_b32 v2, v1 :: v_dual_mov_b32 v3, v1
	v_dual_mov_b32 v4, v1 :: v_dual_mov_b32 v5, v1
	;; [unrolled: 1-line block ×7, first 2 shown]
	v_cmp_gt_i64_e32 vcc_lo, s[4:5], v[17:18]
	s_delay_alu instid0(VALU_DEP_3) | instskip(NEXT) | instid1(VALU_DEP_3)
	v_dual_mov_b32 v33, v16 :: v_dual_mov_b32 v30, v13
	v_dual_mov_b32 v31, v14 :: v_dual_mov_b32 v32, v15
	;; [unrolled: 1-line block ×8, first 2 shown]
	v_mov_b32_e32 v17, v16
	v_mov_b32_e32 v16, v15
	;; [unrolled: 1-line block ×16, first 2 shown]
	s_and_saveexec_b32 s2, vcc_lo
	s_cbranch_execz .LBB124_59
; %bb.58:                               ;   in Loop: Header=BB124_52 Depth=1
	v_add_co_u32 v2, vcc_lo, v71, v34
	s_wait_alu 0xfffd
	v_add_co_ci_u32_e64 v3, null, v72, v35, vcc_lo
	v_add_co_u32 v4, vcc_lo, v73, v34
	s_wait_alu 0xfffd
	v_add_co_ci_u32_e64 v5, null, v74, v35, vcc_lo
	global_load_b64 v[2:3], v[2:3], off
	global_load_b64 v[18:19], v[4:5], off
	v_dual_mov_b32 v4, v1 :: v_dual_mov_b32 v5, v1
	v_dual_mov_b32 v6, v1 :: v_dual_mov_b32 v7, v1
	;; [unrolled: 1-line block ×14, first 2 shown]
.LBB124_59:                             ;   in Loop: Header=BB124_52 Depth=1
	s_wait_alu 0xfffe
	s_or_b32 exec_lo, exec_lo, s2
	v_add_co_u32 v105, vcc_lo, 0xffffffc2, v103
	s_wait_alu 0xfffd
	v_add_co_ci_u32_e64 v106, null, -1, v104, vcc_lo
	s_mov_b32 s2, exec_lo
	v_cmpx_gt_i64_e64 s[4:5], v[105:106]
	s_cbranch_execz .LBB124_61
; %bb.60:                               ;   in Loop: Header=BB124_52 Depth=1
	v_add_co_u32 v4, vcc_lo, v99, v34
	s_wait_alu 0xfffd
	v_add_co_ci_u32_e64 v5, null, v100, v35, vcc_lo
	v_add_co_u32 v20, vcc_lo, v101, v34
	s_wait_alu 0xfffd
	v_add_co_ci_u32_e64 v21, null, v102, v35, vcc_lo
	global_load_b64 v[4:5], v[4:5], off
	global_load_b64 v[20:21], v[20:21], off
.LBB124_61:                             ;   in Loop: Header=BB124_52 Depth=1
	s_wait_alu 0xfffe
	s_or_b32 exec_lo, exec_lo, s2
	v_add_co_u32 v105, vcc_lo, 0xffffffc3, v103
	s_wait_alu 0xfffd
	v_add_co_ci_u32_e64 v106, null, -1, v104, vcc_lo
	s_mov_b32 s2, exec_lo
	v_cmpx_gt_i64_e64 s[4:5], v[105:106]
	s_cbranch_execz .LBB124_63
; %bb.62:                               ;   in Loop: Header=BB124_52 Depth=1
	v_add_co_u32 v6, vcc_lo, v95, v34
	s_wait_alu 0xfffd
	v_add_co_ci_u32_e64 v7, null, v96, v35, vcc_lo
	v_add_co_u32 v22, vcc_lo, v97, v34
	s_wait_alu 0xfffd
	v_add_co_ci_u32_e64 v23, null, v98, v35, vcc_lo
	global_load_b64 v[6:7], v[6:7], off
	global_load_b64 v[22:23], v[22:23], off
.LBB124_63:                             ;   in Loop: Header=BB124_52 Depth=1
	;; [unrolled: 18-line block ×7, first 2 shown]
	s_wait_alu 0xfffe
	s_or_b32 exec_lo, exec_lo, s2
	s_wait_loadcnt 0x0
	v_mul_f64_e32 v[2:3], v[18:19], v[2:3]
	ds_bpermute_b32 v18, v1, v36
	ds_bpermute_b32 v19, v1, v37
	v_mul_f64_e32 v[4:5], v[20:21], v[4:5]
	v_mul_f64_e32 v[6:7], v[22:23], v[6:7]
	;; [unrolled: 1-line block ×3, first 2 shown]
	s_mov_b32 s2, 0
	s_wait_dscnt 0x0
	v_fma_f64 v[2:3], v[2:3], v[18:19], v[66:67]
	ds_bpermute_b32 v18, v1, v36 offset:4
	ds_bpermute_b32 v19, v1, v37 offset:4
	s_wait_dscnt 0x0
	v_fma_f64 v[2:3], v[4:5], v[18:19], v[2:3]
	ds_bpermute_b32 v4, v1, v36 offset:8
	ds_bpermute_b32 v5, v1, v37 offset:8
	;; [unrolled: 4-line block ×3, first 2 shown]
	v_mul_f64_e32 v[6:7], v[26:27], v[10:11]
	s_wait_dscnt 0x0
	v_fma_f64 v[2:3], v[8:9], v[4:5], v[2:3]
	ds_bpermute_b32 v4, v1, v36 offset:16
	ds_bpermute_b32 v5, v1, v37 offset:16
	v_mul_f64_e32 v[8:9], v[28:29], v[12:13]
	s_wait_dscnt 0x0
	v_fma_f64 v[2:3], v[6:7], v[4:5], v[2:3]
	ds_bpermute_b32 v4, v1, v36 offset:20
	ds_bpermute_b32 v5, v1, v37 offset:20
	;; [unrolled: 5-line block ×3, first 2 shown]
	s_wait_dscnt 0x0
	v_fma_f64 v[2:3], v[6:7], v[4:5], v[2:3]
	v_mul_f64_e32 v[4:5], v[32:33], v[16:17]
	ds_bpermute_b32 v6, v1, v36 offset:28
	ds_bpermute_b32 v7, v1, v37 offset:28
	s_wait_dscnt 0x0
	v_fma_f64 v[36:37], v[4:5], v[6:7], v[2:3]
.LBB124_74:                             ;   in Loop: Header=BB124_52 Depth=1
	s_wait_alu 0xfffe
	s_and_b32 vcc_lo, exec_lo, s2
	s_wait_alu 0xfffe
	s_cbranch_vccz .LBB124_80
; %bb.75:                               ;   in Loop: Header=BB124_52 Depth=1
	s_load_b32 s2, s[8:9], 0x0
	s_wait_kmcnt 0x0
	s_cmp_lt_u32 ttmp9, s2
	s_cselect_b32 s2, 12, 18
	s_wait_alu 0xfffe
	s_add_nc_u64 s[20:21], s[8:9], s[2:3]
	s_load_u16 s2, s[20:21], 0x0
	s_wait_kmcnt 0x0
	v_mad_u32_u24 v2, v68, s2, v70
	s_mov_b32 s2, exec_lo
	s_delay_alu instid0(VALU_DEP_1) | instskip(SKIP_2) | instid1(VALU_DEP_3)
	v_and_b32_e32 v4, 31, v2
	v_mov_b32_e32 v2, 0
	v_mov_b32_e32 v3, 0
	v_cmpx_gt_u32_e32 8, v4
	s_cbranch_execz .LBB124_79
; %bb.76:                               ;   in Loop: Header=BB124_52 Depth=1
	v_add_co_u32 v2, vcc_lo, v103, v4
	s_wait_alu 0xfffd
	v_add_co_ci_u32_e64 v3, null, 0, v104, vcc_lo
	s_mov_b32 s20, exec_lo
	v_add_co_u32 v4, vcc_lo, 0xffffffc1, v2
	s_wait_alu 0xfffd
	v_add_co_ci_u32_e64 v5, null, -1, v3, vcc_lo
	v_mov_b32_e32 v2, 0
	v_mov_b32_e32 v3, 0
	s_delay_alu instid0(VALU_DEP_3)
	v_cmpx_gt_i64_e64 s[4:5], v[4:5]
	s_cbranch_execz .LBB124_78
; %bb.77:                               ;   in Loop: Header=BB124_52 Depth=1
	v_lshlrev_b64_e32 v[2:3], 3, v[4:5]
	s_delay_alu instid0(VALU_DEP_1) | instskip(SKIP_1) | instid1(VALU_DEP_2)
	v_add_co_u32 v2, vcc_lo, s12, v2
	s_wait_alu 0xfffd
	v_add_co_ci_u32_e64 v3, null, s13, v3, vcc_lo
	global_load_b64 v[2:3], v[2:3], off
.LBB124_78:                             ;   in Loop: Header=BB124_52 Depth=1
	s_wait_alu 0xfffe
	s_or_b32 exec_lo, exec_lo, s20
.LBB124_79:                             ;   in Loop: Header=BB124_52 Depth=1
	s_wait_alu 0xfffe
	s_or_b32 exec_lo, exec_lo, s2
	v_add_co_u32 v4, vcc_lo, v71, v34
	s_wait_alu 0xfffd
	v_add_co_ci_u32_e64 v5, null, v72, v35, vcc_lo
	v_add_co_u32 v6, vcc_lo, v73, v34
	s_wait_alu 0xfffd
	v_add_co_ci_u32_e64 v7, null, v74, v35, vcc_lo
	global_load_b64 v[4:5], v[4:5], off
	global_load_b64 v[6:7], v[6:7], off
	v_add_co_u32 v8, vcc_lo, v38, v34
	s_wait_alu 0xfffd
	v_add_co_ci_u32_e64 v9, null, v39, v35, vcc_lo
	v_add_co_u32 v10, vcc_lo, v52, v34
	s_wait_alu 0xfffd
	v_add_co_ci_u32_e64 v11, null, v53, v35, vcc_lo
	global_load_b64 v[8:9], v[8:9], off
	global_load_b64 v[10:11], v[10:11], off
	;; [unrolled: 8-line block ×8, first 2 shown]
	s_wait_loadcnt 0xe
	v_mul_f64_e32 v[4:5], v[4:5], v[6:7]
	ds_bpermute_b32 v6, v1, v2
	ds_bpermute_b32 v7, v1, v3
	s_wait_loadcnt 0xc
	v_mul_f64_e32 v[8:9], v[8:9], v[10:11]
	s_wait_loadcnt 0xa
	v_mul_f64_e32 v[10:11], v[12:13], v[14:15]
	s_wait_dscnt 0x0
	v_fma_f64 v[4:5], v[4:5], v[6:7], v[66:67]
	ds_bpermute_b32 v6, v1, v2 offset:4
	ds_bpermute_b32 v7, v1, v3 offset:4
	s_wait_dscnt 0x0
	v_fma_f64 v[4:5], v[8:9], v[6:7], v[4:5]
	ds_bpermute_b32 v6, v1, v2 offset:8
	ds_bpermute_b32 v7, v1, v3 offset:8
	s_wait_loadcnt 0x8
	v_mul_f64_e32 v[8:9], v[16:17], v[18:19]
	s_wait_dscnt 0x0
	v_fma_f64 v[4:5], v[10:11], v[6:7], v[4:5]
	ds_bpermute_b32 v6, v1, v2 offset:12
	ds_bpermute_b32 v7, v1, v3 offset:12
	s_wait_loadcnt 0x6
	v_mul_f64_e32 v[10:11], v[20:21], v[22:23]
	;; [unrolled: 6-line block ×4, first 2 shown]
	s_wait_dscnt 0x0
	v_fma_f64 v[4:5], v[8:9], v[6:7], v[4:5]
	ds_bpermute_b32 v6, v1, v2 offset:24
	ds_bpermute_b32 v7, v1, v3 offset:24
	;; [unrolled: 1-line block ×4, first 2 shown]
	s_wait_dscnt 0x2
	v_fma_f64 v[4:5], v[10:11], v[6:7], v[4:5]
	s_wait_loadcnt 0x0
	v_mul_f64_e32 v[6:7], v[32:33], v[36:37]
	s_wait_dscnt 0x0
	s_delay_alu instid0(VALU_DEP_1)
	v_fma_f64 v[36:37], v[6:7], v[2:3], v[4:5]
.LBB124_80:                             ;   in Loop: Header=BB124_52 Depth=1
	v_add_co_u32 v71, vcc_lo, v71, s10
	s_wait_alu 0xfffd
	v_add_co_ci_u32_e64 v72, null, s11, v72, vcc_lo
	v_add_co_u32 v73, vcc_lo, v73, s10
	s_wait_alu 0xfffd
	v_add_co_ci_u32_e64 v74, null, s11, v74, vcc_lo
	;; [unrolled: 3-line block ×27, first 2 shown]
	v_add_co_u32 v97, vcc_lo, v97, s10
	s_add_nc_u64 s[14:15], s[14:15], s[16:17]
	s_wait_alu 0xfffd
	v_add_co_ci_u32_e64 v98, null, s11, v98, vcc_lo
	v_add_co_u32 v99, vcc_lo, v99, s10
	s_wait_alu 0xfffe
	v_cmp_ge_i64_e64 s2, s[14:15], s[4:5]
	s_wait_alu 0xfffd
	v_add_co_ci_u32_e64 v100, null, s11, v100, vcc_lo
	v_add_co_u32 v101, vcc_lo, v101, s10
	s_wait_alu 0xfffd
	v_add_co_ci_u32_e64 v102, null, s11, v102, vcc_lo
	s_and_b32 vcc_lo, exec_lo, s2
	s_add_nc_u64 s[18:19], s[18:19], s[16:17]
	s_wait_alu 0xfffe
	s_cbranch_vccnz .LBB124_82
; %bb.81:                               ;   in Loop: Header=BB124_52 Depth=1
	v_dual_mov_b32 v67, v37 :: v_dual_mov_b32 v66, v36
	s_branch .LBB124_52
.LBB124_82:
	v_and_b32_e32 v10, 0x3ff, v0
	v_bfe_u32 v2, v0, 10, 10
	v_mov_b32_e32 v0, 0
	s_mov_b32 s2, exec_lo
	s_delay_alu instid0(VALU_DEP_1) | instskip(NEXT) | instid1(VALU_DEP_3)
	v_mov_b32_e32 v1, v0
	v_mad_u32_u24 v3, 0x41, v2, v10
	s_delay_alu instid0(VALU_DEP_1)
	v_lshl_add_u32 v4, v3, 3, 0
	v_sub_nc_u32_e32 v5, v3, v2
	ds_store_b64 v4, v[36:37]
	ds_store_b64 v4, v[0:1] offset:4160
	s_wait_dscnt 0x0
	s_barrier_signal -1
	s_barrier_wait -1
	global_inv scope:SCOPE_SE
	v_cmpx_gt_u32_e32 0x800, v5
	s_cbranch_execz .LBB124_102
; %bb.83:
	s_load_b64 s[2:3], s[0:1], 0x30
	v_and_b32_e32 v0, 31, v10
	v_lshrrev_b32_e32 v4, 5, v5
	s_delay_alu instid0(VALU_DEP_2)
	v_cmp_gt_u32_e32 vcc_lo, 8, v0
	v_mul_u32_u24_e32 v6, 0x41, v0
                                        ; implicit-def: $vgpr0_vgpr1
	s_and_saveexec_b32 s0, vcc_lo
	s_cbranch_execz .LBB124_85
; %bb.84:
	v_lshlrev_b32_e32 v0, 3, v4
	s_delay_alu instid0(VALU_DEP_2) | instskip(NEXT) | instid1(VALU_DEP_1)
	v_lshlrev_b32_e32 v1, 3, v6
	v_add3_u32 v0, 0, v0, v1
	ds_load_b64 v[0:1], v0
.LBB124_85:
	s_or_b32 exec_lo, exec_lo, s0
	v_mbcnt_lo_u32_b32 v9, -1, 0
	s_mov_b32 s4, ttmp9
	s_mov_b32 s5, 0
	s_wait_alu 0xfffe
	s_lshl_b64 s[4:5], s[4:5], 6
	v_xor_b32_e32 v2, 4, v9
	s_wait_kmcnt 0x0
	s_cmp_eq_u64 s[2:3], 0
	s_cselect_b32 s8, -1, 0
	s_delay_alu instid0(VALU_DEP_1) | instskip(NEXT) | instid1(VALU_DEP_1)
	v_cmp_gt_i32_e64 s0, 32, v2
	v_cndmask_b32_e64 v2, v9, v2, s0
	s_delay_alu instid0(VALU_DEP_1)
	v_lshlrev_b32_e32 v7, 2, v2
	s_wait_dscnt 0x0
	ds_bpermute_b32 v2, v7, v0
	ds_bpermute_b32 v3, v7, v1
	s_wait_dscnt 0x0
	v_add_f64_e32 v[0:1], v[0:1], v[2:3]
	v_xor_b32_e32 v2, 2, v9
	s_delay_alu instid0(VALU_DEP_1) | instskip(SKIP_1) | instid1(VALU_DEP_1)
	v_cmp_gt_i32_e64 s0, 32, v2
	s_wait_alu 0xf1ff
	v_cndmask_b32_e64 v2, v9, v2, s0
	s_delay_alu instid0(VALU_DEP_1)
	v_lshlrev_b32_e32 v8, 2, v2
	ds_bpermute_b32 v2, v8, v0
	ds_bpermute_b32 v3, v8, v1
	s_wait_dscnt 0x0
	v_add_f64_e32 v[0:1], v[0:1], v[2:3]
	v_xor_b32_e32 v2, 1, v9
	s_delay_alu instid0(VALU_DEP_1) | instskip(SKIP_1) | instid1(VALU_DEP_1)
	v_cmp_gt_i32_e64 s0, 32, v2
	s_wait_alu 0xf1ff
	v_cndmask_b32_e64 v2, v9, v2, s0
	v_cmp_ne_u32_e64 s0, 0, v10
	s_delay_alu instid0(VALU_DEP_2)
	v_lshlrev_b32_e32 v9, 2, v2
	ds_bpermute_b32 v2, v9, v0
	ds_bpermute_b32 v3, v9, v1
	s_wait_dscnt 0x0
	v_add_f64_e32 v[0:1], v[0:1], v[2:3]
	s_wait_alu 0xfffe
	v_or_b32_e32 v2, s4, v4
	v_mov_b32_e32 v3, s5
	s_delay_alu instid0(VALU_DEP_1)
	v_cmp_le_i64_e64 s1, s[6:7], v[2:3]
	s_or_b32 s1, s0, s1
	s_wait_alu 0xfffe
	s_nor_b32 s1, s8, s1
	s_wait_alu 0xfffe
	s_and_saveexec_b32 s9, s1
	s_cbranch_execz .LBB124_87
; %bb.86:
	v_lshlrev_b64_e32 v[2:3], 3, v[2:3]
	s_delay_alu instid0(VALU_DEP_1) | instskip(SKIP_1) | instid1(VALU_DEP_2)
	v_add_co_u32 v2, s1, s2, v2
	s_wait_alu 0xf1ff
	v_add_co_ci_u32_e64 v3, null, s3, v3, s1
	global_store_b64 v[2:3], v[0:1], off
.LBB124_87:
	s_wait_alu 0xfffe
	s_or_b32 exec_lo, exec_lo, s9
	v_cmp_gt_u32_e64 s1, 0x600, v5
	s_and_b32 exec_lo, exec_lo, s1
	s_cbranch_execz .LBB124_102
; %bb.88:
	s_and_saveexec_b32 s1, vcc_lo
	s_cbranch_execz .LBB124_90
; %bb.89:
	v_lshlrev_b32_e32 v0, 3, v4
	v_lshlrev_b32_e32 v1, 3, v6
	s_delay_alu instid0(VALU_DEP_1)
	v_add3_u32 v0, 0, v0, v1
	ds_load_b64 v[0:1], v0 offset:128
.LBB124_90:
	s_wait_alu 0xfffe
	s_or_b32 exec_lo, exec_lo, s1
	s_wait_dscnt 0x0
	ds_bpermute_b32 v2, v7, v0
	ds_bpermute_b32 v3, v7, v1
	s_wait_dscnt 0x0
	v_add_f64_e32 v[0:1], v[0:1], v[2:3]
	ds_bpermute_b32 v2, v8, v0
	ds_bpermute_b32 v3, v8, v1
	s_wait_dscnt 0x0
	v_add_f64_e32 v[0:1], v[0:1], v[2:3]
	;; [unrolled: 4-line block ×3, first 2 shown]
	v_add_nc_u32_e32 v2, 16, v4
	s_delay_alu instid0(VALU_DEP_1) | instskip(SKIP_2) | instid1(VALU_DEP_1)
	v_add_co_u32 v2, s1, s4, v2
	s_wait_alu 0xf1ff
	v_add_co_ci_u32_e64 v3, null, s5, 0, s1
	v_cmp_le_i64_e64 s1, s[6:7], v[2:3]
	s_or_b32 s1, s0, s1
	s_wait_alu 0xfffe
	s_nor_b32 s1, s8, s1
	s_wait_alu 0xfffe
	s_and_saveexec_b32 s9, s1
	s_cbranch_execz .LBB124_92
; %bb.91:
	v_add_co_u32 v2, s1, s4, v4
	s_wait_alu 0xf1ff
	v_add_co_ci_u32_e64 v3, null, s5, 0, s1
	s_delay_alu instid0(VALU_DEP_1) | instskip(NEXT) | instid1(VALU_DEP_1)
	v_lshlrev_b64_e32 v[2:3], 3, v[2:3]
	v_add_co_u32 v2, s1, s2, v2
	s_wait_alu 0xf1ff
	s_delay_alu instid0(VALU_DEP_2)
	v_add_co_ci_u32_e64 v3, null, s3, v3, s1
	global_store_b64 v[2:3], v[0:1], off offset:128
.LBB124_92:
	s_wait_alu 0xfffe
	s_or_b32 exec_lo, exec_lo, s9
	v_cmp_gt_u32_e64 s1, 0x400, v5
	s_and_b32 exec_lo, exec_lo, s1
	s_cbranch_execz .LBB124_102
; %bb.93:
	s_and_saveexec_b32 s1, vcc_lo
	s_cbranch_execz .LBB124_95
; %bb.94:
	v_lshlrev_b32_e32 v0, 3, v4
	v_lshlrev_b32_e32 v1, 3, v6
	s_delay_alu instid0(VALU_DEP_1)
	v_add3_u32 v0, 0, v0, v1
	ds_load_b64 v[0:1], v0 offset:256
.LBB124_95:
	s_wait_alu 0xfffe
	s_or_b32 exec_lo, exec_lo, s1
	s_wait_dscnt 0x0
	ds_bpermute_b32 v2, v7, v0
	ds_bpermute_b32 v3, v7, v1
	s_wait_dscnt 0x0
	v_add_f64_e32 v[0:1], v[0:1], v[2:3]
	ds_bpermute_b32 v2, v8, v0
	ds_bpermute_b32 v3, v8, v1
	s_wait_dscnt 0x0
	v_add_f64_e32 v[0:1], v[0:1], v[2:3]
	ds_bpermute_b32 v2, v9, v0
	ds_bpermute_b32 v3, v9, v1
	s_wait_dscnt 0x0
	v_add_f64_e32 v[0:1], v[0:1], v[2:3]
	v_dual_mov_b32 v3, s5 :: v_dual_add_nc_u32 v2, 32, v4
	s_delay_alu instid0(VALU_DEP_1) | instskip(NEXT) | instid1(VALU_DEP_1)
	v_or_b32_e32 v2, s4, v2
	v_cmp_le_i64_e64 s1, s[6:7], v[2:3]
	s_or_b32 s1, s0, s1
	s_wait_alu 0xfffe
	s_nor_b32 s1, s8, s1
	s_wait_alu 0xfffe
	s_and_saveexec_b32 s9, s1
	s_cbranch_execz .LBB124_97
; %bb.96:
	v_add_co_u32 v2, s1, s4, v4
	s_wait_alu 0xf1ff
	v_add_co_ci_u32_e64 v3, null, s5, 0, s1
	s_delay_alu instid0(VALU_DEP_1) | instskip(NEXT) | instid1(VALU_DEP_1)
	v_lshlrev_b64_e32 v[2:3], 3, v[2:3]
	v_add_co_u32 v2, s1, s2, v2
	s_wait_alu 0xf1ff
	s_delay_alu instid0(VALU_DEP_2)
	v_add_co_ci_u32_e64 v3, null, s3, v3, s1
	global_store_b64 v[2:3], v[0:1], off offset:256
.LBB124_97:
	s_wait_alu 0xfffe
	s_or_b32 exec_lo, exec_lo, s9
	v_cmp_gt_u32_e64 s1, 0x200, v5
	s_and_b32 exec_lo, exec_lo, s1
	s_cbranch_execz .LBB124_102
; %bb.98:
	s_and_saveexec_b32 s1, vcc_lo
	s_cbranch_execz .LBB124_100
; %bb.99:
	v_lshlrev_b32_e32 v0, 3, v4
	v_lshlrev_b32_e32 v1, 3, v6
	s_delay_alu instid0(VALU_DEP_1)
	v_add3_u32 v0, 0, v0, v1
	ds_load_b64 v[0:1], v0 offset:384
.LBB124_100:
	s_wait_alu 0xfffe
	s_or_b32 exec_lo, exec_lo, s1
	s_wait_dscnt 0x0
	ds_bpermute_b32 v2, v7, v0
	ds_bpermute_b32 v3, v7, v1
	v_dual_mov_b32 v6, s5 :: v_dual_add_nc_u32 v5, 48, v4
	s_delay_alu instid0(VALU_DEP_1) | instskip(NEXT) | instid1(VALU_DEP_1)
	v_or_b32_e32 v5, s4, v5
	v_cmp_le_i64_e32 vcc_lo, s[6:7], v[5:6]
	s_or_b32 s0, s0, vcc_lo
	s_wait_alu 0xfffe
	s_nor_b32 s0, s8, s0
	s_wait_dscnt 0x0
	v_add_f64_e32 v[0:1], v[0:1], v[2:3]
	ds_bpermute_b32 v2, v8, v0
	ds_bpermute_b32 v3, v8, v1
	s_wait_dscnt 0x0
	v_add_f64_e32 v[0:1], v[0:1], v[2:3]
	ds_bpermute_b32 v2, v9, v0
	ds_bpermute_b32 v3, v9, v1
	s_wait_alu 0xfffe
	s_and_saveexec_b32 s1, s0
	s_wait_alu 0xfffe
	s_xor_b32 s1, exec_lo, s1
	s_cbranch_execz .LBB124_102
; %bb.101:
	s_wait_dscnt 0x0
	v_add_f64_e32 v[0:1], v[0:1], v[2:3]
	v_add_co_u32 v2, s0, s4, v4
	s_wait_alu 0xf1ff
	v_add_co_ci_u32_e64 v3, null, s5, 0, s0
	s_delay_alu instid0(VALU_DEP_1) | instskip(NEXT) | instid1(VALU_DEP_1)
	v_lshlrev_b64_e32 v[2:3], 3, v[2:3]
	v_add_co_u32 v2, vcc_lo, s2, v2
	s_wait_alu 0xfffd
	s_delay_alu instid0(VALU_DEP_2)
	v_add_co_ci_u32_e64 v3, null, s3, v3, vcc_lo
	global_store_b64 v[2:3], v[0:1], off offset:384
.LBB124_102:
	s_nop 0
	s_sendmsg sendmsg(MSG_DEALLOC_VGPRS)
	s_endpgm
	.section	.rodata,"a",@progbits
	.p2align	6, 0x0
	.amdhsa_kernel _ZN2at6native12_GLOBAL__N_135GammaBetaBackwardCUDAKernelTemplateIddLj64ELj8ELj64ELb0ELb0ELb1EEEvllPKT_S5_PKT0_S8_PS3_S9_
		.amdhsa_group_segment_fixed_size 0
		.amdhsa_private_segment_fixed_size 0
		.amdhsa_kernarg_size 320
		.amdhsa_user_sgpr_count 2
		.amdhsa_user_sgpr_dispatch_ptr 0
		.amdhsa_user_sgpr_queue_ptr 0
		.amdhsa_user_sgpr_kernarg_segment_ptr 1
		.amdhsa_user_sgpr_dispatch_id 0
		.amdhsa_user_sgpr_private_segment_size 0
		.amdhsa_wavefront_size32 1
		.amdhsa_uses_dynamic_stack 0
		.amdhsa_enable_private_segment 0
		.amdhsa_system_sgpr_workgroup_id_x 1
		.amdhsa_system_sgpr_workgroup_id_y 1
		.amdhsa_system_sgpr_workgroup_id_z 0
		.amdhsa_system_sgpr_workgroup_info 0
		.amdhsa_system_vgpr_workitem_id 1
		.amdhsa_next_free_vgpr 107
		.amdhsa_next_free_sgpr 32
		.amdhsa_reserve_vcc 1
		.amdhsa_float_round_mode_32 0
		.amdhsa_float_round_mode_16_64 0
		.amdhsa_float_denorm_mode_32 3
		.amdhsa_float_denorm_mode_16_64 3
		.amdhsa_fp16_overflow 0
		.amdhsa_workgroup_processor_mode 1
		.amdhsa_memory_ordered 1
		.amdhsa_forward_progress 1
		.amdhsa_inst_pref_size 84
		.amdhsa_round_robin_scheduling 0
		.amdhsa_exception_fp_ieee_invalid_op 0
		.amdhsa_exception_fp_denorm_src 0
		.amdhsa_exception_fp_ieee_div_zero 0
		.amdhsa_exception_fp_ieee_overflow 0
		.amdhsa_exception_fp_ieee_underflow 0
		.amdhsa_exception_fp_ieee_inexact 0
		.amdhsa_exception_int_div_zero 0
	.end_amdhsa_kernel
	.section	.text._ZN2at6native12_GLOBAL__N_135GammaBetaBackwardCUDAKernelTemplateIddLj64ELj8ELj64ELb0ELb0ELb1EEEvllPKT_S5_PKT0_S8_PS3_S9_,"axG",@progbits,_ZN2at6native12_GLOBAL__N_135GammaBetaBackwardCUDAKernelTemplateIddLj64ELj8ELj64ELb0ELb0ELb1EEEvllPKT_S5_PKT0_S8_PS3_S9_,comdat
.Lfunc_end124:
	.size	_ZN2at6native12_GLOBAL__N_135GammaBetaBackwardCUDAKernelTemplateIddLj64ELj8ELj64ELb0ELb0ELb1EEEvllPKT_S5_PKT0_S8_PS3_S9_, .Lfunc_end124-_ZN2at6native12_GLOBAL__N_135GammaBetaBackwardCUDAKernelTemplateIddLj64ELj8ELj64ELb0ELb0ELb1EEEvllPKT_S5_PKT0_S8_PS3_S9_
                                        ; -- End function
	.set _ZN2at6native12_GLOBAL__N_135GammaBetaBackwardCUDAKernelTemplateIddLj64ELj8ELj64ELb0ELb0ELb1EEEvllPKT_S5_PKT0_S8_PS3_S9_.num_vgpr, 107
	.set _ZN2at6native12_GLOBAL__N_135GammaBetaBackwardCUDAKernelTemplateIddLj64ELj8ELj64ELb0ELb0ELb1EEEvllPKT_S5_PKT0_S8_PS3_S9_.num_agpr, 0
	.set _ZN2at6native12_GLOBAL__N_135GammaBetaBackwardCUDAKernelTemplateIddLj64ELj8ELj64ELb0ELb0ELb1EEEvllPKT_S5_PKT0_S8_PS3_S9_.numbered_sgpr, 32
	.set _ZN2at6native12_GLOBAL__N_135GammaBetaBackwardCUDAKernelTemplateIddLj64ELj8ELj64ELb0ELb0ELb1EEEvllPKT_S5_PKT0_S8_PS3_S9_.num_named_barrier, 0
	.set _ZN2at6native12_GLOBAL__N_135GammaBetaBackwardCUDAKernelTemplateIddLj64ELj8ELj64ELb0ELb0ELb1EEEvllPKT_S5_PKT0_S8_PS3_S9_.private_seg_size, 0
	.set _ZN2at6native12_GLOBAL__N_135GammaBetaBackwardCUDAKernelTemplateIddLj64ELj8ELj64ELb0ELb0ELb1EEEvllPKT_S5_PKT0_S8_PS3_S9_.uses_vcc, 1
	.set _ZN2at6native12_GLOBAL__N_135GammaBetaBackwardCUDAKernelTemplateIddLj64ELj8ELj64ELb0ELb0ELb1EEEvllPKT_S5_PKT0_S8_PS3_S9_.uses_flat_scratch, 0
	.set _ZN2at6native12_GLOBAL__N_135GammaBetaBackwardCUDAKernelTemplateIddLj64ELj8ELj64ELb0ELb0ELb1EEEvllPKT_S5_PKT0_S8_PS3_S9_.has_dyn_sized_stack, 0
	.set _ZN2at6native12_GLOBAL__N_135GammaBetaBackwardCUDAKernelTemplateIddLj64ELj8ELj64ELb0ELb0ELb1EEEvllPKT_S5_PKT0_S8_PS3_S9_.has_recursion, 0
	.set _ZN2at6native12_GLOBAL__N_135GammaBetaBackwardCUDAKernelTemplateIddLj64ELj8ELj64ELb0ELb0ELb1EEEvllPKT_S5_PKT0_S8_PS3_S9_.has_indirect_call, 0
	.section	.AMDGPU.csdata,"",@progbits
; Kernel info:
; codeLenInByte = 10700
; TotalNumSgprs: 34
; NumVgprs: 107
; ScratchSize: 0
; MemoryBound: 1
; FloatMode: 240
; IeeeMode: 1
; LDSByteSize: 0 bytes/workgroup (compile time only)
; SGPRBlocks: 0
; VGPRBlocks: 13
; NumSGPRsForWavesPerEU: 34
; NumVGPRsForWavesPerEU: 107
; Occupancy: 12
; WaveLimiterHint : 0
; COMPUTE_PGM_RSRC2:SCRATCH_EN: 0
; COMPUTE_PGM_RSRC2:USER_SGPR: 2
; COMPUTE_PGM_RSRC2:TRAP_HANDLER: 0
; COMPUTE_PGM_RSRC2:TGID_X_EN: 1
; COMPUTE_PGM_RSRC2:TGID_Y_EN: 1
; COMPUTE_PGM_RSRC2:TGID_Z_EN: 0
; COMPUTE_PGM_RSRC2:TIDIG_COMP_CNT: 1
	.section	.text._ZN2at6native12_GLOBAL__N_135GammaBetaBackwardCUDAKernelTemplateIddLj64ELj16ELj128ELb0ELb1ELb1EEEvllPKT_S5_PKT0_S8_PS3_S9_,"axG",@progbits,_ZN2at6native12_GLOBAL__N_135GammaBetaBackwardCUDAKernelTemplateIddLj64ELj16ELj128ELb0ELb1ELb1EEEvllPKT_S5_PKT0_S8_PS3_S9_,comdat
	.globl	_ZN2at6native12_GLOBAL__N_135GammaBetaBackwardCUDAKernelTemplateIddLj64ELj16ELj128ELb0ELb1ELb1EEEvllPKT_S5_PKT0_S8_PS3_S9_ ; -- Begin function _ZN2at6native12_GLOBAL__N_135GammaBetaBackwardCUDAKernelTemplateIddLj64ELj16ELj128ELb0ELb1ELb1EEEvllPKT_S5_PKT0_S8_PS3_S9_
	.p2align	8
	.type	_ZN2at6native12_GLOBAL__N_135GammaBetaBackwardCUDAKernelTemplateIddLj64ELj16ELj128ELb0ELb1ELb1EEEvllPKT_S5_PKT0_S8_PS3_S9_,@function
_ZN2at6native12_GLOBAL__N_135GammaBetaBackwardCUDAKernelTemplateIddLj64ELj16ELj128ELb0ELb1ELb1EEEvllPKT_S5_PKT0_S8_PS3_S9_: ; @_ZN2at6native12_GLOBAL__N_135GammaBetaBackwardCUDAKernelTemplateIddLj64ELj16ELj128ELb0ELb1ELb1EEEvllPKT_S5_PKT0_S8_PS3_S9_
; %bb.0:
	s_load_b128 s[4:7], s[0:1], 0x0
	s_lshl_b32 s12, ttmp7, 7
	s_mov_b32 s13, 0
	v_bfe_u32 v11, v0, 10, 10
	s_wait_kmcnt 0x0
	v_cmp_gt_i64_e64 s2, s[4:5], s[12:13]
	s_and_b32 vcc_lo, exec_lo, s2
	s_cbranch_vccnz .LBB125_2
; %bb.1:
	v_bfe_u32 v1, v0, 10, 10
	s_mov_b32 s2, s13
	s_branch .LBB125_3
.LBB125_2:
	s_mov_b32 s2, -1
                                        ; implicit-def: $vgpr1
.LBB125_3:
	v_mov_b32_e32 v6, 0
	v_dual_mov_b32 v7, 0 :: v_dual_and_b32 v10, 0x3ff, v0
	s_and_not1_b32 vcc_lo, exec_lo, s2
	s_cbranch_vccnz .LBB125_11
; %bb.4:
	s_load_b32 s2, s[0:1], 0x4c
	v_dual_mov_b32 v1, 0 :: v_dual_lshlrev_b32 v0, 3, v11
	s_clause 0x2
	s_load_b32 s3, s[0:1], 0x44
	s_load_b128 s[8:11], s[0:1], 0x10
	s_load_b64 s[16:17], s[0:1], 0x28
	s_mov_b32 s15, 0
	v_dual_mov_b32 v12, 8 :: v_dual_mov_b32 v13, 4
	v_add_co_u32 v2, s14, v0, s12
	s_delay_alu instid0(VALU_DEP_1) | instskip(SKIP_1) | instid1(VALU_DEP_3)
	v_add_co_ci_u32_e64 v3, null, 0, 0, s14
	v_lshl_add_u32 v0, ttmp9, 6, v10
	v_mul_lo_u32 v8, s7, v2
	v_mad_co_u64_u32 v[4:5], null, s6, v2, 0
	s_delay_alu instid0(VALU_DEP_4)
	v_mul_lo_u32 v9, s6, v3
	v_dual_mov_b32 v14, 12 :: v_dual_mov_b32 v15, 16
	v_dual_mov_b32 v16, 20 :: v_dual_mov_b32 v17, 28
	s_wait_kmcnt 0x0
	s_and_b32 s2, s2, 0xffff
	s_lshl_b32 s14, s3, 7
	v_mad_u32_u24 v6, v11, s2, v10
	s_delay_alu instid0(VALU_DEP_4)
	v_add3_u32 v5, v5, v9, v8
	s_wait_alu 0xfffe
	s_mul_u64 s[18:19], s[6:7], s[14:15]
	s_lshl_b64 s[6:7], s[6:7], 3
	s_lshl_b64 s[18:19], s[18:19], 3
	v_and_b32_e32 v20, 31, v6
	v_lshlrev_b64_e32 v[6:7], 3, v[0:1]
	v_lshlrev_b64_e32 v[4:5], 3, v[4:5]
	v_mov_b32_e32 v0, 24
	s_delay_alu instid0(VALU_DEP_4) | instskip(NEXT) | instid1(VALU_DEP_1)
	v_add_co_u32 v2, vcc_lo, v2, v20
	v_add_co_ci_u32_e64 v3, null, 0, v3, vcc_lo
	s_delay_alu instid0(VALU_DEP_4) | instskip(SKIP_2) | instid1(VALU_DEP_3)
	v_add_co_u32 v18, vcc_lo, v4, v6
	s_wait_alu 0xfffd
	v_add_co_ci_u32_e64 v19, null, v5, v7, vcc_lo
	v_lshlrev_b64_e32 v[8:9], 3, v[2:3]
	v_mov_b32_e32 v6, 0
	v_cmp_gt_u32_e64 s2, 8, v20
	v_mov_b32_e32 v7, 0
	s_delay_alu instid0(VALU_DEP_4)
	v_add_co_u32 v4, vcc_lo, s16, v8
	s_wait_alu 0xfffd
	v_add_co_ci_u32_e64 v5, null, s17, v9, vcc_lo
	s_lshl_b64 s[16:17], s[14:15], 3
	s_branch .LBB125_7
.LBB125_5:                              ;   in Loop: Header=BB125_7 Depth=1
	s_or_b32 exec_lo, exec_lo, s20
.LBB125_6:                              ;   in Loop: Header=BB125_7 Depth=1
	s_wait_alu 0xfffe
	s_or_b32 exec_lo, exec_lo, s3
	v_add_co_u32 v20, vcc_lo, s8, v18
	s_wait_alu 0xfffd
	v_add_co_ci_u32_e64 v21, null, s9, v19, vcc_lo
	v_add_co_u32 v22, vcc_lo, s10, v18
	s_wait_alu 0xfffd
	v_add_co_ci_u32_e64 v23, null, s11, v19, vcc_lo
	global_load_b64 v[24:25], v[20:21], off
	global_load_b64 v[26:27], v[22:23], off
	v_add_co_u32 v20, vcc_lo, v20, s6
	s_wait_alu 0xfffd
	v_add_co_ci_u32_e64 v21, null, s7, v21, vcc_lo
	v_add_co_u32 v22, vcc_lo, v22, s6
	s_wait_alu 0xfffd
	v_add_co_ci_u32_e64 v23, null, s7, v23, vcc_lo
	global_load_b64 v[28:29], v[20:21], off
	global_load_b64 v[30:31], v[22:23], off
	;; [unrolled: 8-line block ×8, first 2 shown]
	v_add_co_u32 v4, vcc_lo, v4, s16
	s_add_nc_u64 s[12:13], s[12:13], s[14:15]
	s_wait_alu 0xfffd
	v_add_co_ci_u32_e64 v5, null, s17, v5, vcc_lo
	v_add_co_u32 v2, vcc_lo, v2, s14
	s_wait_alu 0xfffe
	v_cmp_lt_i64_e64 s3, s[12:13], s[4:5]
	s_wait_alu 0xfffd
	v_add_co_ci_u32_e64 v3, null, 0, v3, vcc_lo
	v_add_co_u32 v18, vcc_lo, v18, s18
	s_wait_alu 0xfffd
	v_add_co_ci_u32_e64 v19, null, s19, v19, vcc_lo
	s_and_b32 vcc_lo, exec_lo, s3
	s_wait_loadcnt 0xe
	v_mul_f64_e32 v[24:25], v[24:25], v[26:27]
	ds_bpermute_b32 v26, v1, v8
	ds_bpermute_b32 v27, v1, v9
	s_wait_loadcnt 0xc
	v_mul_f64_e32 v[28:29], v[28:29], v[30:31]
	s_wait_dscnt 0x0
	v_fma_f64 v[6:7], v[24:25], v[26:27], v[6:7]
	ds_bpermute_b32 v24, v13, v8
	ds_bpermute_b32 v25, v13, v9
	s_wait_loadcnt 0xa
	v_mul_f64_e32 v[26:27], v[32:33], v[34:35]
	s_wait_dscnt 0x0
	v_fma_f64 v[6:7], v[28:29], v[24:25], v[6:7]
	ds_bpermute_b32 v24, v12, v8
	ds_bpermute_b32 v25, v12, v9
	s_wait_loadcnt 0x8
	v_mul_f64_e32 v[28:29], v[36:37], v[38:39]
	s_wait_loadcnt 0x0
	v_mul_f64_e32 v[20:21], v[20:21], v[22:23]
	s_wait_dscnt 0x0
	v_fma_f64 v[6:7], v[26:27], v[24:25], v[6:7]
	ds_bpermute_b32 v24, v14, v8
	ds_bpermute_b32 v25, v14, v9
	v_mul_f64_e32 v[26:27], v[40:41], v[42:43]
	s_wait_dscnt 0x0
	v_fma_f64 v[6:7], v[28:29], v[24:25], v[6:7]
	ds_bpermute_b32 v24, v15, v8
	ds_bpermute_b32 v25, v15, v9
	;; [unrolled: 5-line block ×4, first 2 shown]
	ds_bpermute_b32 v8, v17, v8
	ds_bpermute_b32 v9, v17, v9
	s_wait_dscnt 0x2
	v_fma_f64 v[6:7], v[26:27], v[24:25], v[6:7]
	s_wait_dscnt 0x0
	s_delay_alu instid0(VALU_DEP_1)
	v_fma_f64 v[6:7], v[20:21], v[8:9], v[6:7]
	s_wait_alu 0xfffe
	s_cbranch_vccz .LBB125_10
.LBB125_7:                              ; =>This Inner Loop Header: Depth=1
	v_mov_b32_e32 v8, 0
	v_mov_b32_e32 v9, 0
	s_and_saveexec_b32 s3, s2
	s_cbranch_execz .LBB125_6
; %bb.8:                                ;   in Loop: Header=BB125_7 Depth=1
	v_mov_b32_e32 v8, 0
	v_mov_b32_e32 v9, 0
	s_mov_b32 s20, exec_lo
	v_cmpx_gt_i64_e64 s[4:5], v[2:3]
	s_cbranch_execz .LBB125_5
; %bb.9:                                ;   in Loop: Header=BB125_7 Depth=1
	global_load_b64 v[8:9], v[4:5], off
	s_branch .LBB125_5
.LBB125_10:
	v_mov_b32_e32 v1, v11
.LBB125_11:
	s_load_b64 s[2:3], s[0:1], 0x30
	s_delay_alu instid0(VALU_DEP_1) | instskip(SKIP_2) | instid1(VALU_DEP_2)
	v_mad_u32_u24 v0, 0x41, v1, v10
	v_mov_b32_e32 v3, 0
	s_mov_b32 s0, exec_lo
	v_lshl_add_u32 v5, v0, 3, 0
	v_sub_nc_u32_e32 v2, v0, v1
	s_delay_alu instid0(VALU_DEP_3)
	v_mov_b32_e32 v4, v3
	ds_store_b64 v5, v[6:7]
	ds_store_b64 v5, v[3:4] offset:8320
	s_wait_dscnt 0x0
	s_barrier_signal -1
	s_barrier_wait -1
	global_inv scope:SCOPE_SE
	v_cmpx_gt_u32_e32 0x800, v2
	s_cbranch_execz .LBB125_21
; %bb.12:
	v_and_b32_e32 v0, 31, v10
	v_lshrrev_b32_e32 v1, 5, v2
	s_delay_alu instid0(VALU_DEP_2) | instskip(SKIP_1) | instid1(VALU_DEP_3)
	v_cmp_gt_u32_e32 vcc_lo, 16, v0
	v_mul_u32_u24_e32 v3, 0x41, v0
	v_lshlrev_b32_e32 v4, 3, v1
                                        ; implicit-def: $vgpr0_vgpr1
	s_and_saveexec_b32 s0, vcc_lo
; %bb.13:
	s_delay_alu instid0(VALU_DEP_2) | instskip(NEXT) | instid1(VALU_DEP_1)
	v_lshlrev_b32_e32 v0, 3, v3
	v_add3_u32 v0, 0, v4, v0
	ds_load_b64 v[0:1], v0
; %bb.14:
	s_wait_alu 0xfffe
	s_or_b32 exec_lo, exec_lo, s0
	v_mbcnt_lo_u32_b32 v11, -1, 0
	s_mov_b32 s4, ttmp9
	s_wait_kmcnt 0x0
	s_cmp_lg_u64 s[2:3], 0
	s_mov_b32 s5, 0
	s_cselect_b32 s1, -1, 0
	v_xor_b32_e32 v5, 8, v11
	s_wait_alu 0xfffe
	s_lshl_b64 s[4:5], s[4:5], 9
	s_wait_alu 0xfffe
	s_add_nc_u64 s[2:3], s[2:3], s[4:5]
	v_cmp_gt_i32_e64 s0, 32, v5
	s_wait_alu 0xf1ff
	s_delay_alu instid0(VALU_DEP_1) | instskip(NEXT) | instid1(VALU_DEP_1)
	v_cndmask_b32_e64 v5, v11, v5, s0
	v_lshlrev_b32_e32 v5, 2, v5
	s_wait_dscnt 0x0
	ds_bpermute_b32 v6, v5, v0
	ds_bpermute_b32 v7, v5, v1
	s_wait_dscnt 0x0
	v_add_f64_e32 v[0:1], v[0:1], v[6:7]
	v_xor_b32_e32 v6, 4, v11
	s_delay_alu instid0(VALU_DEP_1) | instskip(SKIP_1) | instid1(VALU_DEP_1)
	v_cmp_gt_i32_e64 s0, 32, v6
	s_wait_alu 0xf1ff
	v_cndmask_b32_e64 v6, v11, v6, s0
	s_delay_alu instid0(VALU_DEP_1)
	v_lshlrev_b32_e32 v6, 2, v6
	ds_bpermute_b32 v7, v6, v0
	ds_bpermute_b32 v8, v6, v1
	s_wait_dscnt 0x0
	v_add_f64_e32 v[0:1], v[0:1], v[7:8]
	v_xor_b32_e32 v7, 2, v11
	s_delay_alu instid0(VALU_DEP_1) | instskip(SKIP_1) | instid1(VALU_DEP_1)
	v_cmp_gt_i32_e64 s0, 32, v7
	s_wait_alu 0xf1ff
	v_cndmask_b32_e64 v7, v11, v7, s0
	s_delay_alu instid0(VALU_DEP_1)
	v_lshlrev_b32_e32 v7, 2, v7
	ds_bpermute_b32 v8, v7, v0
	ds_bpermute_b32 v9, v7, v1
	s_wait_dscnt 0x0
	v_add_f64_e32 v[0:1], v[0:1], v[8:9]
	v_xor_b32_e32 v8, 1, v11
	s_delay_alu instid0(VALU_DEP_1) | instskip(SKIP_1) | instid1(VALU_DEP_1)
	v_cmp_gt_i32_e64 s0, 32, v8
	s_wait_alu 0xf1ff
	v_cndmask_b32_e64 v8, v11, v8, s0
	v_cmp_eq_u32_e64 s0, 0, v10
	s_delay_alu instid0(VALU_DEP_2)
	v_lshlrev_b32_e32 v8, 2, v8
	s_and_b32 s1, s0, s1
	ds_bpermute_b32 v11, v8, v0
	ds_bpermute_b32 v12, v8, v1
	s_wait_dscnt 0x0
	v_add_f64_e32 v[0:1], v[0:1], v[11:12]
	s_wait_alu 0xfffe
	s_and_saveexec_b32 s0, s1
	s_cbranch_execz .LBB125_16
; %bb.15:
	global_store_b64 v4, v[0:1], s[2:3]
.LBB125_16:
	s_wait_alu 0xfffe
	s_or_b32 exec_lo, exec_lo, s0
	v_cmp_gt_u32_e64 s0, 0x400, v2
	s_and_b32 exec_lo, exec_lo, s0
	s_cbranch_execz .LBB125_21
; %bb.17:
	s_and_saveexec_b32 s0, vcc_lo
; %bb.18:
	v_lshlrev_b32_e32 v0, 3, v3
	s_delay_alu instid0(VALU_DEP_1)
	v_add3_u32 v0, 0, v4, v0
	ds_load_b64 v[0:1], v0 offset:256
; %bb.19:
	s_wait_alu 0xfffe
	s_or_b32 exec_lo, exec_lo, s0
	s_wait_dscnt 0x0
	ds_bpermute_b32 v2, v5, v0
	ds_bpermute_b32 v3, v5, v1
	s_wait_dscnt 0x0
	v_add_f64_e32 v[0:1], v[0:1], v[2:3]
	ds_bpermute_b32 v2, v6, v0
	ds_bpermute_b32 v3, v6, v1
	s_wait_dscnt 0x0
	v_add_f64_e32 v[0:1], v[0:1], v[2:3]
	ds_bpermute_b32 v2, v7, v0
	ds_bpermute_b32 v3, v7, v1
	s_wait_dscnt 0x0
	v_add_f64_e32 v[0:1], v[0:1], v[2:3]
	ds_bpermute_b32 v2, v8, v0
	ds_bpermute_b32 v3, v8, v1
	s_and_saveexec_b32 s0, s1
	s_wait_alu 0xfffe
	s_xor_b32 s0, exec_lo, s0
	s_cbranch_execz .LBB125_21
; %bb.20:
	s_wait_dscnt 0x0
	v_add_f64_e32 v[0:1], v[0:1], v[2:3]
	global_store_b64 v4, v[0:1], s[2:3] offset:256
.LBB125_21:
	s_endpgm
	.section	.rodata,"a",@progbits
	.p2align	6, 0x0
	.amdhsa_kernel _ZN2at6native12_GLOBAL__N_135GammaBetaBackwardCUDAKernelTemplateIddLj64ELj16ELj128ELb0ELb1ELb1EEEvllPKT_S5_PKT0_S8_PS3_S9_
		.amdhsa_group_segment_fixed_size 0
		.amdhsa_private_segment_fixed_size 0
		.amdhsa_kernarg_size 320
		.amdhsa_user_sgpr_count 2
		.amdhsa_user_sgpr_dispatch_ptr 0
		.amdhsa_user_sgpr_queue_ptr 0
		.amdhsa_user_sgpr_kernarg_segment_ptr 1
		.amdhsa_user_sgpr_dispatch_id 0
		.amdhsa_user_sgpr_private_segment_size 0
		.amdhsa_wavefront_size32 1
		.amdhsa_uses_dynamic_stack 0
		.amdhsa_enable_private_segment 0
		.amdhsa_system_sgpr_workgroup_id_x 1
		.amdhsa_system_sgpr_workgroup_id_y 1
		.amdhsa_system_sgpr_workgroup_id_z 0
		.amdhsa_system_sgpr_workgroup_info 0
		.amdhsa_system_vgpr_workitem_id 1
		.amdhsa_next_free_vgpr 52
		.amdhsa_next_free_sgpr 21
		.amdhsa_reserve_vcc 1
		.amdhsa_float_round_mode_32 0
		.amdhsa_float_round_mode_16_64 0
		.amdhsa_float_denorm_mode_32 3
		.amdhsa_float_denorm_mode_16_64 3
		.amdhsa_fp16_overflow 0
		.amdhsa_workgroup_processor_mode 1
		.amdhsa_memory_ordered 1
		.amdhsa_forward_progress 1
		.amdhsa_inst_pref_size 16
		.amdhsa_round_robin_scheduling 0
		.amdhsa_exception_fp_ieee_invalid_op 0
		.amdhsa_exception_fp_denorm_src 0
		.amdhsa_exception_fp_ieee_div_zero 0
		.amdhsa_exception_fp_ieee_overflow 0
		.amdhsa_exception_fp_ieee_underflow 0
		.amdhsa_exception_fp_ieee_inexact 0
		.amdhsa_exception_int_div_zero 0
	.end_amdhsa_kernel
	.section	.text._ZN2at6native12_GLOBAL__N_135GammaBetaBackwardCUDAKernelTemplateIddLj64ELj16ELj128ELb0ELb1ELb1EEEvllPKT_S5_PKT0_S8_PS3_S9_,"axG",@progbits,_ZN2at6native12_GLOBAL__N_135GammaBetaBackwardCUDAKernelTemplateIddLj64ELj16ELj128ELb0ELb1ELb1EEEvllPKT_S5_PKT0_S8_PS3_S9_,comdat
.Lfunc_end125:
	.size	_ZN2at6native12_GLOBAL__N_135GammaBetaBackwardCUDAKernelTemplateIddLj64ELj16ELj128ELb0ELb1ELb1EEEvllPKT_S5_PKT0_S8_PS3_S9_, .Lfunc_end125-_ZN2at6native12_GLOBAL__N_135GammaBetaBackwardCUDAKernelTemplateIddLj64ELj16ELj128ELb0ELb1ELb1EEEvllPKT_S5_PKT0_S8_PS3_S9_
                                        ; -- End function
	.set _ZN2at6native12_GLOBAL__N_135GammaBetaBackwardCUDAKernelTemplateIddLj64ELj16ELj128ELb0ELb1ELb1EEEvllPKT_S5_PKT0_S8_PS3_S9_.num_vgpr, 52
	.set _ZN2at6native12_GLOBAL__N_135GammaBetaBackwardCUDAKernelTemplateIddLj64ELj16ELj128ELb0ELb1ELb1EEEvllPKT_S5_PKT0_S8_PS3_S9_.num_agpr, 0
	.set _ZN2at6native12_GLOBAL__N_135GammaBetaBackwardCUDAKernelTemplateIddLj64ELj16ELj128ELb0ELb1ELb1EEEvllPKT_S5_PKT0_S8_PS3_S9_.numbered_sgpr, 21
	.set _ZN2at6native12_GLOBAL__N_135GammaBetaBackwardCUDAKernelTemplateIddLj64ELj16ELj128ELb0ELb1ELb1EEEvllPKT_S5_PKT0_S8_PS3_S9_.num_named_barrier, 0
	.set _ZN2at6native12_GLOBAL__N_135GammaBetaBackwardCUDAKernelTemplateIddLj64ELj16ELj128ELb0ELb1ELb1EEEvllPKT_S5_PKT0_S8_PS3_S9_.private_seg_size, 0
	.set _ZN2at6native12_GLOBAL__N_135GammaBetaBackwardCUDAKernelTemplateIddLj64ELj16ELj128ELb0ELb1ELb1EEEvllPKT_S5_PKT0_S8_PS3_S9_.uses_vcc, 1
	.set _ZN2at6native12_GLOBAL__N_135GammaBetaBackwardCUDAKernelTemplateIddLj64ELj16ELj128ELb0ELb1ELb1EEEvllPKT_S5_PKT0_S8_PS3_S9_.uses_flat_scratch, 0
	.set _ZN2at6native12_GLOBAL__N_135GammaBetaBackwardCUDAKernelTemplateIddLj64ELj16ELj128ELb0ELb1ELb1EEEvllPKT_S5_PKT0_S8_PS3_S9_.has_dyn_sized_stack, 0
	.set _ZN2at6native12_GLOBAL__N_135GammaBetaBackwardCUDAKernelTemplateIddLj64ELj16ELj128ELb0ELb1ELb1EEEvllPKT_S5_PKT0_S8_PS3_S9_.has_recursion, 0
	.set _ZN2at6native12_GLOBAL__N_135GammaBetaBackwardCUDAKernelTemplateIddLj64ELj16ELj128ELb0ELb1ELb1EEEvllPKT_S5_PKT0_S8_PS3_S9_.has_indirect_call, 0
	.section	.AMDGPU.csdata,"",@progbits
; Kernel info:
; codeLenInByte = 2016
; TotalNumSgprs: 23
; NumVgprs: 52
; ScratchSize: 0
; MemoryBound: 0
; FloatMode: 240
; IeeeMode: 1
; LDSByteSize: 0 bytes/workgroup (compile time only)
; SGPRBlocks: 0
; VGPRBlocks: 6
; NumSGPRsForWavesPerEU: 23
; NumVGPRsForWavesPerEU: 52
; Occupancy: 16
; WaveLimiterHint : 0
; COMPUTE_PGM_RSRC2:SCRATCH_EN: 0
; COMPUTE_PGM_RSRC2:USER_SGPR: 2
; COMPUTE_PGM_RSRC2:TRAP_HANDLER: 0
; COMPUTE_PGM_RSRC2:TGID_X_EN: 1
; COMPUTE_PGM_RSRC2:TGID_Y_EN: 1
; COMPUTE_PGM_RSRC2:TGID_Z_EN: 0
; COMPUTE_PGM_RSRC2:TIDIG_COMP_CNT: 1
	.section	.text._ZN2at6native12_GLOBAL__N_135GammaBetaBackwardCUDAKernelTemplateIddLj64ELj16ELj128ELb0ELb0ELb1EEEvllPKT_S5_PKT0_S8_PS3_S9_,"axG",@progbits,_ZN2at6native12_GLOBAL__N_135GammaBetaBackwardCUDAKernelTemplateIddLj64ELj16ELj128ELb0ELb0ELb1EEEvllPKT_S5_PKT0_S8_PS3_S9_,comdat
	.globl	_ZN2at6native12_GLOBAL__N_135GammaBetaBackwardCUDAKernelTemplateIddLj64ELj16ELj128ELb0ELb0ELb1EEEvllPKT_S5_PKT0_S8_PS3_S9_ ; -- Begin function _ZN2at6native12_GLOBAL__N_135GammaBetaBackwardCUDAKernelTemplateIddLj64ELj16ELj128ELb0ELb0ELb1EEEvllPKT_S5_PKT0_S8_PS3_S9_
	.p2align	8
	.type	_ZN2at6native12_GLOBAL__N_135GammaBetaBackwardCUDAKernelTemplateIddLj64ELj16ELj128ELb0ELb0ELb1EEEvllPKT_S5_PKT0_S8_PS3_S9_,@function
_ZN2at6native12_GLOBAL__N_135GammaBetaBackwardCUDAKernelTemplateIddLj64ELj16ELj128ELb0ELb0ELb1EEEvllPKT_S5_PKT0_S8_PS3_S9_: ; @_ZN2at6native12_GLOBAL__N_135GammaBetaBackwardCUDAKernelTemplateIddLj64ELj16ELj128ELb0ELb0ELb1EEEvllPKT_S5_PKT0_S8_PS3_S9_
; %bb.0:
	s_clause 0x1
	s_load_b256 s[4:11], s[0:1], 0x0
	s_load_b64 s[12:13], s[0:1], 0x28
	s_lshl_b32 s28, ttmp9, 6
	s_mov_b32 s15, 0
	s_or_b32 s14, s28, 63
	s_wait_kmcnt 0x0
	v_cmp_le_i64_e64 s2, s[6:7], s[14:15]
	s_lshl_b32 s14, ttmp7, 7
	s_wait_alu 0xfffe
	v_cmp_gt_i64_e64 s29, s[4:5], s[14:15]
	s_and_b32 vcc_lo, exec_lo, s2
	v_cndmask_b32_e64 v1, 0, 1, s29
	s_delay_alu instid0(VALU_DEP_1)
	v_cmp_ne_u32_e64 s2, 1, v1
	s_cbranch_vccz .LBB126_48
; %bb.1:
	v_mov_b32_e32 v36, 0
	v_mov_b32_e32 v37, 0
	s_and_b32 vcc_lo, exec_lo, s2
	s_cbranch_vccnz .LBB126_49
; %bb.2:
	v_bfe_u32 v42, v0, 10, 10
	v_dual_mov_b32 v1, 0 :: v_dual_and_b32 v44, 0x3ff, v0
	s_load_b32 s3, s[0:1], 0x44
	s_mov_b32 s17, 0
	s_delay_alu instid0(VALU_DEP_2) | instskip(NEXT) | instid1(VALU_DEP_2)
	v_dual_mov_b32 v36, 0 :: v_dual_lshlrev_b32 v43, 3, v42
	v_dual_mov_b32 v3, v1 :: v_dual_add_nc_u32 v2, s28, v44
	s_mov_b32 s21, s17
	s_delay_alu instid0(VALU_DEP_2) | instskip(NEXT) | instid1(VALU_DEP_1)
	v_add_co_u32 v10, s2, v43, s14
	v_add_co_ci_u32_e64 v11, null, 0, 0, s2
	s_delay_alu instid0(VALU_DEP_3) | instskip(NEXT) | instid1(VALU_DEP_3)
	v_cmp_gt_i64_e64 s2, s[6:7], v[2:3]
	v_mul_lo_u32 v6, s7, v10
	v_mad_co_u64_u32 v[4:5], null, s6, v10, 0
	s_delay_alu instid0(VALU_DEP_4) | instskip(SKIP_1) | instid1(VALU_DEP_1)
	v_mul_lo_u32 v7, s6, v11
	v_add_co_u32 v8, vcc_lo, v10, 7
	v_add_co_ci_u32_e64 v9, null, 0, v11, vcc_lo
	v_lshlrev_b64_e32 v[34:35], 3, v[2:3]
	s_delay_alu instid0(VALU_DEP_3)
	v_mul_lo_u32 v12, s7, v8
	s_wait_kmcnt 0x0
	s_lshl_b32 s20, s3, 7
	v_add3_u32 v5, v5, v7, v6
	v_mad_co_u64_u32 v[6:7], null, s6, v8, 0
	v_add_co_u32 v8, vcc_lo, v10, 6
	v_mul_lo_u32 v13, s6, v9
	s_wait_alu 0xfffd
	v_add_co_ci_u32_e64 v9, null, 0, v11, vcc_lo
	v_lshlrev_b64_e32 v[2:3], 3, v[4:5]
	v_mul_lo_u32 v14, s7, v8
	v_mov_b32_e32 v37, 0
	s_delay_alu instid0(VALU_DEP_4)
	v_mul_lo_u32 v15, s6, v9
	v_mad_co_u64_u32 v[8:9], null, s6, v8, 0
	v_add_co_u32 v45, vcc_lo, s8, v2
	s_wait_alu 0xfffd
	v_add_co_ci_u32_e64 v46, null, s9, v3, vcc_lo
	v_add_co_u32 v47, vcc_lo, s10, v2
	v_add3_u32 v7, v7, v13, v12
	s_wait_alu 0xfffd
	v_add_co_ci_u32_e64 v48, null, s11, v3, vcc_lo
	v_add_co_u32 v12, vcc_lo, v10, 5
	v_add3_u32 v9, v9, v15, v14
	s_wait_alu 0xfffd
	v_add_co_ci_u32_e64 v13, null, 0, v11, vcc_lo
	v_lshlrev_b64_e32 v[2:3], 3, v[6:7]
	v_mul_lo_u32 v14, s7, v12
	v_lshlrev_b64_e32 v[6:7], 3, v[8:9]
	s_delay_alu instid0(VALU_DEP_4)
	v_mul_lo_u32 v13, s6, v13
	v_mad_co_u64_u32 v[8:9], null, s6, v12, 0
	v_add_co_u32 v49, vcc_lo, s8, v2
	s_wait_alu 0xfffd
	v_add_co_ci_u32_e64 v50, null, s9, v3, vcc_lo
	v_add_co_u32 v51, vcc_lo, s10, v2
	s_wait_alu 0xfffd
	v_add_co_ci_u32_e64 v52, null, s11, v3, vcc_lo
	v_add_co_u32 v53, vcc_lo, s8, v6
	v_add3_u32 v9, v9, v13, v14
	s_wait_alu 0xfffd
	v_add_co_ci_u32_e64 v54, null, s9, v7, vcc_lo
	v_add_co_u32 v12, vcc_lo, v10, 4
	v_add_co_u32 v55, s3, s10, v6
	s_wait_alu 0xfffd
	v_add_co_ci_u32_e64 v6, null, 0, v11, vcc_lo
	v_lshlrev_b64_e32 v[2:3], 3, v[8:9]
	v_add_co_u32 v8, vcc_lo, v10, 3
	s_wait_alu 0xfffd
	v_add_co_ci_u32_e64 v9, null, 0, v11, vcc_lo
	s_wait_alu 0xf1ff
	v_add_co_ci_u32_e64 v56, null, s11, v7, s3
	v_mul_lo_u32 v13, s7, v12
	v_mul_lo_u32 v14, s6, v6
	v_mad_co_u64_u32 v[6:7], null, s6, v12, 0
	v_mul_lo_u32 v12, s7, v8
	v_mul_lo_u32 v15, s6, v9
	v_mad_co_u64_u32 v[8:9], null, s6, v8, 0
	v_add_co_u32 v57, vcc_lo, s8, v2
	s_wait_alu 0xfffd
	v_add_co_ci_u32_e64 v58, null, s9, v3, vcc_lo
	v_add3_u32 v7, v7, v14, v13
	v_add_co_u32 v59, vcc_lo, s10, v2
	s_wait_alu 0xfffd
	v_add_co_ci_u32_e64 v60, null, s11, v3, vcc_lo
	v_add_co_u32 v10, vcc_lo, v10, 2
	v_add3_u32 v9, v9, v15, v12
	s_wait_alu 0xfffd
	v_add_co_ci_u32_e64 v11, null, 0, v11, vcc_lo
	v_lshlrev_b64_e32 v[2:3], 3, v[6:7]
	v_mul_lo_u32 v12, s7, v10
	v_lshlrev_b64_e32 v[6:7], 3, v[8:9]
	s_delay_alu instid0(VALU_DEP_4)
	v_mul_lo_u32 v11, s6, v11
	v_mad_co_u64_u32 v[8:9], null, s6, v10, 0
	v_add_co_u32 v61, vcc_lo, s8, v2
	s_wait_alu 0xfffd
	v_add_co_ci_u32_e64 v62, null, s9, v3, vcc_lo
	v_add_co_u32 v63, vcc_lo, s10, v2
	s_wait_alu 0xfffd
	v_add_co_ci_u32_e64 v64, null, s11, v3, vcc_lo
	;; [unrolled: 3-line block ×3, first 2 shown]
	v_add3_u32 v9, v9, v11, v12
	v_add_co_u32 v67, vcc_lo, s10, v6
	s_wait_alu 0xfffd
	v_add_co_ci_u32_e64 v68, null, s11, v7, vcc_lo
	v_add_co_u32 v4, vcc_lo, v4, s6
	s_wait_alu 0xfffd
	v_add_co_ci_u32_e64 v5, null, s7, v5, vcc_lo
	v_lshlrev_b64_e32 v[2:3], 3, v[8:9]
	s_mul_u64 s[22:23], s[6:7], s[20:21]
	s_add_nc_u64 s[18:19], s[0:1], 64
	s_delay_alu instid0(VALU_DEP_2)
	v_lshlrev_b64_e32 v[4:5], 3, v[4:5]
	s_lshl_b64 s[22:23], s[22:23], 3
	s_add_nc_u64 s[24:25], s[14:15], 0x7f
	v_add_co_u32 v69, vcc_lo, s8, v2
	s_wait_alu 0xfffd
	v_add_co_ci_u32_e64 v70, null, s9, v3, vcc_lo
	v_add_co_u32 v71, vcc_lo, s10, v2
	s_wait_alu 0xfffd
	v_add_co_ci_u32_e64 v72, null, s11, v3, vcc_lo
	;; [unrolled: 3-line block ×4, first 2 shown]
	s_mov_b64 s[26:27], s[14:15]
	s_branch .LBB126_5
.LBB126_3:                              ;   in Loop: Header=BB126_5 Depth=1
	s_wait_alu 0xfffe
	s_or_b32 exec_lo, exec_lo, s3
	s_wait_loadcnt 0x0
	v_mul_f64_e32 v[2:3], v[18:19], v[2:3]
	ds_bpermute_b32 v18, v1, v38
	ds_bpermute_b32 v19, v1, v39
	v_mul_f64_e32 v[4:5], v[20:21], v[4:5]
	v_mul_f64_e32 v[6:7], v[22:23], v[6:7]
	;; [unrolled: 1-line block ×3, first 2 shown]
	s_wait_dscnt 0x0
	v_fma_f64 v[2:3], v[2:3], v[18:19], v[36:37]
	ds_bpermute_b32 v18, v1, v38 offset:4
	ds_bpermute_b32 v19, v1, v39 offset:4
	s_wait_dscnt 0x0
	v_fma_f64 v[2:3], v[4:5], v[18:19], v[2:3]
	ds_bpermute_b32 v4, v1, v38 offset:8
	ds_bpermute_b32 v5, v1, v39 offset:8
	;; [unrolled: 4-line block ×3, first 2 shown]
	v_mul_f64_e32 v[6:7], v[26:27], v[10:11]
	s_wait_dscnt 0x0
	v_fma_f64 v[2:3], v[8:9], v[4:5], v[2:3]
	ds_bpermute_b32 v4, v1, v38 offset:16
	ds_bpermute_b32 v5, v1, v39 offset:16
	v_mul_f64_e32 v[8:9], v[28:29], v[12:13]
	s_wait_dscnt 0x0
	v_fma_f64 v[2:3], v[6:7], v[4:5], v[2:3]
	ds_bpermute_b32 v4, v1, v38 offset:20
	ds_bpermute_b32 v5, v1, v39 offset:20
	;; [unrolled: 1-line block ×4, first 2 shown]
	s_wait_dscnt 0x2
	v_fma_f64 v[2:3], v[8:9], v[4:5], v[2:3]
	v_mul_f64_e32 v[4:5], v[30:31], v[14:15]
	s_wait_dscnt 0x0
	s_delay_alu instid0(VALU_DEP_1)
	v_fma_f64 v[40:41], v[4:5], v[6:7], v[2:3]
	ds_bpermute_b32 v2, v1, v38 offset:28
	ds_bpermute_b32 v3, v1, v39 offset:28
.LBB126_4:                              ;   in Loop: Header=BB126_5 Depth=1
	v_mul_f64_e32 v[4:5], v[16:17], v[32:33]
	v_add_co_u32 v45, vcc_lo, v45, s22
	s_wait_alu 0xfffd
	v_add_co_ci_u32_e64 v46, null, s23, v46, vcc_lo
	v_add_co_u32 v47, vcc_lo, v47, s22
	s_wait_alu 0xfffd
	v_add_co_ci_u32_e64 v48, null, s23, v48, vcc_lo
	;; [unrolled: 3-line block ×9, first 2 shown]
	v_add_co_u32 v63, vcc_lo, v63, s22
	s_wait_dscnt 0x0
	v_fma_f64 v[36:37], v[4:5], v[2:3], v[40:41]
	s_wait_alu 0xfffd
	v_add_co_ci_u32_e64 v64, null, s23, v64, vcc_lo
	v_add_co_u32 v65, vcc_lo, v65, s22
	s_wait_alu 0xfffd
	v_add_co_ci_u32_e64 v66, null, s23, v66, vcc_lo
	v_add_co_u32 v67, vcc_lo, v67, s22
	;; [unrolled: 3-line block ×4, first 2 shown]
	s_add_nc_u64 s[26:27], s[26:27], s[20:21]
	s_wait_alu 0xfffd
	v_add_co_ci_u32_e64 v72, null, s23, v72, vcc_lo
	v_add_co_u32 v73, vcc_lo, v73, s22
	s_wait_alu 0xfffe
	v_cmp_lt_i64_e64 s3, s[26:27], s[4:5]
	s_wait_alu 0xfffd
	v_add_co_ci_u32_e64 v74, null, s23, v74, vcc_lo
	v_add_co_u32 v75, vcc_lo, v75, s22
	s_wait_alu 0xfffd
	v_add_co_ci_u32_e64 v76, null, s23, v76, vcc_lo
	s_and_b32 vcc_lo, exec_lo, s3
	s_add_nc_u64 s[24:25], s[24:25], s[20:21]
	s_wait_alu 0xfffe
	s_cbranch_vccz .LBB126_49
.LBB126_5:                              ; =>This Inner Loop Header: Depth=1
	v_cmp_ge_i64_e64 s3, s[24:25], s[4:5]
	v_add_co_u32 v77, s16, v43, s24
	s_wait_alu 0xf1ff
	v_add_co_ci_u32_e64 v78, null, 0, s25, s16
                                        ; implicit-def: $vgpr2_vgpr3_vgpr4_vgpr5_vgpr6_vgpr7_vgpr8_vgpr9_vgpr10_vgpr11_vgpr12_vgpr13_vgpr14_vgpr15_vgpr16_vgpr17
                                        ; implicit-def: $vgpr40_vgpr41
                                        ; implicit-def: $vgpr18_vgpr19_vgpr20_vgpr21_vgpr22_vgpr23_vgpr24_vgpr25_vgpr26_vgpr27_vgpr28_vgpr29_vgpr30_vgpr31_vgpr32_vgpr33
                                        ; implicit-def: $vgpr2
	s_and_b32 vcc_lo, exec_lo, s3
	s_mov_b32 s3, -1
	s_wait_alu 0xfffe
	s_cbranch_vccz .LBB126_27
; %bb.6:                                ;   in Loop: Header=BB126_5 Depth=1
	s_load_b32 s3, s[18:19], 0xc
	v_mov_b32_e32 v38, 0
	v_mov_b32_e32 v39, 0
	s_wait_kmcnt 0x0
	s_and_b32 s3, s3, 0xffff
	s_wait_alu 0xfffe
	v_mad_u32_u24 v2, v42, s3, v44
	s_mov_b32 s3, exec_lo
	s_delay_alu instid0(VALU_DEP_1) | instskip(NEXT) | instid1(VALU_DEP_1)
	v_and_b32_e32 v2, 31, v2
	v_cmpx_gt_u32_e32 8, v2
	s_cbranch_execz .LBB126_10
; %bb.7:                                ;   in Loop: Header=BB126_5 Depth=1
	v_add_co_u32 v2, vcc_lo, v77, v2
	s_wait_alu 0xfffd
	v_add_co_ci_u32_e64 v3, null, 0, v78, vcc_lo
	v_mov_b32_e32 v38, 0
	s_delay_alu instid0(VALU_DEP_3) | instskip(SKIP_1) | instid1(VALU_DEP_3)
	v_add_co_u32 v2, vcc_lo, 0xffffff81, v2
	s_wait_alu 0xfffd
	v_add_co_ci_u32_e64 v3, null, -1, v3, vcc_lo
	v_mov_b32_e32 v39, 0
	s_mov_b32 s16, exec_lo
	s_delay_alu instid0(VALU_DEP_2)
	v_cmpx_gt_i64_e64 s[4:5], v[2:3]
	s_cbranch_execz .LBB126_9
; %bb.8:                                ;   in Loop: Header=BB126_5 Depth=1
	v_lshlrev_b64_e32 v[2:3], 3, v[2:3]
	s_delay_alu instid0(VALU_DEP_1) | instskip(SKIP_1) | instid1(VALU_DEP_2)
	v_add_co_u32 v2, vcc_lo, s12, v2
	s_wait_alu 0xfffd
	v_add_co_ci_u32_e64 v3, null, s13, v3, vcc_lo
	global_load_b64 v[38:39], v[2:3], off
.LBB126_9:                              ;   in Loop: Header=BB126_5 Depth=1
	s_wait_alu 0xfffe
	s_or_b32 exec_lo, exec_lo, s16
.LBB126_10:                             ;   in Loop: Header=BB126_5 Depth=1
	s_wait_alu 0xfffe
	s_or_b32 exec_lo, exec_lo, s3
	v_add_co_u32 v17, vcc_lo, 0xffffff81, v77
	s_wait_alu 0xfffd
	v_add_co_ci_u32_e64 v18, null, -1, v78, vcc_lo
	v_mov_b32_e32 v16, v1
	v_dual_mov_b32 v2, v1 :: v_dual_mov_b32 v3, v1
	v_dual_mov_b32 v4, v1 :: v_dual_mov_b32 v5, v1
	;; [unrolled: 1-line block ×7, first 2 shown]
	v_cmp_gt_i64_e32 vcc_lo, s[4:5], v[17:18]
	s_delay_alu instid0(VALU_DEP_3) | instskip(NEXT) | instid1(VALU_DEP_3)
	v_dual_mov_b32 v33, v16 :: v_dual_mov_b32 v30, v13
	v_dual_mov_b32 v31, v14 :: v_dual_mov_b32 v32, v15
	;; [unrolled: 1-line block ×8, first 2 shown]
	v_mov_b32_e32 v17, v16
	v_mov_b32_e32 v16, v15
	v_mov_b32_e32 v15, v14
	v_mov_b32_e32 v14, v13
	v_mov_b32_e32 v13, v12
	v_mov_b32_e32 v12, v11
	v_mov_b32_e32 v11, v10
	v_mov_b32_e32 v10, v9
	v_mov_b32_e32 v9, v8
	v_mov_b32_e32 v8, v7
	v_mov_b32_e32 v7, v6
	v_mov_b32_e32 v6, v5
	v_mov_b32_e32 v5, v4
	v_mov_b32_e32 v4, v3
	v_mov_b32_e32 v3, v2
	v_mov_b32_e32 v2, v1
	s_and_b32 s16, s2, vcc_lo
	s_wait_alu 0xfffe
	s_and_saveexec_b32 s3, s16
	s_cbranch_execz .LBB126_12
; %bb.11:                               ;   in Loop: Header=BB126_5 Depth=1
	v_add_co_u32 v2, vcc_lo, v45, v34
	s_wait_alu 0xfffd
	v_add_co_ci_u32_e64 v3, null, v46, v35, vcc_lo
	v_add_co_u32 v4, vcc_lo, v47, v34
	s_wait_alu 0xfffd
	v_add_co_ci_u32_e64 v5, null, v48, v35, vcc_lo
	global_load_b64 v[2:3], v[2:3], off
	global_load_b64 v[18:19], v[4:5], off
	v_dual_mov_b32 v4, v1 :: v_dual_mov_b32 v5, v1
	v_dual_mov_b32 v6, v1 :: v_dual_mov_b32 v7, v1
	;; [unrolled: 1-line block ×14, first 2 shown]
.LBB126_12:                             ;   in Loop: Header=BB126_5 Depth=1
	s_wait_alu 0xfffe
	s_or_b32 exec_lo, exec_lo, s3
	v_add_co_u32 v40, vcc_lo, 0xffffff82, v77
	s_wait_alu 0xfffd
	v_add_co_ci_u32_e64 v41, null, -1, v78, vcc_lo
	s_delay_alu instid0(VALU_DEP_1)
	v_cmp_gt_i64_e32 vcc_lo, s[4:5], v[40:41]
	s_and_b32 s16, s2, vcc_lo
	s_wait_alu 0xfffe
	s_and_saveexec_b32 s3, s16
	s_cbranch_execz .LBB126_14
; %bb.13:                               ;   in Loop: Header=BB126_5 Depth=1
	v_add_co_u32 v4, vcc_lo, v73, v34
	s_wait_alu 0xfffd
	v_add_co_ci_u32_e64 v5, null, v74, v35, vcc_lo
	v_add_co_u32 v20, vcc_lo, v75, v34
	s_wait_alu 0xfffd
	v_add_co_ci_u32_e64 v21, null, v76, v35, vcc_lo
	global_load_b64 v[4:5], v[4:5], off
	global_load_b64 v[20:21], v[20:21], off
.LBB126_14:                             ;   in Loop: Header=BB126_5 Depth=1
	s_wait_alu 0xfffe
	s_or_b32 exec_lo, exec_lo, s3
	v_add_co_u32 v40, vcc_lo, 0xffffff83, v77
	s_wait_alu 0xfffd
	v_add_co_ci_u32_e64 v41, null, -1, v78, vcc_lo
	s_delay_alu instid0(VALU_DEP_1)
	v_cmp_gt_i64_e32 vcc_lo, s[4:5], v[40:41]
	s_and_b32 s16, s2, vcc_lo
	s_wait_alu 0xfffe
	s_and_saveexec_b32 s3, s16
	s_cbranch_execz .LBB126_16
; %bb.15:                               ;   in Loop: Header=BB126_5 Depth=1
	v_add_co_u32 v6, vcc_lo, v69, v34
	s_wait_alu 0xfffd
	v_add_co_ci_u32_e64 v7, null, v70, v35, vcc_lo
	v_add_co_u32 v22, vcc_lo, v71, v34
	s_wait_alu 0xfffd
	v_add_co_ci_u32_e64 v23, null, v72, v35, vcc_lo
	global_load_b64 v[6:7], v[6:7], off
	global_load_b64 v[22:23], v[22:23], off
.LBB126_16:                             ;   in Loop: Header=BB126_5 Depth=1
	;; [unrolled: 21-line block ×7, first 2 shown]
	s_wait_alu 0xfffe
	s_or_b32 exec_lo, exec_lo, s3
	s_wait_loadcnt 0x0
	v_mul_f64_e32 v[2:3], v[18:19], v[2:3]
	ds_bpermute_b32 v18, v1, v38
	ds_bpermute_b32 v19, v1, v39
	v_mul_f64_e32 v[4:5], v[20:21], v[4:5]
	v_mul_f64_e32 v[6:7], v[22:23], v[6:7]
	;; [unrolled: 1-line block ×3, first 2 shown]
	s_mov_b32 s3, 0
	s_wait_dscnt 0x0
	v_fma_f64 v[2:3], v[2:3], v[18:19], v[36:37]
	ds_bpermute_b32 v18, v1, v38 offset:4
	ds_bpermute_b32 v19, v1, v39 offset:4
	s_wait_dscnt 0x0
	v_fma_f64 v[2:3], v[4:5], v[18:19], v[2:3]
	ds_bpermute_b32 v4, v1, v38 offset:8
	ds_bpermute_b32 v5, v1, v39 offset:8
	;; [unrolled: 4-line block ×3, first 2 shown]
	v_mul_f64_e32 v[6:7], v[26:27], v[10:11]
	s_wait_dscnt 0x0
	v_fma_f64 v[2:3], v[8:9], v[4:5], v[2:3]
	ds_bpermute_b32 v4, v1, v38 offset:16
	ds_bpermute_b32 v5, v1, v39 offset:16
	v_mul_f64_e32 v[8:9], v[28:29], v[12:13]
	s_wait_dscnt 0x0
	v_fma_f64 v[2:3], v[6:7], v[4:5], v[2:3]
	ds_bpermute_b32 v4, v1, v38 offset:20
	ds_bpermute_b32 v5, v1, v39 offset:20
	;; [unrolled: 1-line block ×4, first 2 shown]
	s_wait_dscnt 0x2
	v_fma_f64 v[2:3], v[8:9], v[4:5], v[2:3]
	v_mul_f64_e32 v[4:5], v[30:31], v[14:15]
	s_wait_dscnt 0x0
	s_delay_alu instid0(VALU_DEP_1)
	v_fma_f64 v[40:41], v[4:5], v[6:7], v[2:3]
	ds_bpermute_b32 v2, v1, v38 offset:28
	ds_bpermute_b32 v3, v1, v39 offset:28
.LBB126_27:                             ;   in Loop: Header=BB126_5 Depth=1
	s_wait_alu 0xfffe
	s_and_b32 vcc_lo, exec_lo, s3
	s_wait_alu 0xfffe
	s_cbranch_vccz .LBB126_4
; %bb.28:                               ;   in Loop: Header=BB126_5 Depth=1
	s_load_b32 s3, s[18:19], 0x0
	v_mov_b32_e32 v38, 0
	v_mov_b32_e32 v39, 0
	s_wait_kmcnt 0x0
	s_cmp_lt_u32 ttmp9, s3
	s_cselect_b32 s16, 12, 18
	s_wait_alu 0xfffe
	s_add_nc_u64 s[30:31], s[18:19], s[16:17]
	s_load_u16 s3, s[30:31], 0x0
	s_wait_dscnt 0x1
	s_wait_kmcnt 0x0
	v_mad_u32_u24 v2, v42, s3, v44
	s_mov_b32 s3, exec_lo
	s_delay_alu instid0(VALU_DEP_1) | instskip(NEXT) | instid1(VALU_DEP_1)
	v_and_b32_e32 v2, 31, v2
	v_cmpx_gt_u32_e32 8, v2
	s_cbranch_execz .LBB126_32
; %bb.29:                               ;   in Loop: Header=BB126_5 Depth=1
	v_add_co_u32 v2, vcc_lo, v77, v2
	s_wait_dscnt 0x0
	s_wait_alu 0xfffd
	v_add_co_ci_u32_e64 v3, null, 0, v78, vcc_lo
	v_mov_b32_e32 v38, 0
	v_add_co_u32 v2, vcc_lo, 0xffffff81, v2
	s_wait_alu 0xfffd
	s_delay_alu instid0(VALU_DEP_3) | instskip(SKIP_2) | instid1(VALU_DEP_2)
	v_add_co_ci_u32_e64 v3, null, -1, v3, vcc_lo
	v_mov_b32_e32 v39, 0
	s_mov_b32 s16, exec_lo
	v_cmpx_gt_i64_e64 s[4:5], v[2:3]
	s_cbranch_execz .LBB126_31
; %bb.30:                               ;   in Loop: Header=BB126_5 Depth=1
	v_lshlrev_b64_e32 v[2:3], 3, v[2:3]
	s_delay_alu instid0(VALU_DEP_1) | instskip(SKIP_1) | instid1(VALU_DEP_2)
	v_add_co_u32 v2, vcc_lo, s12, v2
	s_wait_alu 0xfffd
	v_add_co_ci_u32_e64 v3, null, s13, v3, vcc_lo
	global_load_b64 v[38:39], v[2:3], off
.LBB126_31:                             ;   in Loop: Header=BB126_5 Depth=1
	s_wait_alu 0xfffe
	s_or_b32 exec_lo, exec_lo, s16
.LBB126_32:                             ;   in Loop: Header=BB126_5 Depth=1
	s_wait_alu 0xfffe
	s_or_b32 exec_lo, exec_lo, s3
	v_mov_b32_e32 v16, v1
	s_wait_dscnt 0x0
	v_dual_mov_b32 v2, v1 :: v_dual_mov_b32 v3, v1
	v_dual_mov_b32 v4, v1 :: v_dual_mov_b32 v5, v1
	;; [unrolled: 1-line block ×7, first 2 shown]
	v_mov_b32_e32 v33, v16
	s_delay_alu instid0(VALU_DEP_3) | instskip(NEXT) | instid1(VALU_DEP_3)
	v_dual_mov_b32 v29, v12 :: v_dual_mov_b32 v28, v11
	v_dual_mov_b32 v31, v14 :: v_dual_mov_b32 v30, v13
	s_delay_alu instid0(VALU_DEP_4)
	v_dual_mov_b32 v32, v15 :: v_dual_mov_b32 v27, v10
	v_dual_mov_b32 v26, v9 :: v_dual_mov_b32 v25, v8
	;; [unrolled: 1-line block ×6, first 2 shown]
	v_mov_b32_e32 v16, v15
	v_mov_b32_e32 v15, v14
	;; [unrolled: 1-line block ×15, first 2 shown]
	s_and_saveexec_b32 s3, s2
	s_cbranch_execnz .LBB126_40
; %bb.33:                               ;   in Loop: Header=BB126_5 Depth=1
	s_wait_alu 0xfffe
	s_or_b32 exec_lo, exec_lo, s3
	s_and_saveexec_b32 s3, s2
	s_cbranch_execnz .LBB126_41
.LBB126_34:                             ;   in Loop: Header=BB126_5 Depth=1
	s_wait_alu 0xfffe
	s_or_b32 exec_lo, exec_lo, s3
	s_and_saveexec_b32 s3, s2
	s_cbranch_execnz .LBB126_42
.LBB126_35:                             ;   in Loop: Header=BB126_5 Depth=1
	s_wait_alu 0xfffe
	s_or_b32 exec_lo, exec_lo, s3
	s_and_saveexec_b32 s3, s2
	s_cbranch_execnz .LBB126_43
.LBB126_36:                             ;   in Loop: Header=BB126_5 Depth=1
	s_wait_alu 0xfffe
	s_or_b32 exec_lo, exec_lo, s3
	s_and_saveexec_b32 s3, s2
	s_cbranch_execnz .LBB126_44
.LBB126_37:                             ;   in Loop: Header=BB126_5 Depth=1
	s_wait_alu 0xfffe
	s_or_b32 exec_lo, exec_lo, s3
	s_and_saveexec_b32 s3, s2
	s_cbranch_execnz .LBB126_45
.LBB126_38:                             ;   in Loop: Header=BB126_5 Depth=1
	s_wait_alu 0xfffe
	s_or_b32 exec_lo, exec_lo, s3
	s_and_saveexec_b32 s3, s2
	s_cbranch_execnz .LBB126_46
.LBB126_39:                             ;   in Loop: Header=BB126_5 Depth=1
	s_wait_alu 0xfffe
	s_or_b32 exec_lo, exec_lo, s3
	s_and_saveexec_b32 s3, s2
	s_cbranch_execz .LBB126_3
	s_branch .LBB126_47
.LBB126_40:                             ;   in Loop: Header=BB126_5 Depth=1
	v_add_co_u32 v2, vcc_lo, v45, v34
	s_wait_alu 0xfffd
	v_add_co_ci_u32_e64 v3, null, v46, v35, vcc_lo
	v_add_co_u32 v4, vcc_lo, v47, v34
	s_wait_alu 0xfffd
	v_add_co_ci_u32_e64 v5, null, v48, v35, vcc_lo
	global_load_b64 v[2:3], v[2:3], off
	global_load_b64 v[18:19], v[4:5], off
	v_dual_mov_b32 v4, v1 :: v_dual_mov_b32 v5, v1
	v_dual_mov_b32 v6, v1 :: v_dual_mov_b32 v7, v1
	;; [unrolled: 1-line block ×14, first 2 shown]
	s_wait_alu 0xfffe
	s_or_b32 exec_lo, exec_lo, s3
	s_and_saveexec_b32 s3, s2
	s_cbranch_execz .LBB126_34
.LBB126_41:                             ;   in Loop: Header=BB126_5 Depth=1
	v_add_co_u32 v4, vcc_lo, v73, v34
	s_wait_alu 0xfffd
	v_add_co_ci_u32_e64 v5, null, v74, v35, vcc_lo
	v_add_co_u32 v20, vcc_lo, v75, v34
	s_wait_alu 0xfffd
	v_add_co_ci_u32_e64 v21, null, v76, v35, vcc_lo
	global_load_b64 v[4:5], v[4:5], off
	global_load_b64 v[20:21], v[20:21], off
	s_wait_alu 0xfffe
	s_or_b32 exec_lo, exec_lo, s3
	s_and_saveexec_b32 s3, s2
	s_cbranch_execz .LBB126_35
.LBB126_42:                             ;   in Loop: Header=BB126_5 Depth=1
	v_add_co_u32 v6, vcc_lo, v69, v34
	s_wait_alu 0xfffd
	v_add_co_ci_u32_e64 v7, null, v70, v35, vcc_lo
	v_add_co_u32 v22, vcc_lo, v71, v34
	s_wait_alu 0xfffd
	v_add_co_ci_u32_e64 v23, null, v72, v35, vcc_lo
	global_load_b64 v[6:7], v[6:7], off
	global_load_b64 v[22:23], v[22:23], off
	s_wait_alu 0xfffe
	s_or_b32 exec_lo, exec_lo, s3
	s_and_saveexec_b32 s3, s2
	s_cbranch_execz .LBB126_36
.LBB126_43:                             ;   in Loop: Header=BB126_5 Depth=1
	v_add_co_u32 v8, vcc_lo, v65, v34
	s_wait_alu 0xfffd
	v_add_co_ci_u32_e64 v9, null, v66, v35, vcc_lo
	v_add_co_u32 v24, vcc_lo, v67, v34
	s_wait_alu 0xfffd
	v_add_co_ci_u32_e64 v25, null, v68, v35, vcc_lo
	global_load_b64 v[8:9], v[8:9], off
	global_load_b64 v[24:25], v[24:25], off
	s_wait_alu 0xfffe
	s_or_b32 exec_lo, exec_lo, s3
	s_and_saveexec_b32 s3, s2
	s_cbranch_execz .LBB126_37
.LBB126_44:                             ;   in Loop: Header=BB126_5 Depth=1
	v_add_co_u32 v10, vcc_lo, v61, v34
	s_wait_alu 0xfffd
	v_add_co_ci_u32_e64 v11, null, v62, v35, vcc_lo
	v_add_co_u32 v26, vcc_lo, v63, v34
	s_wait_alu 0xfffd
	v_add_co_ci_u32_e64 v27, null, v64, v35, vcc_lo
	global_load_b64 v[10:11], v[10:11], off
	global_load_b64 v[26:27], v[26:27], off
	s_wait_alu 0xfffe
	s_or_b32 exec_lo, exec_lo, s3
	s_and_saveexec_b32 s3, s2
	s_cbranch_execz .LBB126_38
.LBB126_45:                             ;   in Loop: Header=BB126_5 Depth=1
	v_add_co_u32 v12, vcc_lo, v57, v34
	s_wait_alu 0xfffd
	v_add_co_ci_u32_e64 v13, null, v58, v35, vcc_lo
	v_add_co_u32 v28, vcc_lo, v59, v34
	s_wait_alu 0xfffd
	v_add_co_ci_u32_e64 v29, null, v60, v35, vcc_lo
	global_load_b64 v[12:13], v[12:13], off
	global_load_b64 v[28:29], v[28:29], off
	s_wait_alu 0xfffe
	s_or_b32 exec_lo, exec_lo, s3
	s_and_saveexec_b32 s3, s2
	s_cbranch_execz .LBB126_39
.LBB126_46:                             ;   in Loop: Header=BB126_5 Depth=1
	v_add_co_u32 v14, vcc_lo, v53, v34
	s_wait_alu 0xfffd
	v_add_co_ci_u32_e64 v15, null, v54, v35, vcc_lo
	v_add_co_u32 v30, vcc_lo, v55, v34
	s_wait_alu 0xfffd
	v_add_co_ci_u32_e64 v31, null, v56, v35, vcc_lo
	global_load_b64 v[14:15], v[14:15], off
	global_load_b64 v[30:31], v[30:31], off
	s_wait_alu 0xfffe
	s_or_b32 exec_lo, exec_lo, s3
	s_and_saveexec_b32 s3, s2
	s_cbranch_execz .LBB126_3
.LBB126_47:                             ;   in Loop: Header=BB126_5 Depth=1
	v_add_co_u32 v16, vcc_lo, v49, v34
	s_wait_alu 0xfffd
	v_add_co_ci_u32_e64 v17, null, v50, v35, vcc_lo
	v_add_co_u32 v32, vcc_lo, v51, v34
	s_wait_alu 0xfffd
	v_add_co_ci_u32_e64 v33, null, v52, v35, vcc_lo
	global_load_b64 v[16:17], v[16:17], off
	global_load_b64 v[32:33], v[32:33], off
	s_branch .LBB126_3
.LBB126_48:
                                        ; implicit-def: $vgpr36_vgpr37
	s_branch .LBB126_50
.LBB126_49:
	s_cbranch_execnz .LBB126_82
.LBB126_50:
	v_mov_b32_e32 v36, 0
	v_mov_b32_e32 v37, 0
	s_and_not1_b32 vcc_lo, exec_lo, s29
	s_wait_alu 0xfffe
	s_cbranch_vccnz .LBB126_82
; %bb.51:
	v_bfe_u32 v68, v0, 10, 10
	v_dual_mov_b32 v1, 0 :: v_dual_and_b32 v70, 0x3ff, v0
	s_lshl_b64 s[18:19], s[14:15], 3
	s_mov_b32 s3, 0
	s_delay_alu instid0(VALU_DEP_2) | instskip(SKIP_2) | instid1(VALU_DEP_3)
	v_dual_mov_b32 v66, 0 :: v_dual_lshlrev_b32 v69, 3, v68
	v_dual_mov_b32 v67, 0 :: v_dual_lshlrev_b32 v8, 6, v68
	v_dual_mov_b32 v5, v1 :: v_dual_add_nc_u32 v4, s28, v70
	v_add_co_u32 v10, s2, v69, s14
	s_wait_alu 0xf1ff
	v_add_co_ci_u32_e64 v11, null, 0, 0, s2
	s_delay_alu instid0(VALU_DEP_3) | instskip(NEXT) | instid1(VALU_DEP_3)
	v_lshlrev_b64_e32 v[34:35], 3, v[4:5]
	v_mul_lo_u32 v6, s7, v10
	v_mad_co_u64_u32 v[2:3], null, s6, v10, 0
	s_delay_alu instid0(VALU_DEP_4) | instskip(SKIP_2) | instid1(VALU_DEP_1)
	v_mul_lo_u32 v7, s6, v11
	s_load_b32 s2, s[0:1], 0x44
	s_mov_b32 s17, s3
	v_add3_u32 v3, v3, v7, v6
	v_add_co_u32 v6, s16, v8, s18
	s_wait_alu 0xf1ff
	v_add_co_ci_u32_e64 v7, null, 0, s19, s16
	s_delay_alu instid0(VALU_DEP_3) | instskip(NEXT) | instid1(VALU_DEP_3)
	v_lshlrev_b64_e32 v[4:5], 3, v[2:3]
	v_add_co_u32 v8, vcc_lo, v6, 8
	s_wait_alu 0xfffd
	s_delay_alu instid0(VALU_DEP_3) | instskip(NEXT) | instid1(VALU_DEP_3)
	v_add_co_ci_u32_e64 v9, null, 0, v7, vcc_lo
	v_add_co_u32 v71, vcc_lo, s8, v4
	s_wait_alu 0xfffd
	v_add_co_ci_u32_e64 v72, null, s9, v5, vcc_lo
	v_add_co_u32 v73, vcc_lo, s10, v4
	s_wait_alu 0xfffd
	;; [unrolled: 3-line block ×5, first 2 shown]
	v_add_co_ci_u32_e64 v18, null, 0, v7, vcc_lo
	v_add_co_u32 v19, vcc_lo, v6, 40
	v_mad_co_u64_u32 v[40:41], null, s6, v4, s[8:9]
	v_mul_lo_u32 v5, s6, v5
	v_mul_lo_u32 v15, s7, v4
	v_mad_co_u64_u32 v[54:55], null, s6, v4, s[10:11]
	s_wait_alu 0xfffd
	v_add_co_ci_u32_e64 v20, null, 0, v7, vcc_lo
	v_add_co_u32 v22, vcc_lo, v6, 48
	s_wait_alu 0xfffd
	v_add_co_ci_u32_e64 v24, null, 0, v7, vcc_lo
	v_add_co_u32 v6, vcc_lo, v6, 56
	v_mad_co_u64_u32 v[38:39], null, s6, v8, s[8:9]
	v_mul_lo_u32 v9, s6, v9
	v_mul_lo_u32 v12, s7, v8
	v_mad_co_u64_u32 v[52:53], null, s6, v8, s[10:11]
	s_wait_alu 0xfffd
	v_add_co_ci_u32_e64 v7, null, 0, v7, vcc_lo
	v_add_co_u32 v4, vcc_lo, v10, 7
	v_add3_u32 v41, v15, v41, v5
	v_add3_u32 v55, v15, v55, v5
	s_wait_alu 0xfffd
	v_add_co_ci_u32_e64 v5, null, 0, v11, vcc_lo
	v_mul_lo_u32 v26, s6, v7
	v_add_co_u32 v7, vcc_lo, v10, 6
	v_add3_u32 v39, v12, v39, v9
	v_add3_u32 v53, v12, v53, v9
	s_wait_alu 0xfffd
	v_add_co_ci_u32_e64 v12, null, 0, v11, vcc_lo
	v_mul_lo_u32 v8, s7, v4
	v_mul_lo_u32 v9, s6, v5
	v_mad_co_u64_u32 v[4:5], null, s6, v4, 0
	v_mad_co_u64_u32 v[42:43], null, s6, v13, s[8:9]
	v_mul_lo_u32 v17, s7, v13
	v_mad_co_u64_u32 v[50:51], null, s6, v6, s[8:9]
	v_mul_lo_u32 v27, s7, v6
	v_mad_co_u64_u32 v[56:57], null, s6, v13, s[10:11]
	v_mad_co_u64_u32 v[64:65], null, s6, v6, s[10:11]
	v_mul_lo_u32 v13, s7, v7
	v_mul_lo_u32 v12, s6, v12
	v_mad_co_u64_u32 v[6:7], null, s6, v7, 0
	v_add3_u32 v5, v5, v9, v8
	v_add_co_u32 v8, vcc_lo, v10, 5
	s_wait_alu 0xfffd
	v_add_co_ci_u32_e64 v9, null, 0, v11, vcc_lo
	s_delay_alu instid0(VALU_DEP_3) | instskip(SKIP_2) | instid1(VALU_DEP_4)
	v_lshlrev_b64_e32 v[4:5], 3, v[4:5]
	v_add3_u32 v7, v7, v12, v13
	v_mul_lo_u32 v12, s7, v8
	v_mul_lo_u32 v13, s6, v9
	v_mad_co_u64_u32 v[8:9], null, s6, v8, 0
	s_delay_alu instid0(VALU_DEP_4)
	v_lshlrev_b64_e32 v[6:7], 3, v[6:7]
	v_add_co_u32 v75, vcc_lo, s8, v4
	s_wait_alu 0xfffd
	v_add_co_ci_u32_e64 v76, null, s9, v5, vcc_lo
	v_add_co_u32 v77, vcc_lo, s10, v4
	s_wait_alu 0xfffd
	v_add_co_ci_u32_e64 v78, null, s11, v5, vcc_lo
	v_add_co_u32 v79, vcc_lo, s8, v6
	v_mul_lo_u32 v14, s6, v14
	v_add3_u32 v9, v9, v13, v12
	s_wait_alu 0xfffd
	v_add_co_ci_u32_e64 v80, null, s9, v7, vcc_lo
	v_add_co_u32 v12, vcc_lo, v10, 4
	s_wait_kmcnt 0x0
	s_lshl_b32 s16, s2, 7
	v_add_co_u32 v81, s2, s10, v6
	s_wait_alu 0xfffd
	v_add_co_ci_u32_e64 v6, null, 0, v11, vcc_lo
	v_lshlrev_b64_e32 v[4:5], 3, v[8:9]
	v_add_co_u32 v8, vcc_lo, v10, 3
	s_wait_alu 0xfffd
	v_add_co_ci_u32_e64 v9, null, 0, v11, vcc_lo
	v_add3_u32 v43, v17, v43, v14
	v_add3_u32 v57, v17, v57, v14
	s_wait_alu 0xf1ff
	v_add_co_ci_u32_e64 v82, null, s11, v7, s2
	v_mul_lo_u32 v13, s7, v12
	v_mul_lo_u32 v14, s6, v6
	v_mad_co_u64_u32 v[6:7], null, s6, v12, 0
	v_mul_lo_u32 v12, s7, v8
	v_mul_lo_u32 v15, s6, v9
	v_mad_co_u64_u32 v[8:9], null, s6, v8, 0
	v_add_co_u32 v83, vcc_lo, s8, v4
	s_wait_alu 0xfffd
	v_add_co_ci_u32_e64 v84, null, s9, v5, vcc_lo
	v_add3_u32 v7, v7, v14, v13
	v_add_co_u32 v85, vcc_lo, s10, v4
	s_wait_alu 0xfffd
	v_add_co_ci_u32_e64 v86, null, s11, v5, vcc_lo
	v_add_co_u32 v10, vcc_lo, v10, 2
	v_add3_u32 v9, v9, v15, v12
	s_wait_alu 0xfffd
	v_add_co_ci_u32_e64 v11, null, 0, v11, vcc_lo
	v_lshlrev_b64_e32 v[4:5], 3, v[6:7]
	v_mul_lo_u32 v12, s7, v10
	v_lshlrev_b64_e32 v[6:7], 3, v[8:9]
	s_delay_alu instid0(VALU_DEP_4)
	v_mul_lo_u32 v11, s6, v11
	v_mad_co_u64_u32 v[8:9], null, s6, v10, 0
	v_add_co_u32 v87, vcc_lo, s8, v4
	s_wait_alu 0xfffd
	v_add_co_ci_u32_e64 v88, null, s9, v5, vcc_lo
	v_add_co_u32 v89, vcc_lo, s10, v4
	s_wait_alu 0xfffd
	v_add_co_ci_u32_e64 v90, null, s11, v5, vcc_lo
	;; [unrolled: 3-line block ×3, first 2 shown]
	v_add3_u32 v9, v9, v11, v12
	v_add_co_u32 v93, vcc_lo, s10, v6
	s_wait_alu 0xfffd
	v_add_co_ci_u32_e64 v94, null, s11, v7, vcc_lo
	v_add_co_u32 v2, vcc_lo, v2, s6
	s_wait_alu 0xfffd
	v_add_co_ci_u32_e64 v3, null, s7, v3, vcc_lo
	v_lshlrev_b64_e32 v[4:5], 3, v[8:9]
	v_mad_co_u64_u32 v[44:45], null, s6, v16, s[8:9]
	s_delay_alu instid0(VALU_DEP_3)
	v_lshlrev_b64_e32 v[2:3], 3, v[2:3]
	v_mul_lo_u32 v18, s6, v18
	v_mul_lo_u32 v21, s7, v16
	v_mad_co_u64_u32 v[46:47], null, s6, v19, s[8:9]
	v_mul_lo_u32 v20, s6, v20
	v_mul_lo_u32 v23, s7, v19
	v_mad_co_u64_u32 v[48:49], null, s6, v22, s[8:9]
	;; [unrolled: 3-line block ×3, first 2 shown]
	v_mad_co_u64_u32 v[60:61], null, s6, v19, s[10:11]
	v_mad_co_u64_u32 v[62:63], null, s6, v22, s[10:11]
	v_add_co_u32 v95, vcc_lo, s8, v4
	s_wait_alu 0xfffd
	v_add_co_ci_u32_e64 v96, null, s9, v5, vcc_lo
	v_add_co_u32 v97, vcc_lo, s10, v4
	s_wait_alu 0xfffd
	v_add_co_ci_u32_e64 v98, null, s11, v5, vcc_lo
	;; [unrolled: 3-line block ×3, first 2 shown]
	v_add_co_u32 v101, vcc_lo, s10, v2
	v_add3_u32 v45, v21, v45, v18
	v_add3_u32 v47, v23, v47, v20
	;; [unrolled: 1-line block ×8, first 2 shown]
	s_wait_alu 0xfffd
	v_add_co_ci_u32_e64 v102, null, s11, v3, vcc_lo
	s_wait_alu 0xfffe
	s_mul_u64 s[18:19], s[6:7], s[16:17]
	s_add_nc_u64 s[8:9], s[0:1], 64
	s_wait_alu 0xfffe
	s_lshl_b64 s[10:11], s[18:19], 3
	s_add_nc_u64 s[18:19], s[14:15], 0x7f
.LBB126_52:                             ; =>This Inner Loop Header: Depth=1
	s_wait_alu 0xfffe
	v_cmp_ge_i64_e64 s2, s[18:19], s[4:5]
	v_add_co_u32 v103, s20, v69, s18
	s_wait_alu 0xf1ff
	v_add_co_ci_u32_e64 v104, null, 0, s19, s20
                                        ; implicit-def: $vgpr36_vgpr37
	s_and_b32 vcc_lo, exec_lo, s2
	s_mov_b32 s2, -1
	s_wait_alu 0xfffe
	s_cbranch_vccz .LBB126_74
; %bb.53:                               ;   in Loop: Header=BB126_52 Depth=1
	s_load_b32 s2, s[8:9], 0xc
	v_mov_b32_e32 v36, 0
	v_mov_b32_e32 v37, 0
	s_wait_kmcnt 0x0
	s_and_b32 s2, s2, 0xffff
	s_wait_alu 0xfffe
	v_mad_u32_u24 v2, v68, s2, v70
	s_mov_b32 s2, exec_lo
	s_delay_alu instid0(VALU_DEP_1) | instskip(NEXT) | instid1(VALU_DEP_1)
	v_and_b32_e32 v2, 31, v2
	v_cmpx_gt_u32_e32 8, v2
	s_cbranch_execz .LBB126_57
; %bb.54:                               ;   in Loop: Header=BB126_52 Depth=1
	v_add_co_u32 v2, vcc_lo, v103, v2
	s_wait_alu 0xfffd
	v_add_co_ci_u32_e64 v3, null, 0, v104, vcc_lo
	v_mov_b32_e32 v36, 0
	s_delay_alu instid0(VALU_DEP_3) | instskip(SKIP_1) | instid1(VALU_DEP_3)
	v_add_co_u32 v2, vcc_lo, 0xffffff81, v2
	s_wait_alu 0xfffd
	v_add_co_ci_u32_e64 v3, null, -1, v3, vcc_lo
	v_mov_b32_e32 v37, 0
	s_mov_b32 s20, exec_lo
	s_delay_alu instid0(VALU_DEP_2)
	v_cmpx_gt_i64_e64 s[4:5], v[2:3]
	s_cbranch_execz .LBB126_56
; %bb.55:                               ;   in Loop: Header=BB126_52 Depth=1
	v_lshlrev_b64_e32 v[2:3], 3, v[2:3]
	s_delay_alu instid0(VALU_DEP_1) | instskip(SKIP_1) | instid1(VALU_DEP_2)
	v_add_co_u32 v2, vcc_lo, s12, v2
	s_wait_alu 0xfffd
	v_add_co_ci_u32_e64 v3, null, s13, v3, vcc_lo
	global_load_b64 v[36:37], v[2:3], off
.LBB126_56:                             ;   in Loop: Header=BB126_52 Depth=1
	s_wait_alu 0xfffe
	s_or_b32 exec_lo, exec_lo, s20
.LBB126_57:                             ;   in Loop: Header=BB126_52 Depth=1
	s_wait_alu 0xfffe
	s_or_b32 exec_lo, exec_lo, s2
	v_add_co_u32 v17, vcc_lo, 0xffffff81, v103
	s_wait_alu 0xfffd
	v_add_co_ci_u32_e64 v18, null, -1, v104, vcc_lo
	v_mov_b32_e32 v16, v1
	v_dual_mov_b32 v2, v1 :: v_dual_mov_b32 v3, v1
	v_dual_mov_b32 v4, v1 :: v_dual_mov_b32 v5, v1
	;; [unrolled: 1-line block ×7, first 2 shown]
	v_cmp_gt_i64_e32 vcc_lo, s[4:5], v[17:18]
	s_delay_alu instid0(VALU_DEP_3) | instskip(NEXT) | instid1(VALU_DEP_3)
	v_dual_mov_b32 v33, v16 :: v_dual_mov_b32 v30, v13
	v_dual_mov_b32 v31, v14 :: v_dual_mov_b32 v32, v15
	;; [unrolled: 1-line block ×8, first 2 shown]
	v_mov_b32_e32 v17, v16
	v_mov_b32_e32 v16, v15
	;; [unrolled: 1-line block ×16, first 2 shown]
	s_and_saveexec_b32 s2, vcc_lo
	s_cbranch_execz .LBB126_59
; %bb.58:                               ;   in Loop: Header=BB126_52 Depth=1
	v_add_co_u32 v2, vcc_lo, v71, v34
	s_wait_alu 0xfffd
	v_add_co_ci_u32_e64 v3, null, v72, v35, vcc_lo
	v_add_co_u32 v4, vcc_lo, v73, v34
	s_wait_alu 0xfffd
	v_add_co_ci_u32_e64 v5, null, v74, v35, vcc_lo
	global_load_b64 v[2:3], v[2:3], off
	global_load_b64 v[18:19], v[4:5], off
	v_dual_mov_b32 v4, v1 :: v_dual_mov_b32 v5, v1
	v_dual_mov_b32 v6, v1 :: v_dual_mov_b32 v7, v1
	;; [unrolled: 1-line block ×14, first 2 shown]
.LBB126_59:                             ;   in Loop: Header=BB126_52 Depth=1
	s_wait_alu 0xfffe
	s_or_b32 exec_lo, exec_lo, s2
	v_add_co_u32 v105, vcc_lo, 0xffffff82, v103
	s_wait_alu 0xfffd
	v_add_co_ci_u32_e64 v106, null, -1, v104, vcc_lo
	s_mov_b32 s2, exec_lo
	v_cmpx_gt_i64_e64 s[4:5], v[105:106]
	s_cbranch_execz .LBB126_61
; %bb.60:                               ;   in Loop: Header=BB126_52 Depth=1
	v_add_co_u32 v4, vcc_lo, v99, v34
	s_wait_alu 0xfffd
	v_add_co_ci_u32_e64 v5, null, v100, v35, vcc_lo
	v_add_co_u32 v20, vcc_lo, v101, v34
	s_wait_alu 0xfffd
	v_add_co_ci_u32_e64 v21, null, v102, v35, vcc_lo
	global_load_b64 v[4:5], v[4:5], off
	global_load_b64 v[20:21], v[20:21], off
.LBB126_61:                             ;   in Loop: Header=BB126_52 Depth=1
	s_wait_alu 0xfffe
	s_or_b32 exec_lo, exec_lo, s2
	v_add_co_u32 v105, vcc_lo, 0xffffff83, v103
	s_wait_alu 0xfffd
	v_add_co_ci_u32_e64 v106, null, -1, v104, vcc_lo
	s_mov_b32 s2, exec_lo
	v_cmpx_gt_i64_e64 s[4:5], v[105:106]
	s_cbranch_execz .LBB126_63
; %bb.62:                               ;   in Loop: Header=BB126_52 Depth=1
	v_add_co_u32 v6, vcc_lo, v95, v34
	s_wait_alu 0xfffd
	v_add_co_ci_u32_e64 v7, null, v96, v35, vcc_lo
	v_add_co_u32 v22, vcc_lo, v97, v34
	s_wait_alu 0xfffd
	v_add_co_ci_u32_e64 v23, null, v98, v35, vcc_lo
	global_load_b64 v[6:7], v[6:7], off
	global_load_b64 v[22:23], v[22:23], off
.LBB126_63:                             ;   in Loop: Header=BB126_52 Depth=1
	;; [unrolled: 18-line block ×7, first 2 shown]
	s_wait_alu 0xfffe
	s_or_b32 exec_lo, exec_lo, s2
	s_wait_loadcnt 0x0
	v_mul_f64_e32 v[2:3], v[18:19], v[2:3]
	ds_bpermute_b32 v18, v1, v36
	ds_bpermute_b32 v19, v1, v37
	v_mul_f64_e32 v[4:5], v[20:21], v[4:5]
	v_mul_f64_e32 v[6:7], v[22:23], v[6:7]
	;; [unrolled: 1-line block ×3, first 2 shown]
	s_mov_b32 s2, 0
	s_wait_dscnt 0x0
	v_fma_f64 v[2:3], v[2:3], v[18:19], v[66:67]
	ds_bpermute_b32 v18, v1, v36 offset:4
	ds_bpermute_b32 v19, v1, v37 offset:4
	s_wait_dscnt 0x0
	v_fma_f64 v[2:3], v[4:5], v[18:19], v[2:3]
	ds_bpermute_b32 v4, v1, v36 offset:8
	ds_bpermute_b32 v5, v1, v37 offset:8
	;; [unrolled: 4-line block ×3, first 2 shown]
	v_mul_f64_e32 v[6:7], v[26:27], v[10:11]
	s_wait_dscnt 0x0
	v_fma_f64 v[2:3], v[8:9], v[4:5], v[2:3]
	ds_bpermute_b32 v4, v1, v36 offset:16
	ds_bpermute_b32 v5, v1, v37 offset:16
	v_mul_f64_e32 v[8:9], v[28:29], v[12:13]
	s_wait_dscnt 0x0
	v_fma_f64 v[2:3], v[6:7], v[4:5], v[2:3]
	ds_bpermute_b32 v4, v1, v36 offset:20
	ds_bpermute_b32 v5, v1, v37 offset:20
	;; [unrolled: 5-line block ×3, first 2 shown]
	s_wait_dscnt 0x0
	v_fma_f64 v[2:3], v[6:7], v[4:5], v[2:3]
	v_mul_f64_e32 v[4:5], v[32:33], v[16:17]
	ds_bpermute_b32 v6, v1, v36 offset:28
	ds_bpermute_b32 v7, v1, v37 offset:28
	s_wait_dscnt 0x0
	v_fma_f64 v[36:37], v[4:5], v[6:7], v[2:3]
.LBB126_74:                             ;   in Loop: Header=BB126_52 Depth=1
	s_wait_alu 0xfffe
	s_and_b32 vcc_lo, exec_lo, s2
	s_wait_alu 0xfffe
	s_cbranch_vccz .LBB126_80
; %bb.75:                               ;   in Loop: Header=BB126_52 Depth=1
	s_load_b32 s2, s[8:9], 0x0
	s_wait_kmcnt 0x0
	s_cmp_lt_u32 ttmp9, s2
	s_cselect_b32 s2, 12, 18
	s_wait_alu 0xfffe
	s_add_nc_u64 s[20:21], s[8:9], s[2:3]
	s_load_u16 s2, s[20:21], 0x0
	s_wait_kmcnt 0x0
	v_mad_u32_u24 v2, v68, s2, v70
	s_mov_b32 s2, exec_lo
	s_delay_alu instid0(VALU_DEP_1) | instskip(SKIP_2) | instid1(VALU_DEP_3)
	v_and_b32_e32 v4, 31, v2
	v_mov_b32_e32 v2, 0
	v_mov_b32_e32 v3, 0
	v_cmpx_gt_u32_e32 8, v4
	s_cbranch_execz .LBB126_79
; %bb.76:                               ;   in Loop: Header=BB126_52 Depth=1
	v_add_co_u32 v2, vcc_lo, v103, v4
	s_wait_alu 0xfffd
	v_add_co_ci_u32_e64 v3, null, 0, v104, vcc_lo
	s_mov_b32 s20, exec_lo
	v_add_co_u32 v4, vcc_lo, 0xffffff81, v2
	s_wait_alu 0xfffd
	v_add_co_ci_u32_e64 v5, null, -1, v3, vcc_lo
	v_mov_b32_e32 v2, 0
	v_mov_b32_e32 v3, 0
	s_delay_alu instid0(VALU_DEP_3)
	v_cmpx_gt_i64_e64 s[4:5], v[4:5]
	s_cbranch_execz .LBB126_78
; %bb.77:                               ;   in Loop: Header=BB126_52 Depth=1
	v_lshlrev_b64_e32 v[2:3], 3, v[4:5]
	s_delay_alu instid0(VALU_DEP_1) | instskip(SKIP_1) | instid1(VALU_DEP_2)
	v_add_co_u32 v2, vcc_lo, s12, v2
	s_wait_alu 0xfffd
	v_add_co_ci_u32_e64 v3, null, s13, v3, vcc_lo
	global_load_b64 v[2:3], v[2:3], off
.LBB126_78:                             ;   in Loop: Header=BB126_52 Depth=1
	s_wait_alu 0xfffe
	s_or_b32 exec_lo, exec_lo, s20
.LBB126_79:                             ;   in Loop: Header=BB126_52 Depth=1
	s_wait_alu 0xfffe
	s_or_b32 exec_lo, exec_lo, s2
	v_add_co_u32 v4, vcc_lo, v71, v34
	s_wait_alu 0xfffd
	v_add_co_ci_u32_e64 v5, null, v72, v35, vcc_lo
	v_add_co_u32 v6, vcc_lo, v73, v34
	s_wait_alu 0xfffd
	v_add_co_ci_u32_e64 v7, null, v74, v35, vcc_lo
	global_load_b64 v[4:5], v[4:5], off
	global_load_b64 v[6:7], v[6:7], off
	v_add_co_u32 v8, vcc_lo, v38, v34
	s_wait_alu 0xfffd
	v_add_co_ci_u32_e64 v9, null, v39, v35, vcc_lo
	v_add_co_u32 v10, vcc_lo, v52, v34
	s_wait_alu 0xfffd
	v_add_co_ci_u32_e64 v11, null, v53, v35, vcc_lo
	global_load_b64 v[8:9], v[8:9], off
	global_load_b64 v[10:11], v[10:11], off
	;; [unrolled: 8-line block ×8, first 2 shown]
	s_wait_loadcnt 0xe
	v_mul_f64_e32 v[4:5], v[4:5], v[6:7]
	ds_bpermute_b32 v6, v1, v2
	ds_bpermute_b32 v7, v1, v3
	s_wait_loadcnt 0xc
	v_mul_f64_e32 v[8:9], v[8:9], v[10:11]
	s_wait_loadcnt 0xa
	v_mul_f64_e32 v[10:11], v[12:13], v[14:15]
	s_wait_dscnt 0x0
	v_fma_f64 v[4:5], v[4:5], v[6:7], v[66:67]
	ds_bpermute_b32 v6, v1, v2 offset:4
	ds_bpermute_b32 v7, v1, v3 offset:4
	s_wait_dscnt 0x0
	v_fma_f64 v[4:5], v[8:9], v[6:7], v[4:5]
	ds_bpermute_b32 v6, v1, v2 offset:8
	ds_bpermute_b32 v7, v1, v3 offset:8
	s_wait_loadcnt 0x8
	v_mul_f64_e32 v[8:9], v[16:17], v[18:19]
	s_wait_dscnt 0x0
	v_fma_f64 v[4:5], v[10:11], v[6:7], v[4:5]
	ds_bpermute_b32 v6, v1, v2 offset:12
	ds_bpermute_b32 v7, v1, v3 offset:12
	s_wait_loadcnt 0x6
	v_mul_f64_e32 v[10:11], v[20:21], v[22:23]
	;; [unrolled: 6-line block ×4, first 2 shown]
	s_wait_dscnt 0x0
	v_fma_f64 v[4:5], v[8:9], v[6:7], v[4:5]
	ds_bpermute_b32 v6, v1, v2 offset:24
	ds_bpermute_b32 v7, v1, v3 offset:24
	;; [unrolled: 1-line block ×4, first 2 shown]
	s_wait_dscnt 0x2
	v_fma_f64 v[4:5], v[10:11], v[6:7], v[4:5]
	s_wait_loadcnt 0x0
	v_mul_f64_e32 v[6:7], v[32:33], v[36:37]
	s_wait_dscnt 0x0
	s_delay_alu instid0(VALU_DEP_1)
	v_fma_f64 v[36:37], v[6:7], v[2:3], v[4:5]
.LBB126_80:                             ;   in Loop: Header=BB126_52 Depth=1
	v_add_co_u32 v71, vcc_lo, v71, s10
	s_wait_alu 0xfffd
	v_add_co_ci_u32_e64 v72, null, s11, v72, vcc_lo
	v_add_co_u32 v73, vcc_lo, v73, s10
	s_wait_alu 0xfffd
	v_add_co_ci_u32_e64 v74, null, s11, v74, vcc_lo
	;; [unrolled: 3-line block ×27, first 2 shown]
	v_add_co_u32 v97, vcc_lo, v97, s10
	s_add_nc_u64 s[14:15], s[14:15], s[16:17]
	s_wait_alu 0xfffd
	v_add_co_ci_u32_e64 v98, null, s11, v98, vcc_lo
	v_add_co_u32 v99, vcc_lo, v99, s10
	s_wait_alu 0xfffe
	v_cmp_ge_i64_e64 s2, s[14:15], s[4:5]
	s_wait_alu 0xfffd
	v_add_co_ci_u32_e64 v100, null, s11, v100, vcc_lo
	v_add_co_u32 v101, vcc_lo, v101, s10
	s_wait_alu 0xfffd
	v_add_co_ci_u32_e64 v102, null, s11, v102, vcc_lo
	s_and_b32 vcc_lo, exec_lo, s2
	s_add_nc_u64 s[18:19], s[18:19], s[16:17]
	s_wait_alu 0xfffe
	s_cbranch_vccnz .LBB126_82
; %bb.81:                               ;   in Loop: Header=BB126_52 Depth=1
	v_dual_mov_b32 v67, v37 :: v_dual_mov_b32 v66, v36
	s_branch .LBB126_52
.LBB126_82:
	v_and_b32_e32 v6, 0x3ff, v0
	v_bfe_u32 v2, v0, 10, 10
	v_mov_b32_e32 v0, 0
	s_mov_b32 s2, exec_lo
	s_delay_alu instid0(VALU_DEP_1) | instskip(NEXT) | instid1(VALU_DEP_3)
	v_mov_b32_e32 v1, v0
	v_mad_u32_u24 v3, 0x41, v2, v6
	s_delay_alu instid0(VALU_DEP_1)
	v_lshl_add_u32 v4, v3, 3, 0
	v_sub_nc_u32_e32 v5, v3, v2
	ds_store_b64 v4, v[36:37]
	ds_store_b64 v4, v[0:1] offset:8320
	s_wait_dscnt 0x0
	s_barrier_signal -1
	s_barrier_wait -1
	global_inv scope:SCOPE_SE
	v_cmpx_gt_u32_e32 0x800, v5
	s_cbranch_execz .LBB126_92
; %bb.83:
	s_load_b64 s[2:3], s[0:1], 0x30
	v_and_b32_e32 v0, 31, v6
	v_lshrrev_b32_e32 v4, 5, v5
	s_delay_alu instid0(VALU_DEP_2)
	v_cmp_gt_u32_e32 vcc_lo, 16, v0
	v_mul_u32_u24_e32 v7, 0x41, v0
                                        ; implicit-def: $vgpr0_vgpr1
	s_and_saveexec_b32 s0, vcc_lo
	s_cbranch_execz .LBB126_85
; %bb.84:
	v_lshlrev_b32_e32 v0, 3, v4
	s_delay_alu instid0(VALU_DEP_2) | instskip(NEXT) | instid1(VALU_DEP_1)
	v_lshlrev_b32_e32 v1, 3, v7
	v_add3_u32 v0, 0, v0, v1
	ds_load_b64 v[0:1], v0
.LBB126_85:
	s_or_b32 exec_lo, exec_lo, s0
	v_mbcnt_lo_u32_b32 v11, -1, 0
	s_mov_b32 s4, ttmp9
	s_mov_b32 s5, 0
	s_wait_alu 0xfffe
	s_lshl_b64 s[4:5], s[4:5], 6
	v_xor_b32_e32 v2, 8, v11
	s_wait_kmcnt 0x0
	s_cmp_eq_u64 s[2:3], 0
	s_cselect_b32 s8, -1, 0
	s_delay_alu instid0(VALU_DEP_1) | instskip(NEXT) | instid1(VALU_DEP_1)
	v_cmp_gt_i32_e64 s0, 32, v2
	v_cndmask_b32_e64 v2, v11, v2, s0
	s_delay_alu instid0(VALU_DEP_1)
	v_lshlrev_b32_e32 v8, 2, v2
	s_wait_dscnt 0x0
	ds_bpermute_b32 v2, v8, v0
	ds_bpermute_b32 v3, v8, v1
	s_wait_dscnt 0x0
	v_add_f64_e32 v[0:1], v[0:1], v[2:3]
	v_xor_b32_e32 v2, 4, v11
	s_delay_alu instid0(VALU_DEP_1) | instskip(SKIP_1) | instid1(VALU_DEP_1)
	v_cmp_gt_i32_e64 s0, 32, v2
	s_wait_alu 0xf1ff
	v_cndmask_b32_e64 v2, v11, v2, s0
	s_delay_alu instid0(VALU_DEP_1)
	v_lshlrev_b32_e32 v9, 2, v2
	ds_bpermute_b32 v2, v9, v0
	ds_bpermute_b32 v3, v9, v1
	s_wait_dscnt 0x0
	v_add_f64_e32 v[0:1], v[0:1], v[2:3]
	v_xor_b32_e32 v2, 2, v11
	s_delay_alu instid0(VALU_DEP_1) | instskip(SKIP_1) | instid1(VALU_DEP_1)
	v_cmp_gt_i32_e64 s0, 32, v2
	s_wait_alu 0xf1ff
	v_cndmask_b32_e64 v2, v11, v2, s0
	s_delay_alu instid0(VALU_DEP_1)
	v_lshlrev_b32_e32 v10, 2, v2
	ds_bpermute_b32 v2, v10, v0
	ds_bpermute_b32 v3, v10, v1
	s_wait_dscnt 0x0
	v_add_f64_e32 v[0:1], v[0:1], v[2:3]
	v_xor_b32_e32 v2, 1, v11
	s_delay_alu instid0(VALU_DEP_1) | instskip(SKIP_1) | instid1(VALU_DEP_1)
	v_cmp_gt_i32_e64 s0, 32, v2
	s_wait_alu 0xf1ff
	v_cndmask_b32_e64 v2, v11, v2, s0
	v_cmp_ne_u32_e64 s0, 0, v6
	s_delay_alu instid0(VALU_DEP_2)
	v_lshlrev_b32_e32 v11, 2, v2
	ds_bpermute_b32 v2, v11, v0
	ds_bpermute_b32 v3, v11, v1
	s_wait_dscnt 0x0
	v_add_f64_e32 v[0:1], v[0:1], v[2:3]
	s_wait_alu 0xfffe
	v_or_b32_e32 v2, s4, v4
	v_mov_b32_e32 v3, s5
	s_delay_alu instid0(VALU_DEP_1)
	v_cmp_le_i64_e64 s1, s[6:7], v[2:3]
	s_or_b32 s1, s0, s1
	s_wait_alu 0xfffe
	s_nor_b32 s1, s8, s1
	s_wait_alu 0xfffe
	s_and_saveexec_b32 s9, s1
	s_cbranch_execz .LBB126_87
; %bb.86:
	v_lshlrev_b64_e32 v[2:3], 3, v[2:3]
	s_delay_alu instid0(VALU_DEP_1) | instskip(SKIP_1) | instid1(VALU_DEP_2)
	v_add_co_u32 v2, s1, s2, v2
	s_wait_alu 0xf1ff
	v_add_co_ci_u32_e64 v3, null, s3, v3, s1
	global_store_b64 v[2:3], v[0:1], off
.LBB126_87:
	s_wait_alu 0xfffe
	s_or_b32 exec_lo, exec_lo, s9
	v_cmp_gt_u32_e64 s1, 0x400, v5
	s_and_b32 exec_lo, exec_lo, s1
	s_cbranch_execz .LBB126_92
; %bb.88:
	s_and_saveexec_b32 s1, vcc_lo
	s_cbranch_execz .LBB126_90
; %bb.89:
	v_lshlrev_b32_e32 v0, 3, v4
	v_lshlrev_b32_e32 v1, 3, v7
	s_delay_alu instid0(VALU_DEP_1)
	v_add3_u32 v0, 0, v0, v1
	ds_load_b64 v[0:1], v0 offset:256
.LBB126_90:
	s_wait_alu 0xfffe
	s_or_b32 exec_lo, exec_lo, s1
	s_wait_dscnt 0x0
	ds_bpermute_b32 v2, v8, v0
	ds_bpermute_b32 v3, v8, v1
	v_dual_mov_b32 v6, s5 :: v_dual_add_nc_u32 v5, 32, v4
	s_delay_alu instid0(VALU_DEP_1) | instskip(NEXT) | instid1(VALU_DEP_1)
	v_or_b32_e32 v5, s4, v5
	v_cmp_le_i64_e32 vcc_lo, s[6:7], v[5:6]
	s_or_b32 s0, s0, vcc_lo
	s_wait_alu 0xfffe
	s_nor_b32 s0, s8, s0
	s_wait_dscnt 0x0
	v_add_f64_e32 v[0:1], v[0:1], v[2:3]
	ds_bpermute_b32 v2, v9, v0
	ds_bpermute_b32 v3, v9, v1
	s_wait_dscnt 0x0
	v_add_f64_e32 v[0:1], v[0:1], v[2:3]
	ds_bpermute_b32 v2, v10, v0
	ds_bpermute_b32 v3, v10, v1
	s_wait_dscnt 0x0
	v_add_f64_e32 v[0:1], v[0:1], v[2:3]
	ds_bpermute_b32 v2, v11, v0
	ds_bpermute_b32 v3, v11, v1
	s_wait_alu 0xfffe
	s_and_saveexec_b32 s1, s0
	s_wait_alu 0xfffe
	s_xor_b32 s1, exec_lo, s1
	s_cbranch_execz .LBB126_92
; %bb.91:
	s_wait_dscnt 0x0
	v_add_f64_e32 v[0:1], v[0:1], v[2:3]
	v_add_co_u32 v2, s0, s4, v4
	s_wait_alu 0xf1ff
	v_add_co_ci_u32_e64 v3, null, s5, 0, s0
	s_delay_alu instid0(VALU_DEP_1) | instskip(NEXT) | instid1(VALU_DEP_1)
	v_lshlrev_b64_e32 v[2:3], 3, v[2:3]
	v_add_co_u32 v2, vcc_lo, s2, v2
	s_wait_alu 0xfffd
	s_delay_alu instid0(VALU_DEP_2)
	v_add_co_ci_u32_e64 v3, null, s3, v3, vcc_lo
	global_store_b64 v[2:3], v[0:1], off offset:256
.LBB126_92:
	s_nop 0
	s_sendmsg sendmsg(MSG_DEALLOC_VGPRS)
	s_endpgm
	.section	.rodata,"a",@progbits
	.p2align	6, 0x0
	.amdhsa_kernel _ZN2at6native12_GLOBAL__N_135GammaBetaBackwardCUDAKernelTemplateIddLj64ELj16ELj128ELb0ELb0ELb1EEEvllPKT_S5_PKT0_S8_PS3_S9_
		.amdhsa_group_segment_fixed_size 0
		.amdhsa_private_segment_fixed_size 0
		.amdhsa_kernarg_size 320
		.amdhsa_user_sgpr_count 2
		.amdhsa_user_sgpr_dispatch_ptr 0
		.amdhsa_user_sgpr_queue_ptr 0
		.amdhsa_user_sgpr_kernarg_segment_ptr 1
		.amdhsa_user_sgpr_dispatch_id 0
		.amdhsa_user_sgpr_private_segment_size 0
		.amdhsa_wavefront_size32 1
		.amdhsa_uses_dynamic_stack 0
		.amdhsa_enable_private_segment 0
		.amdhsa_system_sgpr_workgroup_id_x 1
		.amdhsa_system_sgpr_workgroup_id_y 1
		.amdhsa_system_sgpr_workgroup_id_z 0
		.amdhsa_system_sgpr_workgroup_info 0
		.amdhsa_system_vgpr_workitem_id 1
		.amdhsa_next_free_vgpr 107
		.amdhsa_next_free_sgpr 32
		.amdhsa_reserve_vcc 1
		.amdhsa_float_round_mode_32 0
		.amdhsa_float_round_mode_16_64 0
		.amdhsa_float_denorm_mode_32 3
		.amdhsa_float_denorm_mode_16_64 3
		.amdhsa_fp16_overflow 0
		.amdhsa_workgroup_processor_mode 1
		.amdhsa_memory_ordered 1
		.amdhsa_forward_progress 1
		.amdhsa_inst_pref_size 81
		.amdhsa_round_robin_scheduling 0
		.amdhsa_exception_fp_ieee_invalid_op 0
		.amdhsa_exception_fp_denorm_src 0
		.amdhsa_exception_fp_ieee_div_zero 0
		.amdhsa_exception_fp_ieee_overflow 0
		.amdhsa_exception_fp_ieee_underflow 0
		.amdhsa_exception_fp_ieee_inexact 0
		.amdhsa_exception_int_div_zero 0
	.end_amdhsa_kernel
	.section	.text._ZN2at6native12_GLOBAL__N_135GammaBetaBackwardCUDAKernelTemplateIddLj64ELj16ELj128ELb0ELb0ELb1EEEvllPKT_S5_PKT0_S8_PS3_S9_,"axG",@progbits,_ZN2at6native12_GLOBAL__N_135GammaBetaBackwardCUDAKernelTemplateIddLj64ELj16ELj128ELb0ELb0ELb1EEEvllPKT_S5_PKT0_S8_PS3_S9_,comdat
.Lfunc_end126:
	.size	_ZN2at6native12_GLOBAL__N_135GammaBetaBackwardCUDAKernelTemplateIddLj64ELj16ELj128ELb0ELb0ELb1EEEvllPKT_S5_PKT0_S8_PS3_S9_, .Lfunc_end126-_ZN2at6native12_GLOBAL__N_135GammaBetaBackwardCUDAKernelTemplateIddLj64ELj16ELj128ELb0ELb0ELb1EEEvllPKT_S5_PKT0_S8_PS3_S9_
                                        ; -- End function
	.set _ZN2at6native12_GLOBAL__N_135GammaBetaBackwardCUDAKernelTemplateIddLj64ELj16ELj128ELb0ELb0ELb1EEEvllPKT_S5_PKT0_S8_PS3_S9_.num_vgpr, 107
	.set _ZN2at6native12_GLOBAL__N_135GammaBetaBackwardCUDAKernelTemplateIddLj64ELj16ELj128ELb0ELb0ELb1EEEvllPKT_S5_PKT0_S8_PS3_S9_.num_agpr, 0
	.set _ZN2at6native12_GLOBAL__N_135GammaBetaBackwardCUDAKernelTemplateIddLj64ELj16ELj128ELb0ELb0ELb1EEEvllPKT_S5_PKT0_S8_PS3_S9_.numbered_sgpr, 32
	.set _ZN2at6native12_GLOBAL__N_135GammaBetaBackwardCUDAKernelTemplateIddLj64ELj16ELj128ELb0ELb0ELb1EEEvllPKT_S5_PKT0_S8_PS3_S9_.num_named_barrier, 0
	.set _ZN2at6native12_GLOBAL__N_135GammaBetaBackwardCUDAKernelTemplateIddLj64ELj16ELj128ELb0ELb0ELb1EEEvllPKT_S5_PKT0_S8_PS3_S9_.private_seg_size, 0
	.set _ZN2at6native12_GLOBAL__N_135GammaBetaBackwardCUDAKernelTemplateIddLj64ELj16ELj128ELb0ELb0ELb1EEEvllPKT_S5_PKT0_S8_PS3_S9_.uses_vcc, 1
	.set _ZN2at6native12_GLOBAL__N_135GammaBetaBackwardCUDAKernelTemplateIddLj64ELj16ELj128ELb0ELb0ELb1EEEvllPKT_S5_PKT0_S8_PS3_S9_.uses_flat_scratch, 0
	.set _ZN2at6native12_GLOBAL__N_135GammaBetaBackwardCUDAKernelTemplateIddLj64ELj16ELj128ELb0ELb0ELb1EEEvllPKT_S5_PKT0_S8_PS3_S9_.has_dyn_sized_stack, 0
	.set _ZN2at6native12_GLOBAL__N_135GammaBetaBackwardCUDAKernelTemplateIddLj64ELj16ELj128ELb0ELb0ELb1EEEvllPKT_S5_PKT0_S8_PS3_S9_.has_recursion, 0
	.set _ZN2at6native12_GLOBAL__N_135GammaBetaBackwardCUDAKernelTemplateIddLj64ELj16ELj128ELb0ELb0ELb1EEEvllPKT_S5_PKT0_S8_PS3_S9_.has_indirect_call, 0
	.section	.AMDGPU.csdata,"",@progbits
; Kernel info:
; codeLenInByte = 10260
; TotalNumSgprs: 34
; NumVgprs: 107
; ScratchSize: 0
; MemoryBound: 1
; FloatMode: 240
; IeeeMode: 1
; LDSByteSize: 0 bytes/workgroup (compile time only)
; SGPRBlocks: 0
; VGPRBlocks: 13
; NumSGPRsForWavesPerEU: 34
; NumVGPRsForWavesPerEU: 107
; Occupancy: 12
; WaveLimiterHint : 0
; COMPUTE_PGM_RSRC2:SCRATCH_EN: 0
; COMPUTE_PGM_RSRC2:USER_SGPR: 2
; COMPUTE_PGM_RSRC2:TRAP_HANDLER: 0
; COMPUTE_PGM_RSRC2:TGID_X_EN: 1
; COMPUTE_PGM_RSRC2:TGID_Y_EN: 1
; COMPUTE_PGM_RSRC2:TGID_Z_EN: 0
; COMPUTE_PGM_RSRC2:TIDIG_COMP_CNT: 1
	.section	.text._ZN2at6native12_GLOBAL__N_135GammaBetaBackwardCUDAKernelTemplateIddLj64ELj16ELj256ELb0ELb1ELb1EEEvllPKT_S5_PKT0_S8_PS3_S9_,"axG",@progbits,_ZN2at6native12_GLOBAL__N_135GammaBetaBackwardCUDAKernelTemplateIddLj64ELj16ELj256ELb0ELb1ELb1EEEvllPKT_S5_PKT0_S8_PS3_S9_,comdat
	.globl	_ZN2at6native12_GLOBAL__N_135GammaBetaBackwardCUDAKernelTemplateIddLj64ELj16ELj256ELb0ELb1ELb1EEEvllPKT_S5_PKT0_S8_PS3_S9_ ; -- Begin function _ZN2at6native12_GLOBAL__N_135GammaBetaBackwardCUDAKernelTemplateIddLj64ELj16ELj256ELb0ELb1ELb1EEEvllPKT_S5_PKT0_S8_PS3_S9_
	.p2align	8
	.type	_ZN2at6native12_GLOBAL__N_135GammaBetaBackwardCUDAKernelTemplateIddLj64ELj16ELj256ELb0ELb1ELb1EEEvllPKT_S5_PKT0_S8_PS3_S9_,@function
_ZN2at6native12_GLOBAL__N_135GammaBetaBackwardCUDAKernelTemplateIddLj64ELj16ELj256ELb0ELb1ELb1EEEvllPKT_S5_PKT0_S8_PS3_S9_: ; @_ZN2at6native12_GLOBAL__N_135GammaBetaBackwardCUDAKernelTemplateIddLj64ELj16ELj256ELb0ELb1ELb1EEEvllPKT_S5_PKT0_S8_PS3_S9_
; %bb.0:
	s_load_b128 s[4:7], s[0:1], 0x0
	s_lshl_b32 s12, ttmp7, 8
	s_mov_b32 s13, 0
	v_bfe_u32 v11, v0, 10, 10
	s_wait_kmcnt 0x0
	v_cmp_gt_i64_e64 s2, s[4:5], s[12:13]
	s_and_b32 vcc_lo, exec_lo, s2
	s_cbranch_vccnz .LBB127_2
; %bb.1:
	v_bfe_u32 v1, v0, 10, 10
	s_mov_b32 s2, s13
	s_branch .LBB127_3
.LBB127_2:
	s_mov_b32 s2, -1
                                        ; implicit-def: $vgpr1
.LBB127_3:
	v_mov_b32_e32 v8, 0
	v_dual_mov_b32 v9, 0 :: v_dual_and_b32 v10, 0x3ff, v0
	s_and_not1_b32 vcc_lo, exec_lo, s2
	s_cbranch_vccnz .LBB127_11
; %bb.4:
	s_clause 0x3
	s_load_b32 s2, s[0:1], 0x4c
	s_load_b32 s3, s[0:1], 0x44
	s_load_b128 s[8:11], s[0:1], 0x10
	s_load_b64 s[16:17], s[0:1], 0x28
	v_dual_mov_b32 v1, 0 :: v_dual_lshlrev_b32 v2, 4, v11
	v_lshl_add_u32 v0, ttmp9, 6, v10
	s_mov_b32 s15, 0
	v_dual_mov_b32 v12, 16 :: v_dual_mov_b32 v13, 4
	v_dual_mov_b32 v14, 8 :: v_dual_mov_b32 v15, 12
	s_delay_alu instid0(VALU_DEP_3)
	v_lshlrev_b64_e32 v[27:28], 3, v[0:1]
	v_dual_mov_b32 v16, 20 :: v_dual_mov_b32 v17, 24
	v_dual_mov_b32 v18, 28 :: v_dual_mov_b32 v19, 32
	;; [unrolled: 1-line block ×4, first 2 shown]
	s_wait_kmcnt 0x0
	s_and_b32 s2, s2, 0xffff
	s_lshl_b32 s14, s3, 8
	v_mad_u32_u24 v3, v11, s2, v10
	v_add_co_u32 v2, s2, v2, s12
	s_wait_alu 0xf1ff
	v_add_co_ci_u32_e64 v6, null, 0, 0, s2
	s_delay_alu instid0(VALU_DEP_3) | instskip(NEXT) | instid1(VALU_DEP_3)
	v_dual_mov_b32 v22, 44 :: v_dual_and_b32 v3, 31, v3
	v_mul_lo_u32 v7, s7, v2
	s_delay_alu instid0(VALU_DEP_3) | instskip(SKIP_1) | instid1(VALU_DEP_4)
	v_mul_lo_u32 v8, s6, v6
	v_mad_co_u64_u32 v[4:5], null, s6, v2, 0
	v_add_co_u32 v2, vcc_lo, v2, v3
	v_cmp_gt_u32_e64 s2, 16, v3
	v_add_co_ci_u32_e64 v3, null, 0, v6, vcc_lo
	v_dual_mov_b32 v25, 56 :: v_dual_mov_b32 v26, 60
	v_add3_u32 v5, v5, v8, v7
	s_delay_alu instid0(VALU_DEP_3) | instskip(SKIP_4) | instid1(VALU_DEP_2)
	v_lshlrev_b64_e32 v[6:7], 3, v[2:3]
	s_mul_u64 s[18:19], s[6:7], s[14:15]
	s_lshl_b64 s[6:7], s[6:7], 3
	s_lshl_b64 s[18:19], s[18:19], 3
	v_lshlrev_b64_e32 v[8:9], 3, v[4:5]
	v_add_co_u32 v4, vcc_lo, s16, v6
	s_wait_alu 0xfffd
	v_add_co_ci_u32_e64 v5, null, s17, v7, vcc_lo
	s_delay_alu instid0(VALU_DEP_3)
	v_add_co_u32 v0, vcc_lo, v8, v27
	s_wait_alu 0xfffd
	v_add_co_ci_u32_e64 v27, null, v9, v28, vcc_lo
	v_mov_b32_e32 v8, 0
	v_mov_b32_e32 v9, 0
	s_lshl_b64 s[16:17], s[14:15], 3
	s_branch .LBB127_7
.LBB127_5:                              ;   in Loop: Header=BB127_7 Depth=1
	s_or_b32 exec_lo, exec_lo, s20
.LBB127_6:                              ;   in Loop: Header=BB127_7 Depth=1
	s_wait_alu 0xfffe
	s_or_b32 exec_lo, exec_lo, s3
	v_add_co_u32 v28, vcc_lo, s8, v0
	s_wait_alu 0xfffd
	v_add_co_ci_u32_e64 v29, null, s9, v27, vcc_lo
	v_add_co_u32 v30, vcc_lo, s10, v0
	s_wait_alu 0xfffd
	v_add_co_ci_u32_e64 v31, null, s11, v27, vcc_lo
	global_load_b64 v[32:33], v[28:29], off
	global_load_b64 v[34:35], v[30:31], off
	v_add_co_u32 v28, vcc_lo, v28, s6
	s_wait_alu 0xfffd
	v_add_co_ci_u32_e64 v29, null, s7, v29, vcc_lo
	v_add_co_u32 v30, vcc_lo, v30, s6
	s_wait_alu 0xfffd
	v_add_co_ci_u32_e64 v31, null, s7, v31, vcc_lo
	global_load_b64 v[36:37], v[28:29], off
	global_load_b64 v[38:39], v[30:31], off
	;; [unrolled: 8-line block ×10, first 2 shown]
	v_add_co_u32 v28, vcc_lo, v28, s6
	s_wait_alu 0xfffd
	v_add_co_ci_u32_e64 v29, null, s7, v29, vcc_lo
	v_add_co_u32 v30, vcc_lo, v30, s6
	s_wait_alu 0xfffd
	v_add_co_ci_u32_e64 v31, null, s7, v31, vcc_lo
	s_add_nc_u64 s[12:13], s[12:13], s[14:15]
	s_wait_alu 0xfffe
	v_cmp_lt_i64_e64 s3, s[12:13], s[4:5]
	s_wait_loadcnt 0x12
	v_mul_f64_e32 v[32:33], v[32:33], v[34:35]
	ds_bpermute_b32 v34, v1, v6
	ds_bpermute_b32 v35, v1, v7
	s_wait_loadcnt 0x10
	v_mul_f64_e32 v[36:37], v[36:37], v[38:39]
	s_wait_loadcnt 0xe
	v_mul_f64_e32 v[40:41], v[40:41], v[42:43]
	;; [unrolled: 2-line block ×3, first 2 shown]
	s_wait_dscnt 0x0
	v_fma_f64 v[8:9], v[32:33], v[34:35], v[8:9]
	ds_bpermute_b32 v32, v13, v6
	ds_bpermute_b32 v33, v13, v7
	global_load_b64 v[34:35], v[28:29], off
	global_load_b64 v[38:39], v[30:31], off
	v_add_co_u32 v28, vcc_lo, v28, s6
	s_wait_alu 0xfffd
	v_add_co_ci_u32_e64 v29, null, s7, v29, vcc_lo
	v_add_co_u32 v30, vcc_lo, v30, s6
	s_wait_alu 0xfffd
	v_add_co_ci_u32_e64 v31, null, s7, v31, vcc_lo
	s_wait_loadcnt 0xc
	v_mul_f64_e32 v[48:49], v[48:49], v[50:51]
	s_wait_loadcnt 0xa
	v_mul_f64_e32 v[52:53], v[52:53], v[54:55]
	s_wait_loadcnt 0x8
	v_mul_f64_e32 v[56:57], v[56:57], v[58:59]
	s_wait_dscnt 0x0
	v_fma_f64 v[8:9], v[36:37], v[32:33], v[8:9]
	ds_bpermute_b32 v32, v14, v6
	ds_bpermute_b32 v33, v14, v7
	global_load_b64 v[36:37], v[28:29], off
	global_load_b64 v[42:43], v[30:31], off
	v_add_co_u32 v28, vcc_lo, v28, s6
	s_wait_alu 0xfffd
	v_add_co_ci_u32_e64 v29, null, s7, v29, vcc_lo
	v_add_co_u32 v30, vcc_lo, v30, s6
	s_wait_alu 0xfffd
	v_add_co_ci_u32_e64 v31, null, s7, v31, vcc_lo
	s_wait_dscnt 0x0
	v_fma_f64 v[8:9], v[40:41], v[32:33], v[8:9]
	ds_bpermute_b32 v32, v15, v6
	ds_bpermute_b32 v33, v15, v7
	global_load_b64 v[40:41], v[28:29], off
	global_load_b64 v[46:47], v[30:31], off
	v_add_co_u32 v28, vcc_lo, v28, s6
	s_wait_alu 0xfffd
	v_add_co_ci_u32_e64 v29, null, s7, v29, vcc_lo
	v_add_co_u32 v30, vcc_lo, v30, s6
	s_wait_alu 0xfffd
	v_add_co_ci_u32_e64 v31, null, s7, v31, vcc_lo
	;; [unrolled: 12-line block ×4, first 2 shown]
	global_load_b64 v[28:29], v[28:29], off
	global_load_b64 v[30:31], v[30:31], off
	v_add_co_u32 v4, vcc_lo, v4, s16
	s_wait_alu 0xfffd
	v_add_co_ci_u32_e64 v5, null, s17, v5, vcc_lo
	v_add_co_u32 v2, vcc_lo, v2, s14
	s_wait_alu 0xfffd
	v_add_co_ci_u32_e64 v3, null, 0, v3, vcc_lo
	;; [unrolled: 3-line block ×3, first 2 shown]
	s_and_b32 vcc_lo, exec_lo, s3
	s_wait_dscnt 0x0
	v_fma_f64 v[8:9], v[52:53], v[32:33], v[8:9]
	ds_bpermute_b32 v32, v17, v6
	ds_bpermute_b32 v33, v17, v7
	s_wait_loadcnt 0x10
	v_mul_f64_e32 v[52:53], v[60:61], v[62:63]
	s_wait_dscnt 0x0
	v_fma_f64 v[8:9], v[56:57], v[32:33], v[8:9]
	ds_bpermute_b32 v32, v18, v6
	ds_bpermute_b32 v33, v18, v7
	s_wait_loadcnt 0xe
	v_mul_f64_e32 v[56:57], v[64:65], v[66:67]
	;; [unrolled: 6-line block ×8, first 2 shown]
	s_wait_loadcnt 0x0
	v_mul_f64_e32 v[28:29], v[28:29], v[30:31]
	s_wait_dscnt 0x0
	v_fma_f64 v[8:9], v[36:37], v[32:33], v[8:9]
	ds_bpermute_b32 v32, v25, v6
	ds_bpermute_b32 v33, v25, v7
	;; [unrolled: 1-line block ×4, first 2 shown]
	s_wait_dscnt 0x2
	v_fma_f64 v[8:9], v[34:35], v[32:33], v[8:9]
	s_wait_dscnt 0x0
	s_delay_alu instid0(VALU_DEP_1)
	v_fma_f64 v[8:9], v[28:29], v[6:7], v[8:9]
	s_wait_alu 0xfffe
	s_cbranch_vccz .LBB127_10
.LBB127_7:                              ; =>This Inner Loop Header: Depth=1
	v_mov_b32_e32 v6, 0
	v_mov_b32_e32 v7, 0
	s_and_saveexec_b32 s3, s2
	s_cbranch_execz .LBB127_6
; %bb.8:                                ;   in Loop: Header=BB127_7 Depth=1
	v_mov_b32_e32 v6, 0
	v_mov_b32_e32 v7, 0
	s_mov_b32 s20, exec_lo
	v_cmpx_gt_i64_e64 s[4:5], v[2:3]
	s_cbranch_execz .LBB127_5
; %bb.9:                                ;   in Loop: Header=BB127_7 Depth=1
	global_load_b64 v[6:7], v[4:5], off
	s_branch .LBB127_5
.LBB127_10:
	v_mov_b32_e32 v1, v11
.LBB127_11:
	s_load_b64 s[2:3], s[0:1], 0x30
	s_delay_alu instid0(VALU_DEP_1) | instskip(SKIP_2) | instid1(VALU_DEP_2)
	v_mad_u32_u24 v0, 0x41, v1, v10
	v_mov_b32_e32 v3, 0
	s_mov_b32 s0, exec_lo
	v_lshl_add_u32 v5, v0, 3, 0
	v_sub_nc_u32_e32 v2, v0, v1
	s_delay_alu instid0(VALU_DEP_3)
	v_mov_b32_e32 v4, v3
	ds_store_b64 v5, v[8:9]
	ds_store_b64 v5, v[3:4] offset:8320
	s_wait_dscnt 0x0
	s_barrier_signal -1
	s_barrier_wait -1
	global_inv scope:SCOPE_SE
	v_cmpx_gt_u32_e32 0x800, v2
	s_cbranch_execz .LBB127_21
; %bb.12:
	v_and_b32_e32 v0, 31, v10
	v_lshrrev_b32_e32 v1, 5, v2
	s_delay_alu instid0(VALU_DEP_2) | instskip(SKIP_1) | instid1(VALU_DEP_3)
	v_cmp_gt_u32_e32 vcc_lo, 16, v0
	v_mul_u32_u24_e32 v3, 0x41, v0
	v_lshlrev_b32_e32 v4, 3, v1
                                        ; implicit-def: $vgpr0_vgpr1
	s_and_saveexec_b32 s0, vcc_lo
; %bb.13:
	s_delay_alu instid0(VALU_DEP_2) | instskip(NEXT) | instid1(VALU_DEP_1)
	v_lshlrev_b32_e32 v0, 3, v3
	v_add3_u32 v0, 0, v4, v0
	ds_load_b64 v[0:1], v0
; %bb.14:
	s_wait_alu 0xfffe
	s_or_b32 exec_lo, exec_lo, s0
	v_mbcnt_lo_u32_b32 v11, -1, 0
	s_mov_b32 s4, ttmp9
	s_wait_kmcnt 0x0
	s_cmp_lg_u64 s[2:3], 0
	s_mov_b32 s5, 0
	s_cselect_b32 s1, -1, 0
	v_xor_b32_e32 v5, 8, v11
	s_wait_alu 0xfffe
	s_lshl_b64 s[4:5], s[4:5], 9
	s_wait_alu 0xfffe
	s_add_nc_u64 s[2:3], s[2:3], s[4:5]
	v_cmp_gt_i32_e64 s0, 32, v5
	s_wait_alu 0xf1ff
	s_delay_alu instid0(VALU_DEP_1) | instskip(NEXT) | instid1(VALU_DEP_1)
	v_cndmask_b32_e64 v5, v11, v5, s0
	v_lshlrev_b32_e32 v5, 2, v5
	s_wait_dscnt 0x0
	ds_bpermute_b32 v6, v5, v0
	ds_bpermute_b32 v7, v5, v1
	s_wait_dscnt 0x0
	v_add_f64_e32 v[0:1], v[0:1], v[6:7]
	v_xor_b32_e32 v6, 4, v11
	s_delay_alu instid0(VALU_DEP_1) | instskip(SKIP_1) | instid1(VALU_DEP_1)
	v_cmp_gt_i32_e64 s0, 32, v6
	s_wait_alu 0xf1ff
	v_cndmask_b32_e64 v6, v11, v6, s0
	s_delay_alu instid0(VALU_DEP_1)
	v_lshlrev_b32_e32 v6, 2, v6
	ds_bpermute_b32 v7, v6, v0
	ds_bpermute_b32 v8, v6, v1
	s_wait_dscnt 0x0
	v_add_f64_e32 v[0:1], v[0:1], v[7:8]
	v_xor_b32_e32 v7, 2, v11
	s_delay_alu instid0(VALU_DEP_1) | instskip(SKIP_1) | instid1(VALU_DEP_1)
	v_cmp_gt_i32_e64 s0, 32, v7
	s_wait_alu 0xf1ff
	v_cndmask_b32_e64 v7, v11, v7, s0
	s_delay_alu instid0(VALU_DEP_1)
	v_lshlrev_b32_e32 v7, 2, v7
	ds_bpermute_b32 v8, v7, v0
	ds_bpermute_b32 v9, v7, v1
	s_wait_dscnt 0x0
	v_add_f64_e32 v[0:1], v[0:1], v[8:9]
	v_xor_b32_e32 v8, 1, v11
	s_delay_alu instid0(VALU_DEP_1) | instskip(SKIP_1) | instid1(VALU_DEP_1)
	v_cmp_gt_i32_e64 s0, 32, v8
	s_wait_alu 0xf1ff
	v_cndmask_b32_e64 v8, v11, v8, s0
	v_cmp_eq_u32_e64 s0, 0, v10
	s_delay_alu instid0(VALU_DEP_2)
	v_lshlrev_b32_e32 v8, 2, v8
	s_and_b32 s1, s0, s1
	ds_bpermute_b32 v11, v8, v0
	ds_bpermute_b32 v12, v8, v1
	s_wait_dscnt 0x0
	v_add_f64_e32 v[0:1], v[0:1], v[11:12]
	s_wait_alu 0xfffe
	s_and_saveexec_b32 s0, s1
	s_cbranch_execz .LBB127_16
; %bb.15:
	global_store_b64 v4, v[0:1], s[2:3]
.LBB127_16:
	s_wait_alu 0xfffe
	s_or_b32 exec_lo, exec_lo, s0
	v_cmp_gt_u32_e64 s0, 0x400, v2
	s_and_b32 exec_lo, exec_lo, s0
	s_cbranch_execz .LBB127_21
; %bb.17:
	s_and_saveexec_b32 s0, vcc_lo
; %bb.18:
	v_lshlrev_b32_e32 v0, 3, v3
	s_delay_alu instid0(VALU_DEP_1)
	v_add3_u32 v0, 0, v4, v0
	ds_load_b64 v[0:1], v0 offset:256
; %bb.19:
	s_wait_alu 0xfffe
	s_or_b32 exec_lo, exec_lo, s0
	s_wait_dscnt 0x0
	ds_bpermute_b32 v2, v5, v0
	ds_bpermute_b32 v3, v5, v1
	s_wait_dscnt 0x0
	v_add_f64_e32 v[0:1], v[0:1], v[2:3]
	ds_bpermute_b32 v2, v6, v0
	ds_bpermute_b32 v3, v6, v1
	s_wait_dscnt 0x0
	v_add_f64_e32 v[0:1], v[0:1], v[2:3]
	;; [unrolled: 4-line block ×3, first 2 shown]
	ds_bpermute_b32 v2, v8, v0
	ds_bpermute_b32 v3, v8, v1
	s_and_saveexec_b32 s0, s1
	s_wait_alu 0xfffe
	s_xor_b32 s0, exec_lo, s0
	s_cbranch_execz .LBB127_21
; %bb.20:
	s_wait_dscnt 0x0
	v_add_f64_e32 v[0:1], v[0:1], v[2:3]
	global_store_b64 v4, v[0:1], s[2:3] offset:256
.LBB127_21:
	s_endpgm
	.section	.rodata,"a",@progbits
	.p2align	6, 0x0
	.amdhsa_kernel _ZN2at6native12_GLOBAL__N_135GammaBetaBackwardCUDAKernelTemplateIddLj64ELj16ELj256ELb0ELb1ELb1EEEvllPKT_S5_PKT0_S8_PS3_S9_
		.amdhsa_group_segment_fixed_size 0
		.amdhsa_private_segment_fixed_size 0
		.amdhsa_kernarg_size 320
		.amdhsa_user_sgpr_count 2
		.amdhsa_user_sgpr_dispatch_ptr 0
		.amdhsa_user_sgpr_queue_ptr 0
		.amdhsa_user_sgpr_kernarg_segment_ptr 1
		.amdhsa_user_sgpr_dispatch_id 0
		.amdhsa_user_sgpr_private_segment_size 0
		.amdhsa_wavefront_size32 1
		.amdhsa_uses_dynamic_stack 0
		.amdhsa_enable_private_segment 0
		.amdhsa_system_sgpr_workgroup_id_x 1
		.amdhsa_system_sgpr_workgroup_id_y 1
		.amdhsa_system_sgpr_workgroup_id_z 0
		.amdhsa_system_sgpr_workgroup_info 0
		.amdhsa_system_vgpr_workitem_id 1
		.amdhsa_next_free_vgpr 72
		.amdhsa_next_free_sgpr 21
		.amdhsa_reserve_vcc 1
		.amdhsa_float_round_mode_32 0
		.amdhsa_float_round_mode_16_64 0
		.amdhsa_float_denorm_mode_32 3
		.amdhsa_float_denorm_mode_16_64 3
		.amdhsa_fp16_overflow 0
		.amdhsa_workgroup_processor_mode 1
		.amdhsa_memory_ordered 1
		.amdhsa_forward_progress 1
		.amdhsa_inst_pref_size 23
		.amdhsa_round_robin_scheduling 0
		.amdhsa_exception_fp_ieee_invalid_op 0
		.amdhsa_exception_fp_denorm_src 0
		.amdhsa_exception_fp_ieee_div_zero 0
		.amdhsa_exception_fp_ieee_overflow 0
		.amdhsa_exception_fp_ieee_underflow 0
		.amdhsa_exception_fp_ieee_inexact 0
		.amdhsa_exception_int_div_zero 0
	.end_amdhsa_kernel
	.section	.text._ZN2at6native12_GLOBAL__N_135GammaBetaBackwardCUDAKernelTemplateIddLj64ELj16ELj256ELb0ELb1ELb1EEEvllPKT_S5_PKT0_S8_PS3_S9_,"axG",@progbits,_ZN2at6native12_GLOBAL__N_135GammaBetaBackwardCUDAKernelTemplateIddLj64ELj16ELj256ELb0ELb1ELb1EEEvllPKT_S5_PKT0_S8_PS3_S9_,comdat
.Lfunc_end127:
	.size	_ZN2at6native12_GLOBAL__N_135GammaBetaBackwardCUDAKernelTemplateIddLj64ELj16ELj256ELb0ELb1ELb1EEEvllPKT_S5_PKT0_S8_PS3_S9_, .Lfunc_end127-_ZN2at6native12_GLOBAL__N_135GammaBetaBackwardCUDAKernelTemplateIddLj64ELj16ELj256ELb0ELb1ELb1EEEvllPKT_S5_PKT0_S8_PS3_S9_
                                        ; -- End function
	.set _ZN2at6native12_GLOBAL__N_135GammaBetaBackwardCUDAKernelTemplateIddLj64ELj16ELj256ELb0ELb1ELb1EEEvllPKT_S5_PKT0_S8_PS3_S9_.num_vgpr, 72
	.set _ZN2at6native12_GLOBAL__N_135GammaBetaBackwardCUDAKernelTemplateIddLj64ELj16ELj256ELb0ELb1ELb1EEEvllPKT_S5_PKT0_S8_PS3_S9_.num_agpr, 0
	.set _ZN2at6native12_GLOBAL__N_135GammaBetaBackwardCUDAKernelTemplateIddLj64ELj16ELj256ELb0ELb1ELb1EEEvllPKT_S5_PKT0_S8_PS3_S9_.numbered_sgpr, 21
	.set _ZN2at6native12_GLOBAL__N_135GammaBetaBackwardCUDAKernelTemplateIddLj64ELj16ELj256ELb0ELb1ELb1EEEvllPKT_S5_PKT0_S8_PS3_S9_.num_named_barrier, 0
	.set _ZN2at6native12_GLOBAL__N_135GammaBetaBackwardCUDAKernelTemplateIddLj64ELj16ELj256ELb0ELb1ELb1EEEvllPKT_S5_PKT0_S8_PS3_S9_.private_seg_size, 0
	.set _ZN2at6native12_GLOBAL__N_135GammaBetaBackwardCUDAKernelTemplateIddLj64ELj16ELj256ELb0ELb1ELb1EEEvllPKT_S5_PKT0_S8_PS3_S9_.uses_vcc, 1
	.set _ZN2at6native12_GLOBAL__N_135GammaBetaBackwardCUDAKernelTemplateIddLj64ELj16ELj256ELb0ELb1ELb1EEEvllPKT_S5_PKT0_S8_PS3_S9_.uses_flat_scratch, 0
	.set _ZN2at6native12_GLOBAL__N_135GammaBetaBackwardCUDAKernelTemplateIddLj64ELj16ELj256ELb0ELb1ELb1EEEvllPKT_S5_PKT0_S8_PS3_S9_.has_dyn_sized_stack, 0
	.set _ZN2at6native12_GLOBAL__N_135GammaBetaBackwardCUDAKernelTemplateIddLj64ELj16ELj256ELb0ELb1ELb1EEEvllPKT_S5_PKT0_S8_PS3_S9_.has_recursion, 0
	.set _ZN2at6native12_GLOBAL__N_135GammaBetaBackwardCUDAKernelTemplateIddLj64ELj16ELj256ELb0ELb1ELb1EEEvllPKT_S5_PKT0_S8_PS3_S9_.has_indirect_call, 0
	.section	.AMDGPU.csdata,"",@progbits
; Kernel info:
; codeLenInByte = 2856
; TotalNumSgprs: 23
; NumVgprs: 72
; ScratchSize: 0
; MemoryBound: 0
; FloatMode: 240
; IeeeMode: 1
; LDSByteSize: 0 bytes/workgroup (compile time only)
; SGPRBlocks: 0
; VGPRBlocks: 8
; NumSGPRsForWavesPerEU: 23
; NumVGPRsForWavesPerEU: 72
; Occupancy: 16
; WaveLimiterHint : 0
; COMPUTE_PGM_RSRC2:SCRATCH_EN: 0
; COMPUTE_PGM_RSRC2:USER_SGPR: 2
; COMPUTE_PGM_RSRC2:TRAP_HANDLER: 0
; COMPUTE_PGM_RSRC2:TGID_X_EN: 1
; COMPUTE_PGM_RSRC2:TGID_Y_EN: 1
; COMPUTE_PGM_RSRC2:TGID_Z_EN: 0
; COMPUTE_PGM_RSRC2:TIDIG_COMP_CNT: 1
	.section	.text._ZN2at6native12_GLOBAL__N_135GammaBetaBackwardCUDAKernelTemplateIddLj64ELj16ELj256ELb0ELb0ELb1EEEvllPKT_S5_PKT0_S8_PS3_S9_,"axG",@progbits,_ZN2at6native12_GLOBAL__N_135GammaBetaBackwardCUDAKernelTemplateIddLj64ELj16ELj256ELb0ELb0ELb1EEEvllPKT_S5_PKT0_S8_PS3_S9_,comdat
	.globl	_ZN2at6native12_GLOBAL__N_135GammaBetaBackwardCUDAKernelTemplateIddLj64ELj16ELj256ELb0ELb0ELb1EEEvllPKT_S5_PKT0_S8_PS3_S9_ ; -- Begin function _ZN2at6native12_GLOBAL__N_135GammaBetaBackwardCUDAKernelTemplateIddLj64ELj16ELj256ELb0ELb0ELb1EEEvllPKT_S5_PKT0_S8_PS3_S9_
	.p2align	8
	.type	_ZN2at6native12_GLOBAL__N_135GammaBetaBackwardCUDAKernelTemplateIddLj64ELj16ELj256ELb0ELb0ELb1EEEvllPKT_S5_PKT0_S8_PS3_S9_,@function
_ZN2at6native12_GLOBAL__N_135GammaBetaBackwardCUDAKernelTemplateIddLj64ELj16ELj256ELb0ELb0ELb1EEEvllPKT_S5_PKT0_S8_PS3_S9_: ; @_ZN2at6native12_GLOBAL__N_135GammaBetaBackwardCUDAKernelTemplateIddLj64ELj16ELj256ELb0ELb0ELb1EEEvllPKT_S5_PKT0_S8_PS3_S9_
; %bb.0:
	s_clause 0x1
	s_load_b256 s[4:11], s[0:1], 0x0
	s_load_b64 s[12:13], s[0:1], 0x28
	s_lshl_b32 s28, ttmp9, 6
	s_mov_b32 s15, 0
	s_or_b32 s14, s28, 63
	s_wait_kmcnt 0x0
	v_cmp_le_i64_e64 s2, s[6:7], s[14:15]
	s_lshl_b32 s14, ttmp7, 8
	s_wait_alu 0xfffe
	v_cmp_gt_i64_e64 s29, s[4:5], s[14:15]
	s_and_b32 vcc_lo, exec_lo, s2
	v_cndmask_b32_e64 v1, 0, 1, s29
	s_delay_alu instid0(VALU_DEP_1)
	v_cmp_ne_u32_e64 s2, 1, v1
	s_cbranch_vccz .LBB128_80
; %bb.1:
	v_mov_b32_e32 v94, 0
	v_mov_b32_e32 v95, 0
	s_and_b32 vcc_lo, exec_lo, s2
	s_cbranch_vccnz .LBB128_81
; %bb.2:
	v_bfe_u32 v70, v0, 10, 10
	v_dual_mov_b32 v1, 0 :: v_dual_and_b32 v72, 0x3ff, v0
	s_load_b32 s3, s[0:1], 0x44
	s_mov_b32 s17, 0
	s_delay_alu instid0(VALU_DEP_2) | instskip(NEXT) | instid1(VALU_DEP_2)
	v_dual_mov_b32 v94, 0 :: v_dual_lshlrev_b32 v71, 4, v70
	v_dual_mov_b32 v5, v1 :: v_dual_add_nc_u32 v4, s28, v72
	s_mov_b32 s21, s17
	s_delay_alu instid0(VALU_DEP_2) | instskip(NEXT) | instid1(VALU_DEP_1)
	v_add_co_u32 v15, s2, v71, s14
	v_add_co_ci_u32_e64 v10, null, 0, 0, s2
	s_delay_alu instid0(VALU_DEP_3) | instskip(NEXT) | instid1(VALU_DEP_3)
	v_cmp_gt_i64_e64 s2, s[6:7], v[4:5]
	v_add_co_u32 v6, vcc_lo, v15, 15
	v_mul_lo_u32 v8, s7, v15
	s_delay_alu instid0(VALU_DEP_4) | instskip(SKIP_3) | instid1(VALU_DEP_3)
	v_mul_lo_u32 v9, s6, v10
	v_add_co_ci_u32_e64 v7, null, 0, v10, vcc_lo
	v_mad_co_u64_u32 v[2:3], null, s6, v15, 0
	v_mul_lo_u32 v11, s7, v6
	v_mul_lo_u32 v12, s6, v7
	v_mad_co_u64_u32 v[6:7], null, s6, v6, 0
	v_lshlrev_b64_e32 v[34:35], 3, v[4:5]
	s_wait_kmcnt 0x0
	s_lshl_b32 s20, s3, 8
	v_add3_u32 v3, v3, v9, v8
	v_add_co_u32 v8, vcc_lo, v15, 14
	s_wait_alu 0xfffd
	v_add_co_ci_u32_e64 v9, null, 0, v10, vcc_lo
	v_add3_u32 v7, v7, v12, v11
	v_lshlrev_b64_e32 v[4:5], 3, v[2:3]
	v_mul_lo_u32 v11, s7, v8
	s_delay_alu instid0(VALU_DEP_4)
	v_mul_lo_u32 v12, s6, v9
	v_mad_co_u64_u32 v[8:9], null, s6, v8, 0
	v_lshlrev_b64_e32 v[6:7], 3, v[6:7]
	v_add_co_u32 v73, vcc_lo, s8, v4
	s_wait_alu 0xfffd
	v_add_co_ci_u32_e64 v74, null, s9, v5, vcc_lo
	v_add_co_u32 v75, vcc_lo, s10, v4
	v_add3_u32 v9, v9, v12, v11
	s_wait_alu 0xfffd
	v_add_co_ci_u32_e64 v76, null, s11, v5, vcc_lo
	v_add_co_u32 v77, vcc_lo, s8, v6
	s_wait_alu 0xfffd
	v_add_co_ci_u32_e64 v78, null, s9, v7, vcc_lo
	v_add_co_u32 v11, vcc_lo, v15, 13
	v_add_co_u32 v79, s3, s10, v6
	v_lshlrev_b64_e32 v[4:5], 3, v[8:9]
	s_wait_alu 0xfffd
	v_add_co_ci_u32_e64 v6, null, 0, v10, vcc_lo
	v_add_co_u32 v8, vcc_lo, v15, 12
	s_wait_alu 0xfffd
	v_add_co_ci_u32_e64 v9, null, 0, v10, vcc_lo
	s_wait_alu 0xf1ff
	v_add_co_ci_u32_e64 v80, null, s11, v7, s3
	v_mul_lo_u32 v12, s7, v11
	v_mul_lo_u32 v13, s6, v6
	v_mad_co_u64_u32 v[6:7], null, s6, v11, 0
	v_mul_lo_u32 v11, s7, v8
	v_mul_lo_u32 v14, s6, v9
	v_mad_co_u64_u32 v[8:9], null, s6, v8, 0
	v_add_co_u32 v81, vcc_lo, s8, v4
	s_wait_alu 0xfffd
	v_add_co_ci_u32_e64 v82, null, s9, v5, vcc_lo
	v_add_co_u32 v83, vcc_lo, s10, v4
	s_wait_alu 0xfffd
	v_add_co_ci_u32_e64 v84, null, s11, v5, vcc_lo
	v_add3_u32 v9, v9, v14, v11
	v_add_co_u32 v11, vcc_lo, v15, 11
	v_add3_u32 v7, v7, v13, v12
	s_wait_alu 0xfffd
	v_add_co_ci_u32_e64 v12, null, 0, v10, vcc_lo
	s_delay_alu instid0(VALU_DEP_3)
	v_mul_lo_u32 v13, s7, v11
	v_mov_b32_e32 v95, 0
	v_lshlrev_b64_e32 v[4:5], 3, v[6:7]
	v_lshlrev_b64_e32 v[6:7], 3, v[8:9]
	v_mul_lo_u32 v12, s6, v12
	v_mad_co_u64_u32 v[8:9], null, s6, v11, 0
	s_mul_u64 s[22:23], s[6:7], s[20:21]
	v_add_co_u32 v85, vcc_lo, s8, v4
	s_wait_alu 0xfffd
	v_add_co_ci_u32_e64 v86, null, s9, v5, vcc_lo
	v_add_co_u32 v87, vcc_lo, s10, v4
	v_add3_u32 v9, v9, v12, v13
	s_wait_alu 0xfffd
	v_add_co_ci_u32_e64 v88, null, s11, v5, vcc_lo
	v_add_co_u32 v89, vcc_lo, s8, v6
	s_wait_alu 0xfffd
	v_add_co_ci_u32_e64 v90, null, s9, v7, vcc_lo
	v_add_co_u32 v11, vcc_lo, v15, 10
	v_add_co_u32 v91, s3, s10, v6
	v_lshlrev_b64_e32 v[4:5], 3, v[8:9]
	s_wait_alu 0xfffd
	v_add_co_ci_u32_e64 v6, null, 0, v10, vcc_lo
	v_add_co_u32 v8, vcc_lo, v15, 9
	s_wait_alu 0xfffd
	v_add_co_ci_u32_e64 v9, null, 0, v10, vcc_lo
	s_wait_alu 0xf1ff
	v_add_co_ci_u32_e64 v92, null, s11, v7, s3
	v_mul_lo_u32 v12, s7, v11
	v_mul_lo_u32 v13, s6, v6
	v_mad_co_u64_u32 v[6:7], null, s6, v11, 0
	v_mul_lo_u32 v11, s7, v8
	v_mul_lo_u32 v14, s6, v9
	v_mad_co_u64_u32 v[8:9], null, s6, v8, 0
	v_add_co_u32 v93, vcc_lo, s8, v4
	s_wait_alu 0xfffd
	v_add_co_ci_u32_e64 v96, null, s9, v5, vcc_lo
	v_add_co_u32 v97, vcc_lo, s10, v4
	s_wait_alu 0xfffd
	v_add_co_ci_u32_e64 v98, null, s11, v5, vcc_lo
	v_add3_u32 v9, v9, v14, v11
	v_add_co_u32 v11, vcc_lo, v15, 8
	v_add3_u32 v7, v7, v13, v12
	s_wait_alu 0xfffd
	v_add_co_ci_u32_e64 v12, null, 0, v10, vcc_lo
	s_delay_alu instid0(VALU_DEP_3)
	v_mul_lo_u32 v13, s7, v11
	s_add_nc_u64 s[18:19], s[0:1], 64
	v_lshlrev_b64_e32 v[4:5], 3, v[6:7]
	v_lshlrev_b64_e32 v[6:7], 3, v[8:9]
	v_mul_lo_u32 v12, s6, v12
	v_mad_co_u64_u32 v[8:9], null, s6, v11, 0
	s_lshl_b64 s[22:23], s[22:23], 3
	v_add_co_u32 v99, vcc_lo, s8, v4
	s_wait_alu 0xfffd
	v_add_co_ci_u32_e64 v100, null, s9, v5, vcc_lo
	v_add_co_u32 v101, vcc_lo, s10, v4
	v_add3_u32 v9, v9, v12, v13
	s_wait_alu 0xfffd
	v_add_co_ci_u32_e64 v102, null, s11, v5, vcc_lo
	v_add_co_u32 v103, vcc_lo, s8, v6
	s_wait_alu 0xfffd
	v_add_co_ci_u32_e64 v104, null, s9, v7, vcc_lo
	v_add_co_u32 v11, vcc_lo, v15, 7
	v_add_co_u32 v105, s3, s10, v6
	v_lshlrev_b64_e32 v[4:5], 3, v[8:9]
	s_wait_alu 0xfffd
	v_add_co_ci_u32_e64 v6, null, 0, v10, vcc_lo
	v_add_co_u32 v8, vcc_lo, v15, 6
	s_wait_alu 0xfffd
	v_add_co_ci_u32_e64 v9, null, 0, v10, vcc_lo
	s_wait_alu 0xf1ff
	v_add_co_ci_u32_e64 v106, null, s11, v7, s3
	v_mul_lo_u32 v12, s7, v11
	v_mul_lo_u32 v13, s6, v6
	v_mad_co_u64_u32 v[6:7], null, s6, v11, 0
	v_mul_lo_u32 v11, s7, v8
	v_mul_lo_u32 v14, s6, v9
	v_mad_co_u64_u32 v[8:9], null, s6, v8, 0
	v_add_co_u32 v107, vcc_lo, s8, v4
	s_wait_alu 0xfffd
	v_add_co_ci_u32_e64 v108, null, s9, v5, vcc_lo
	v_add_co_u32 v109, vcc_lo, s10, v4
	v_add3_u32 v7, v7, v13, v12
	s_wait_alu 0xfffd
	v_add_co_ci_u32_e64 v110, null, s11, v5, vcc_lo
	v_add3_u32 v9, v9, v14, v11
	v_add_co_u32 v11, vcc_lo, v15, 5
	s_wait_alu 0xfffd
	v_add_co_ci_u32_e64 v12, null, 0, v10, vcc_lo
	v_lshlrev_b64_e32 v[4:5], 3, v[6:7]
	v_lshlrev_b64_e32 v[6:7], 3, v[8:9]
	v_mul_lo_u32 v13, s7, v11
	s_delay_alu instid0(VALU_DEP_4)
	v_mul_lo_u32 v12, s6, v12
	v_mad_co_u64_u32 v[8:9], null, s6, v11, 0
	v_add_co_u32 v111, vcc_lo, s8, v4
	s_wait_alu 0xfffd
	v_add_co_ci_u32_e64 v112, null, s9, v5, vcc_lo
	v_add_co_u32 v113, vcc_lo, s10, v4
	s_wait_alu 0xfffd
	v_add_co_ci_u32_e64 v114, null, s11, v5, vcc_lo
	v_add_co_u32 v115, vcc_lo, s8, v6
	v_add3_u32 v9, v9, v12, v13
	s_wait_alu 0xfffd
	v_add_co_ci_u32_e64 v116, null, s9, v7, vcc_lo
	v_add_co_u32 v11, vcc_lo, v15, 4
	v_add_co_u32 v117, s3, s10, v6
	s_wait_alu 0xfffd
	v_add_co_ci_u32_e64 v6, null, 0, v10, vcc_lo
	v_lshlrev_b64_e32 v[4:5], 3, v[8:9]
	v_add_co_u32 v8, vcc_lo, v15, 3
	s_wait_alu 0xfffd
	v_add_co_ci_u32_e64 v9, null, 0, v10, vcc_lo
	s_wait_alu 0xf1ff
	v_add_co_ci_u32_e64 v118, null, s11, v7, s3
	v_mul_lo_u32 v12, s7, v11
	v_mul_lo_u32 v13, s6, v6
	v_mad_co_u64_u32 v[6:7], null, s6, v11, 0
	v_mul_lo_u32 v11, s7, v8
	v_mul_lo_u32 v14, s6, v9
	v_mad_co_u64_u32 v[8:9], null, s6, v8, 0
	v_add_co_u32 v119, vcc_lo, s8, v4
	s_wait_alu 0xfffd
	v_add_co_ci_u32_e64 v120, null, s9, v5, vcc_lo
	v_add3_u32 v7, v7, v13, v12
	v_add_co_u32 v121, vcc_lo, s10, v4
	s_wait_alu 0xfffd
	v_add_co_ci_u32_e64 v122, null, s11, v5, vcc_lo
	v_add_co_u32 v12, vcc_lo, v15, 2
	v_add3_u32 v9, v9, v14, v11
	s_wait_alu 0xfffd
	v_add_co_ci_u32_e64 v10, null, 0, v10, vcc_lo
	v_lshlrev_b64_e32 v[4:5], 3, v[6:7]
	v_mul_lo_u32 v11, s7, v12
	v_lshlrev_b64_e32 v[6:7], 3, v[8:9]
	s_delay_alu instid0(VALU_DEP_4)
	v_mul_lo_u32 v10, s6, v10
	v_mad_co_u64_u32 v[8:9], null, s6, v12, 0
	v_add_co_u32 v123, vcc_lo, s8, v4
	s_wait_alu 0xfffd
	v_add_co_ci_u32_e64 v124, null, s9, v5, vcc_lo
	v_add_co_u32 v125, vcc_lo, s10, v4
	s_wait_alu 0xfffd
	v_add_co_ci_u32_e64 v126, null, s11, v5, vcc_lo
	;; [unrolled: 3-line block ×3, first 2 shown]
	v_add3_u32 v9, v9, v10, v11
	v_add_co_u32 v140, vcc_lo, s10, v6
	s_wait_alu 0xfffd
	v_add_co_ci_u32_e64 v129, null, s11, v7, vcc_lo
	v_add_co_u32 v2, vcc_lo, v2, s6
	s_wait_alu 0xfffd
	v_add_co_ci_u32_e64 v3, null, s7, v3, vcc_lo
	v_lshlrev_b64_e32 v[4:5], 3, v[8:9]
	s_add_nc_u64 s[24:25], s[14:15], 0xff
	s_mov_b64 s[26:27], s[14:15]
	s_delay_alu instid0(VALU_DEP_2) | instskip(NEXT) | instid1(VALU_DEP_2)
	v_lshlrev_b64_e32 v[2:3], 3, v[2:3]
	v_add_co_u32 v130, vcc_lo, s8, v4
	s_wait_alu 0xfffd
	v_add_co_ci_u32_e64 v131, null, s9, v5, vcc_lo
	v_add_co_u32 v132, vcc_lo, s10, v4
	s_wait_alu 0xfffd
	v_add_co_ci_u32_e64 v133, null, s11, v5, vcc_lo
	;; [unrolled: 3-line block ×4, first 2 shown]
	s_branch .LBB128_5
.LBB128_3:                              ;   in Loop: Header=BB128_5 Depth=1
	s_wait_alu 0xfffe
	s_or_b32 exec_lo, exec_lo, s3
	s_wait_loadcnt 0x0
	v_mul_f64_e32 v[2:3], v[38:39], v[2:3]
	ds_bpermute_b32 v38, v1, v36
	ds_bpermute_b32 v39, v1, v37
	v_mul_f64_e32 v[4:5], v[42:43], v[4:5]
	v_mul_f64_e32 v[6:7], v[40:41], v[6:7]
	;; [unrolled: 1-line block ×3, first 2 shown]
	s_wait_dscnt 0x0
	v_fma_f64 v[2:3], v[2:3], v[38:39], v[94:95]
	ds_bpermute_b32 v38, v1, v36 offset:4
	ds_bpermute_b32 v39, v1, v37 offset:4
	s_wait_dscnt 0x0
	v_fma_f64 v[2:3], v[4:5], v[38:39], v[2:3]
	ds_bpermute_b32 v4, v1, v36 offset:8
	ds_bpermute_b32 v5, v1, v37 offset:8
	;; [unrolled: 4-line block ×3, first 2 shown]
	v_mul_f64_e32 v[6:7], v[44:45], v[10:11]
	s_wait_dscnt 0x0
	v_fma_f64 v[2:3], v[8:9], v[4:5], v[2:3]
	ds_bpermute_b32 v4, v1, v36 offset:16
	ds_bpermute_b32 v5, v1, v37 offset:16
	v_mul_f64_e32 v[8:9], v[50:51], v[12:13]
	s_wait_dscnt 0x0
	v_fma_f64 v[2:3], v[6:7], v[4:5], v[2:3]
	ds_bpermute_b32 v4, v1, v36 offset:20
	ds_bpermute_b32 v5, v1, v37 offset:20
	;; [unrolled: 5-line block ×10, first 2 shown]
	ds_bpermute_b32 v6, v1, v36 offset:56
	ds_bpermute_b32 v7, v1, v37 offset:56
	s_wait_dscnt 0x2
	v_fma_f64 v[2:3], v[8:9], v[4:5], v[2:3]
	v_mul_f64_e32 v[4:5], v[66:67], v[30:31]
	s_wait_dscnt 0x0
	s_delay_alu instid0(VALU_DEP_1)
	v_fma_f64 v[38:39], v[4:5], v[6:7], v[2:3]
	ds_bpermute_b32 v2, v1, v36 offset:60
	ds_bpermute_b32 v3, v1, v37 offset:60
.LBB128_4:                              ;   in Loop: Header=BB128_5 Depth=1
	v_mul_f64_e32 v[4:5], v[52:53], v[32:33]
	v_add_co_u32 v73, vcc_lo, v73, s22
	s_wait_alu 0xfffd
	v_add_co_ci_u32_e64 v74, null, s23, v74, vcc_lo
	v_add_co_u32 v75, vcc_lo, v75, s22
	s_wait_alu 0xfffd
	v_add_co_ci_u32_e64 v76, null, s23, v76, vcc_lo
	;; [unrolled: 3-line block ×15, first 2 shown]
	v_add_co_u32 v105, vcc_lo, v105, s22
	s_wait_dscnt 0x0
	v_fma_f64 v[94:95], v[4:5], v[2:3], v[38:39]
	s_wait_alu 0xfffd
	v_add_co_ci_u32_e64 v106, null, s23, v106, vcc_lo
	v_add_co_u32 v107, vcc_lo, v107, s22
	s_wait_alu 0xfffd
	v_add_co_ci_u32_e64 v108, null, s23, v108, vcc_lo
	v_add_co_u32 v109, vcc_lo, v109, s22
	;; [unrolled: 3-line block ×14, first 2 shown]
	s_add_nc_u64 s[26:27], s[26:27], s[20:21]
	s_wait_alu 0xfffd
	v_add_co_ci_u32_e64 v133, null, s23, v133, vcc_lo
	v_add_co_u32 v134, vcc_lo, v134, s22
	s_wait_alu 0xfffe
	v_cmp_lt_i64_e64 s3, s[26:27], s[4:5]
	s_wait_alu 0xfffd
	v_add_co_ci_u32_e64 v135, null, s23, v135, vcc_lo
	v_add_co_u32 v136, vcc_lo, v136, s22
	s_wait_alu 0xfffd
	v_add_co_ci_u32_e64 v137, null, s23, v137, vcc_lo
	s_and_b32 vcc_lo, exec_lo, s3
	s_add_nc_u64 s[24:25], s[24:25], s[20:21]
	s_wait_alu 0xfffe
	s_cbranch_vccz .LBB128_81
.LBB128_5:                              ; =>This Inner Loop Header: Depth=1
	v_cmp_ge_i64_e64 s3, s[24:25], s[4:5]
	v_add_co_u32 v138, s16, v71, s24
	s_wait_alu 0xf1ff
	v_add_co_ci_u32_e64 v139, null, 0, s25, s16
                                        ; implicit-def: $vgpr2_vgpr3_vgpr4_vgpr5_vgpr6_vgpr7_vgpr8_vgpr9_vgpr10_vgpr11_vgpr12_vgpr13_vgpr14_vgpr15_vgpr16_vgpr17_vgpr18_vgpr19_vgpr20_vgpr21_vgpr22_vgpr23_vgpr24_vgpr25_vgpr26_vgpr27_vgpr28_vgpr29_vgpr30_vgpr31_vgpr32_vgpr33
                                        ; implicit-def: $vgpr38_vgpr39
                                        ; implicit-def: $vgpr52_vgpr53
                                        ; implicit-def: $vgpr2
	s_and_b32 vcc_lo, exec_lo, s3
	s_mov_b32 s3, -1
	s_wait_alu 0xfffe
	s_cbranch_vccz .LBB128_43
; %bb.6:                                ;   in Loop: Header=BB128_5 Depth=1
	s_load_b32 s3, s[18:19], 0xc
	v_mov_b32_e32 v38, 0
	v_mov_b32_e32 v36, 0
	;; [unrolled: 1-line block ×4, first 2 shown]
	s_wait_kmcnt 0x0
	s_and_b32 s3, s3, 0xffff
	s_wait_alu 0xfffe
	v_mad_u32_u24 v2, v70, s3, v72
	s_mov_b32 s3, exec_lo
	s_delay_alu instid0(VALU_DEP_1) | instskip(NEXT) | instid1(VALU_DEP_1)
	v_and_b32_e32 v2, 31, v2
	v_cmpx_gt_u32_e32 16, v2
	s_cbranch_execz .LBB128_10
; %bb.7:                                ;   in Loop: Header=BB128_5 Depth=1
	v_add_co_u32 v2, vcc_lo, v138, v2
	s_wait_alu 0xfffd
	v_add_co_ci_u32_e64 v3, null, 0, v139, vcc_lo
	v_mov_b32_e32 v36, 0
	s_delay_alu instid0(VALU_DEP_3) | instskip(SKIP_1) | instid1(VALU_DEP_3)
	v_add_co_u32 v2, vcc_lo, 0xffffff01, v2
	s_wait_alu 0xfffd
	v_add_co_ci_u32_e64 v3, null, -1, v3, vcc_lo
	v_mov_b32_e32 v37, 0
	s_mov_b32 s16, exec_lo
	s_delay_alu instid0(VALU_DEP_2)
	v_cmpx_gt_i64_e64 s[4:5], v[2:3]
	s_cbranch_execz .LBB128_9
; %bb.8:                                ;   in Loop: Header=BB128_5 Depth=1
	v_lshlrev_b64_e32 v[2:3], 3, v[2:3]
	s_delay_alu instid0(VALU_DEP_1) | instskip(SKIP_1) | instid1(VALU_DEP_2)
	v_add_co_u32 v2, vcc_lo, s12, v2
	s_wait_alu 0xfffd
	v_add_co_ci_u32_e64 v3, null, s13, v3, vcc_lo
	global_load_b64 v[36:37], v[2:3], off
.LBB128_9:                              ;   in Loop: Header=BB128_5 Depth=1
	s_wait_alu 0xfffe
	s_or_b32 exec_lo, exec_lo, s16
.LBB128_10:                             ;   in Loop: Header=BB128_5 Depth=1
	s_wait_alu 0xfffe
	s_or_b32 exec_lo, exec_lo, s3
	v_add_co_u32 v40, vcc_lo, 0xffffff01, v138
	s_wait_alu 0xfffd
	v_add_co_ci_u32_e64 v41, null, -1, v139, vcc_lo
	v_mov_b32_e32 v32, v1
	v_dual_mov_b32 v2, v1 :: v_dual_mov_b32 v3, v1
	s_delay_alu instid0(VALU_DEP_3)
	v_cmp_gt_i64_e32 vcc_lo, s[4:5], v[40:41]
	v_dual_mov_b32 v4, v1 :: v_dual_mov_b32 v5, v1
	v_dual_mov_b32 v6, v1 :: v_dual_mov_b32 v7, v1
	;; [unrolled: 1-line block ×14, first 2 shown]
	v_mov_b32_e32 v33, v32
	s_delay_alu instid0(VALU_DEP_2) | instskip(NEXT) | instid1(VALU_DEP_3)
	v_mov_b32_e32 v32, v31
	v_mov_b32_e32 v31, v30
	;; [unrolled: 1-line block ×31, first 2 shown]
	s_and_b32 s16, s2, vcc_lo
	s_wait_alu 0xfffe
	s_and_saveexec_b32 s3, s16
	s_cbranch_execz .LBB128_12
; %bb.11:                               ;   in Loop: Header=BB128_5 Depth=1
	v_add_co_u32 v2, vcc_lo, v73, v34
	s_wait_alu 0xfffd
	v_add_co_ci_u32_e64 v3, null, v74, v35, vcc_lo
	v_add_co_u32 v4, vcc_lo, v75, v34
	s_wait_alu 0xfffd
	v_add_co_ci_u32_e64 v5, null, v76, v35, vcc_lo
	global_load_b64 v[2:3], v[2:3], off
	global_load_b64 v[38:39], v[4:5], off
	v_dual_mov_b32 v4, v1 :: v_dual_mov_b32 v5, v1
	v_dual_mov_b32 v6, v1 :: v_dual_mov_b32 v7, v1
	;; [unrolled: 1-line block ×15, first 2 shown]
.LBB128_12:                             ;   in Loop: Header=BB128_5 Depth=1
	s_wait_alu 0xfffe
	s_or_b32 exec_lo, exec_lo, s3
	v_add_co_u32 v40, vcc_lo, 0xffffff02, v138
	s_wait_alu 0xfffd
	v_add_co_ci_u32_e64 v41, null, -1, v139, vcc_lo
	v_mov_b32_e32 v42, 0
	v_mov_b32_e32 v43, 0
	s_delay_alu instid0(VALU_DEP_3)
	v_cmp_gt_i64_e32 vcc_lo, s[4:5], v[40:41]
	v_mov_b32_e32 v40, 0
	v_mov_b32_e32 v41, 0
	s_and_b32 s16, s2, vcc_lo
	s_wait_alu 0xfffe
	s_and_saveexec_b32 s3, s16
	s_cbranch_execz .LBB128_14
; %bb.13:                               ;   in Loop: Header=BB128_5 Depth=1
	v_add_co_u32 v4, vcc_lo, v134, v34
	s_wait_alu 0xfffd
	v_add_co_ci_u32_e64 v5, null, v135, v35, vcc_lo
	v_add_co_u32 v42, vcc_lo, v136, v34
	s_wait_alu 0xfffd
	v_add_co_ci_u32_e64 v43, null, v137, v35, vcc_lo
	global_load_b64 v[4:5], v[4:5], off
	global_load_b64 v[42:43], v[42:43], off
.LBB128_14:                             ;   in Loop: Header=BB128_5 Depth=1
	s_wait_alu 0xfffe
	s_or_b32 exec_lo, exec_lo, s3
	v_add_co_u32 v44, vcc_lo, 0xffffff03, v138
	s_wait_alu 0xfffd
	v_add_co_ci_u32_e64 v45, null, -1, v139, vcc_lo
	s_delay_alu instid0(VALU_DEP_1)
	v_cmp_gt_i64_e32 vcc_lo, s[4:5], v[44:45]
	s_and_b32 s16, s2, vcc_lo
	s_wait_alu 0xfffe
	s_and_saveexec_b32 s3, s16
	s_cbranch_execz .LBB128_16
; %bb.15:                               ;   in Loop: Header=BB128_5 Depth=1
	v_add_co_u32 v6, vcc_lo, v130, v34
	s_wait_alu 0xfffd
	v_add_co_ci_u32_e64 v7, null, v131, v35, vcc_lo
	v_add_co_u32 v40, vcc_lo, v132, v34
	s_wait_alu 0xfffd
	v_add_co_ci_u32_e64 v41, null, v133, v35, vcc_lo
	global_load_b64 v[6:7], v[6:7], off
	global_load_b64 v[40:41], v[40:41], off
.LBB128_16:                             ;   in Loop: Header=BB128_5 Depth=1
	s_wait_alu 0xfffe
	s_or_b32 exec_lo, exec_lo, s3
	v_add_co_u32 v44, vcc_lo, 0xffffff04, v138
	s_wait_alu 0xfffd
	v_add_co_ci_u32_e64 v45, null, -1, v139, vcc_lo
	v_mov_b32_e32 v46, 0
	v_mov_b32_e32 v47, 0
	s_delay_alu instid0(VALU_DEP_3)
	v_cmp_gt_i64_e32 vcc_lo, s[4:5], v[44:45]
	v_mov_b32_e32 v44, 0
	v_mov_b32_e32 v45, 0
	s_and_b32 s16, s2, vcc_lo
	s_wait_alu 0xfffe
	s_and_saveexec_b32 s3, s16
	s_cbranch_execz .LBB128_18
; %bb.17:                               ;   in Loop: Header=BB128_5 Depth=1
	v_add_co_u32 v8, vcc_lo, v127, v34
	s_wait_alu 0xfffd
	v_add_co_ci_u32_e64 v9, null, v128, v35, vcc_lo
	v_add_co_u32 v46, vcc_lo, v140, v34
	s_wait_alu 0xfffd
	v_add_co_ci_u32_e64 v47, null, v129, v35, vcc_lo
	global_load_b64 v[8:9], v[8:9], off
	global_load_b64 v[46:47], v[46:47], off
.LBB128_18:                             ;   in Loop: Header=BB128_5 Depth=1
	s_wait_alu 0xfffe
	s_or_b32 exec_lo, exec_lo, s3
	v_add_co_u32 v48, vcc_lo, 0xffffff05, v138
	s_wait_alu 0xfffd
	v_add_co_ci_u32_e64 v49, null, -1, v139, vcc_lo
	s_delay_alu instid0(VALU_DEP_1)
	v_cmp_gt_i64_e32 vcc_lo, s[4:5], v[48:49]
	s_and_b32 s16, s2, vcc_lo
	s_wait_alu 0xfffe
	s_and_saveexec_b32 s3, s16
	s_cbranch_execz .LBB128_20
; %bb.19:                               ;   in Loop: Header=BB128_5 Depth=1
	v_add_co_u32 v10, vcc_lo, v123, v34
	s_wait_alu 0xfffd
	v_add_co_ci_u32_e64 v11, null, v124, v35, vcc_lo
	v_add_co_u32 v44, vcc_lo, v125, v34
	s_wait_alu 0xfffd
	v_add_co_ci_u32_e64 v45, null, v126, v35, vcc_lo
	global_load_b64 v[10:11], v[10:11], off
	global_load_b64 v[44:45], v[44:45], off
.LBB128_20:                             ;   in Loop: Header=BB128_5 Depth=1
	;; [unrolled: 46-line block ×3, first 2 shown]
	s_wait_alu 0xfffe
	s_or_b32 exec_lo, exec_lo, s3
	v_add_co_u32 v52, vcc_lo, 0xffffff08, v138
	s_wait_alu 0xfffd
	v_add_co_ci_u32_e64 v53, null, -1, v139, vcc_lo
	v_mov_b32_e32 v54, 0
	v_dual_mov_b32 v55, 0 :: v_dual_mov_b32 v56, 0
	s_delay_alu instid0(VALU_DEP_3)
	v_cmp_gt_i64_e32 vcc_lo, s[4:5], v[52:53]
	v_mov_b32_e32 v57, 0
	s_and_b32 s16, s2, vcc_lo
	s_wait_alu 0xfffe
	s_and_saveexec_b32 s3, s16
	s_cbranch_execz .LBB128_26
; %bb.25:                               ;   in Loop: Header=BB128_5 Depth=1
	v_add_co_u32 v16, vcc_lo, v111, v34
	s_wait_alu 0xfffd
	v_add_co_ci_u32_e64 v17, null, v112, v35, vcc_lo
	v_add_co_u32 v52, vcc_lo, v113, v34
	s_wait_alu 0xfffd
	v_add_co_ci_u32_e64 v53, null, v114, v35, vcc_lo
	global_load_b64 v[16:17], v[16:17], off
	global_load_b64 v[56:57], v[52:53], off
.LBB128_26:                             ;   in Loop: Header=BB128_5 Depth=1
	s_wait_alu 0xfffe
	s_or_b32 exec_lo, exec_lo, s3
	v_add_co_u32 v52, vcc_lo, 0xffffff09, v138
	s_wait_alu 0xfffd
	v_add_co_ci_u32_e64 v53, null, -1, v139, vcc_lo
	s_delay_alu instid0(VALU_DEP_1)
	v_cmp_gt_i64_e32 vcc_lo, s[4:5], v[52:53]
	s_and_b32 s16, s2, vcc_lo
	s_wait_alu 0xfffe
	s_and_saveexec_b32 s3, s16
	s_cbranch_execz .LBB128_28
; %bb.27:                               ;   in Loop: Header=BB128_5 Depth=1
	v_add_co_u32 v18, vcc_lo, v107, v34
	s_wait_alu 0xfffd
	v_add_co_ci_u32_e64 v19, null, v108, v35, vcc_lo
	v_add_co_u32 v52, vcc_lo, v109, v34
	s_wait_alu 0xfffd
	v_add_co_ci_u32_e64 v53, null, v110, v35, vcc_lo
	global_load_b64 v[18:19], v[18:19], off
	global_load_b64 v[54:55], v[52:53], off
.LBB128_28:                             ;   in Loop: Header=BB128_5 Depth=1
	s_wait_alu 0xfffe
	s_or_b32 exec_lo, exec_lo, s3
	v_add_co_u32 v52, vcc_lo, 0xffffff0a, v138
	s_wait_alu 0xfffd
	v_add_co_ci_u32_e64 v53, null, -1, v139, vcc_lo
	v_mov_b32_e32 v58, 0
	v_dual_mov_b32 v59, 0 :: v_dual_mov_b32 v60, 0
	s_delay_alu instid0(VALU_DEP_3)
	v_cmp_gt_i64_e32 vcc_lo, s[4:5], v[52:53]
	v_mov_b32_e32 v61, 0
	s_and_b32 s16, s2, vcc_lo
	s_wait_alu 0xfffe
	s_and_saveexec_b32 s3, s16
	s_cbranch_execz .LBB128_30
; %bb.29:                               ;   in Loop: Header=BB128_5 Depth=1
	v_add_co_u32 v20, vcc_lo, v103, v34
	s_wait_alu 0xfffd
	v_add_co_ci_u32_e64 v21, null, v104, v35, vcc_lo
	v_add_co_u32 v52, vcc_lo, v105, v34
	s_wait_alu 0xfffd
	v_add_co_ci_u32_e64 v53, null, v106, v35, vcc_lo
	global_load_b64 v[20:21], v[20:21], off
	global_load_b64 v[60:61], v[52:53], off
.LBB128_30:                             ;   in Loop: Header=BB128_5 Depth=1
	s_wait_alu 0xfffe
	s_or_b32 exec_lo, exec_lo, s3
	v_add_co_u32 v52, vcc_lo, 0xffffff0b, v138
	s_wait_alu 0xfffd
	v_add_co_ci_u32_e64 v53, null, -1, v139, vcc_lo
	s_delay_alu instid0(VALU_DEP_1)
	v_cmp_gt_i64_e32 vcc_lo, s[4:5], v[52:53]
	s_and_b32 s16, s2, vcc_lo
	s_wait_alu 0xfffe
	s_and_saveexec_b32 s3, s16
	s_cbranch_execz .LBB128_32
; %bb.31:                               ;   in Loop: Header=BB128_5 Depth=1
	v_add_co_u32 v22, vcc_lo, v99, v34
	s_wait_alu 0xfffd
	v_add_co_ci_u32_e64 v23, null, v100, v35, vcc_lo
	v_add_co_u32 v52, vcc_lo, v101, v34
	s_wait_alu 0xfffd
	v_add_co_ci_u32_e64 v53, null, v102, v35, vcc_lo
	global_load_b64 v[22:23], v[22:23], off
	global_load_b64 v[58:59], v[52:53], off
.LBB128_32:                             ;   in Loop: Header=BB128_5 Depth=1
	;; [unrolled: 45-line block ×4, first 2 shown]
	s_wait_alu 0xfffe
	s_or_b32 exec_lo, exec_lo, s3
	v_add_co_u32 v52, vcc_lo, 0xffffff10, v138
	s_wait_alu 0xfffd
	v_add_co_ci_u32_e64 v53, null, -1, v139, vcc_lo
	s_delay_alu instid0(VALU_DEP_1)
	v_cmp_gt_i64_e32 vcc_lo, s[4:5], v[52:53]
	v_mov_b32_e32 v52, 0
	v_mov_b32_e32 v53, 0
	s_and_b32 s16, s2, vcc_lo
	s_wait_alu 0xfffe
	s_and_saveexec_b32 s3, s16
	s_cbranch_execz .LBB128_42
; %bb.41:                               ;   in Loop: Header=BB128_5 Depth=1
	v_add_co_u32 v32, vcc_lo, v77, v34
	s_wait_alu 0xfffd
	v_add_co_ci_u32_e64 v33, null, v78, v35, vcc_lo
	v_add_co_u32 v52, vcc_lo, v79, v34
	s_wait_alu 0xfffd
	v_add_co_ci_u32_e64 v53, null, v80, v35, vcc_lo
	global_load_b64 v[32:33], v[32:33], off
	global_load_b64 v[52:53], v[52:53], off
.LBB128_42:                             ;   in Loop: Header=BB128_5 Depth=1
	s_wait_alu 0xfffe
	s_or_b32 exec_lo, exec_lo, s3
	s_wait_loadcnt 0x0
	v_mul_f64_e32 v[2:3], v[38:39], v[2:3]
	ds_bpermute_b32 v38, v1, v36
	ds_bpermute_b32 v39, v1, v37
	v_mul_f64_e32 v[4:5], v[42:43], v[4:5]
	v_mul_f64_e32 v[6:7], v[40:41], v[6:7]
	;; [unrolled: 1-line block ×3, first 2 shown]
	s_mov_b32 s3, 0
	s_wait_dscnt 0x0
	v_fma_f64 v[2:3], v[2:3], v[38:39], v[94:95]
	ds_bpermute_b32 v38, v1, v36 offset:4
	ds_bpermute_b32 v39, v1, v37 offset:4
	s_wait_dscnt 0x0
	v_fma_f64 v[2:3], v[4:5], v[38:39], v[2:3]
	ds_bpermute_b32 v4, v1, v36 offset:8
	ds_bpermute_b32 v5, v1, v37 offset:8
	s_wait_dscnt 0x0
	v_fma_f64 v[2:3], v[6:7], v[4:5], v[2:3]
	ds_bpermute_b32 v4, v1, v36 offset:12
	ds_bpermute_b32 v5, v1, v37 offset:12
	v_mul_f64_e32 v[6:7], v[44:45], v[10:11]
	s_wait_dscnt 0x0
	v_fma_f64 v[2:3], v[8:9], v[4:5], v[2:3]
	ds_bpermute_b32 v4, v1, v36 offset:16
	ds_bpermute_b32 v5, v1, v37 offset:16
	v_mul_f64_e32 v[8:9], v[50:51], v[12:13]
	s_wait_dscnt 0x0
	v_fma_f64 v[2:3], v[6:7], v[4:5], v[2:3]
	ds_bpermute_b32 v4, v1, v36 offset:20
	ds_bpermute_b32 v5, v1, v37 offset:20
	;; [unrolled: 5-line block ×10, first 2 shown]
	ds_bpermute_b32 v6, v1, v36 offset:56
	ds_bpermute_b32 v7, v1, v37 offset:56
	s_wait_dscnt 0x2
	v_fma_f64 v[2:3], v[8:9], v[4:5], v[2:3]
	v_mul_f64_e32 v[4:5], v[66:67], v[30:31]
	s_wait_dscnt 0x0
	s_delay_alu instid0(VALU_DEP_1)
	v_fma_f64 v[38:39], v[4:5], v[6:7], v[2:3]
	ds_bpermute_b32 v2, v1, v36 offset:60
	ds_bpermute_b32 v3, v1, v37 offset:60
.LBB128_43:                             ;   in Loop: Header=BB128_5 Depth=1
	s_wait_alu 0xfffe
	s_and_b32 vcc_lo, exec_lo, s3
	s_wait_alu 0xfffe
	s_cbranch_vccz .LBB128_4
; %bb.44:                               ;   in Loop: Header=BB128_5 Depth=1
	s_load_b32 s3, s[18:19], 0x0
	v_mov_b32_e32 v38, 0
	v_mov_b32_e32 v36, 0
	;; [unrolled: 1-line block ×4, first 2 shown]
	s_wait_kmcnt 0x0
	s_cmp_lt_u32 ttmp9, s3
	s_cselect_b32 s16, 12, 18
	s_wait_alu 0xfffe
	s_add_nc_u64 s[30:31], s[18:19], s[16:17]
	s_load_u16 s3, s[30:31], 0x0
	s_wait_dscnt 0x1
	s_wait_kmcnt 0x0
	v_mad_u32_u24 v2, v70, s3, v72
	s_mov_b32 s3, exec_lo
	s_delay_alu instid0(VALU_DEP_1) | instskip(NEXT) | instid1(VALU_DEP_1)
	v_and_b32_e32 v2, 31, v2
	v_cmpx_gt_u32_e32 16, v2
	s_cbranch_execz .LBB128_48
; %bb.45:                               ;   in Loop: Header=BB128_5 Depth=1
	v_add_co_u32 v2, vcc_lo, v138, v2
	s_wait_dscnt 0x0
	s_wait_alu 0xfffd
	v_add_co_ci_u32_e64 v3, null, 0, v139, vcc_lo
	v_mov_b32_e32 v36, 0
	v_add_co_u32 v2, vcc_lo, 0xffffff01, v2
	s_wait_alu 0xfffd
	s_delay_alu instid0(VALU_DEP_3) | instskip(SKIP_2) | instid1(VALU_DEP_2)
	v_add_co_ci_u32_e64 v3, null, -1, v3, vcc_lo
	v_mov_b32_e32 v37, 0
	s_mov_b32 s16, exec_lo
	v_cmpx_gt_i64_e64 s[4:5], v[2:3]
	s_cbranch_execz .LBB128_47
; %bb.46:                               ;   in Loop: Header=BB128_5 Depth=1
	v_lshlrev_b64_e32 v[2:3], 3, v[2:3]
	s_delay_alu instid0(VALU_DEP_1) | instskip(SKIP_1) | instid1(VALU_DEP_2)
	v_add_co_u32 v2, vcc_lo, s12, v2
	s_wait_alu 0xfffd
	v_add_co_ci_u32_e64 v3, null, s13, v3, vcc_lo
	global_load_b64 v[36:37], v[2:3], off
.LBB128_47:                             ;   in Loop: Header=BB128_5 Depth=1
	s_wait_alu 0xfffe
	s_or_b32 exec_lo, exec_lo, s16
.LBB128_48:                             ;   in Loop: Header=BB128_5 Depth=1
	s_wait_alu 0xfffe
	s_or_b32 exec_lo, exec_lo, s3
	v_mov_b32_e32 v32, v1
	s_wait_dscnt 0x0
	v_dual_mov_b32 v2, v1 :: v_dual_mov_b32 v3, v1
	v_dual_mov_b32 v4, v1 :: v_dual_mov_b32 v5, v1
	;; [unrolled: 1-line block ×15, first 2 shown]
	v_mov_b32_e32 v33, v32
	s_delay_alu instid0(VALU_DEP_2) | instskip(NEXT) | instid1(VALU_DEP_3)
	v_mov_b32_e32 v32, v31
	v_mov_b32_e32 v31, v30
	;; [unrolled: 1-line block ×31, first 2 shown]
	s_and_saveexec_b32 s3, s2
	s_cbranch_execz .LBB128_50
; %bb.49:                               ;   in Loop: Header=BB128_5 Depth=1
	v_add_co_u32 v2, vcc_lo, v73, v34
	s_wait_alu 0xfffd
	v_add_co_ci_u32_e64 v3, null, v74, v35, vcc_lo
	v_add_co_u32 v4, vcc_lo, v75, v34
	s_wait_alu 0xfffd
	v_add_co_ci_u32_e64 v5, null, v76, v35, vcc_lo
	global_load_b64 v[2:3], v[2:3], off
	global_load_b64 v[38:39], v[4:5], off
	v_dual_mov_b32 v4, v1 :: v_dual_mov_b32 v5, v1
	v_dual_mov_b32 v6, v1 :: v_dual_mov_b32 v7, v1
	;; [unrolled: 1-line block ×15, first 2 shown]
.LBB128_50:                             ;   in Loop: Header=BB128_5 Depth=1
	s_wait_alu 0xfffe
	s_or_b32 exec_lo, exec_lo, s3
	v_mov_b32_e32 v40, 0
	v_dual_mov_b32 v41, 0 :: v_dual_mov_b32 v42, 0
	v_mov_b32_e32 v43, 0
	s_and_saveexec_b32 s3, s2
	s_cbranch_execz .LBB128_52
; %bb.51:                               ;   in Loop: Header=BB128_5 Depth=1
	v_add_co_u32 v4, vcc_lo, v134, v34
	s_wait_alu 0xfffd
	v_add_co_ci_u32_e64 v5, null, v135, v35, vcc_lo
	v_add_co_u32 v42, vcc_lo, v136, v34
	s_wait_alu 0xfffd
	v_add_co_ci_u32_e64 v43, null, v137, v35, vcc_lo
	global_load_b64 v[4:5], v[4:5], off
	global_load_b64 v[42:43], v[42:43], off
.LBB128_52:                             ;   in Loop: Header=BB128_5 Depth=1
	s_wait_alu 0xfffe
	s_or_b32 exec_lo, exec_lo, s3
	s_and_saveexec_b32 s3, s2
	s_cbranch_execz .LBB128_54
; %bb.53:                               ;   in Loop: Header=BB128_5 Depth=1
	v_add_co_u32 v6, vcc_lo, v130, v34
	s_wait_alu 0xfffd
	v_add_co_ci_u32_e64 v7, null, v131, v35, vcc_lo
	v_add_co_u32 v40, vcc_lo, v132, v34
	s_wait_alu 0xfffd
	v_add_co_ci_u32_e64 v41, null, v133, v35, vcc_lo
	global_load_b64 v[6:7], v[6:7], off
	global_load_b64 v[40:41], v[40:41], off
.LBB128_54:                             ;   in Loop: Header=BB128_5 Depth=1
	s_wait_alu 0xfffe
	s_or_b32 exec_lo, exec_lo, s3
	v_mov_b32_e32 v44, 0
	v_dual_mov_b32 v45, 0 :: v_dual_mov_b32 v46, 0
	v_mov_b32_e32 v47, 0
	s_and_saveexec_b32 s3, s2
	s_cbranch_execz .LBB128_56
; %bb.55:                               ;   in Loop: Header=BB128_5 Depth=1
	v_add_co_u32 v8, vcc_lo, v127, v34
	s_wait_alu 0xfffd
	v_add_co_ci_u32_e64 v9, null, v128, v35, vcc_lo
	v_add_co_u32 v46, vcc_lo, v140, v34
	s_wait_alu 0xfffd
	v_add_co_ci_u32_e64 v47, null, v129, v35, vcc_lo
	global_load_b64 v[8:9], v[8:9], off
	global_load_b64 v[46:47], v[46:47], off
.LBB128_56:                             ;   in Loop: Header=BB128_5 Depth=1
	s_wait_alu 0xfffe
	s_or_b32 exec_lo, exec_lo, s3
	s_and_saveexec_b32 s3, s2
	s_cbranch_execz .LBB128_58
; %bb.57:                               ;   in Loop: Header=BB128_5 Depth=1
	v_add_co_u32 v10, vcc_lo, v123, v34
	s_wait_alu 0xfffd
	v_add_co_ci_u32_e64 v11, null, v124, v35, vcc_lo
	v_add_co_u32 v44, vcc_lo, v125, v34
	s_wait_alu 0xfffd
	v_add_co_ci_u32_e64 v45, null, v126, v35, vcc_lo
	global_load_b64 v[10:11], v[10:11], off
	global_load_b64 v[44:45], v[44:45], off
.LBB128_58:                             ;   in Loop: Header=BB128_5 Depth=1
	;; [unrolled: 31-line block ×7, first 2 shown]
	s_wait_alu 0xfffe
	s_or_b32 exec_lo, exec_lo, s3
	v_mov_b32_e32 v52, 0
	v_mov_b32_e32 v53, 0
	s_and_saveexec_b32 s3, s2
	s_cbranch_execz .LBB128_3
; %bb.79:                               ;   in Loop: Header=BB128_5 Depth=1
	v_add_co_u32 v32, vcc_lo, v77, v34
	s_wait_alu 0xfffd
	v_add_co_ci_u32_e64 v33, null, v78, v35, vcc_lo
	v_add_co_u32 v52, vcc_lo, v79, v34
	s_wait_alu 0xfffd
	v_add_co_ci_u32_e64 v53, null, v80, v35, vcc_lo
	global_load_b64 v[32:33], v[32:33], off
	global_load_b64 v[52:53], v[52:53], off
	s_branch .LBB128_3
.LBB128_80:
                                        ; implicit-def: $vgpr94_vgpr95
	s_branch .LBB128_82
.LBB128_81:
	s_cbranch_execnz .LBB128_131
.LBB128_82:
	v_mov_b32_e32 v94, 0
	v_mov_b32_e32 v95, 0
	s_and_not1_b32 vcc_lo, exec_lo, s29
	s_wait_alu 0xfffe
	s_cbranch_vccnz .LBB128_131
; %bb.83:
	v_bfe_u32 v1, v0, 10, 10
	s_lshl_b64 s[2:3], s[14:15], 3
	s_add_nc_u64 s[18:19], s[14:15], 0xff
	s_delay_alu instid0(VALU_DEP_1)
	v_lshlrev_b32_e32 v2, 4, v1
	scratch_store_b32 off, v1, off offset:32 ; 4-byte Folded Spill
	v_lshlrev_b32_e32 v1, 7, v1
	v_add_co_u32 v104, s16, v2, s14
	s_wait_alu 0xf1ff
	v_add_co_ci_u32_e64 v3, null, 0, 0, s16
	s_wait_alu 0xfffe
	v_add_co_u32 v4, s2, v1, s2
	scratch_store_b32 off, v2, off offset:36 ; 4-byte Folded Spill
	v_mul_lo_u32 v6, s7, v104
	v_mul_lo_u32 v7, s6, v3
	v_mad_co_u64_u32 v[1:2], null, s6, v104, 0
	s_wait_alu 0xf1ff
	v_add_co_ci_u32_e64 v5, null, 0, s3, s2
	v_add_co_u32 v8, vcc_lo, v4, 8
	s_load_b32 s2, s[0:1], 0x44
	v_add_co_ci_u32_e64 v9, null, 0, v5, vcc_lo
	v_add_co_u32 v10, vcc_lo, v4, 16
	s_wait_alu 0xfffd
	v_add_co_ci_u32_e64 v11, null, 0, v5, vcc_lo
	v_add3_u32 v2, v2, v7, v6
	v_add_co_u32 v6, vcc_lo, v4, 24
	s_wait_alu 0xfffd
	v_add_co_ci_u32_e64 v7, null, 0, v5, vcc_lo
	v_add_co_u32 v14, vcc_lo, v4, 32
	s_wait_alu 0xfffd
	v_add_co_ci_u32_e64 v15, null, 0, v5, vcc_lo
	;; [unrolled: 3-line block ×12, first 2 shown]
	v_add_co_u32 v4, vcc_lo, 0x78, v4
	v_mad_co_u64_u32 v[54:55], null, s6, v84, s[8:9]
	v_mul_lo_u32 v92, s6, v56
	v_mul_lo_u32 v93, s7, v84
	v_mad_co_u64_u32 v[84:85], null, s6, v84, s[10:11]
	s_wait_alu 0xfffd
	v_add_co_ci_u32_e64 v5, null, 0, v5, vcc_lo
	v_mad_co_u64_u32 v[38:39], null, s6, v6, s[8:9]
	v_mul_lo_u32 v7, s6, v7
	v_mul_lo_u32 v16, s7, v6
	v_mad_co_u64_u32 v[68:69], null, s6, v6, s[10:11]
	v_mul_lo_u32 v101, s6, v5
	v_add_co_u32 v5, vcc_lo, v104, 15
	v_mad_co_u64_u32 v[36:37], null, s6, v10, s[8:9]
	v_mul_lo_u32 v11, s6, v11
	v_mul_lo_u32 v13, s7, v10
	v_mad_co_u64_u32 v[66:67], null, s6, v10, s[10:11]
	v_add3_u32 v55, v93, v55, v92
	v_mul_lo_u32 v99, s6, v62
	v_mad_co_u64_u32 v[62:63], null, s6, v4, s[8:9]
	v_mul_lo_u32 v102, s7, v4
	v_add3_u32 v85, v93, v85, v92
	v_mad_co_u64_u32 v[92:93], null, s6, v4, s[10:11]
	s_wait_alu 0xfffd
	v_add_co_ci_u32_e64 v4, null, 0, v3, vcc_lo
	v_add_co_u32 v6, vcc_lo, v104, 14
	v_mad_co_u64_u32 v[34:35], null, s6, v8, s[8:9]
	v_mul_lo_u32 v9, s6, v9
	v_mul_lo_u32 v12, s7, v8
	v_mad_co_u64_u32 v[64:65], null, s6, v8, s[10:11]
	v_add3_u32 v39, v16, v39, v7
	v_add3_u32 v69, v16, v69, v7
	s_wait_alu 0xfffd
	v_add_co_ci_u32_e64 v7, null, 0, v3, vcc_lo
	v_add3_u32 v37, v13, v37, v11
	v_add3_u32 v67, v13, v67, v11
	v_mul_lo_u32 v10, s7, v6
	s_delay_alu instid0(VALU_DEP_4)
	v_mul_lo_u32 v11, s6, v7
	v_mad_co_u64_u32 v[6:7], null, s6, v6, 0
	v_add3_u32 v35, v12, v35, v9
	v_mad_co_u64_u32 v[40:41], null, s6, v14, s[8:9]
	v_mul_lo_u32 v15, s6, v15
	v_mul_lo_u32 v18, s7, v14
	v_mad_co_u64_u32 v[70:71], null, s6, v14, s[10:11]
	v_add3_u32 v65, v12, v65, v9
	v_mul_lo_u32 v8, s7, v5
	v_mul_lo_u32 v9, s6, v4
	v_mad_co_u64_u32 v[4:5], null, s6, v5, 0
	v_mad_co_u64_u32 v[42:43], null, s6, v17, s[8:9]
	v_mul_lo_u32 v19, s6, v19
	v_mul_lo_u32 v22, s7, v17
	v_mad_co_u64_u32 v[72:73], null, s6, v17, s[10:11]
	v_add_co_u32 v12, vcc_lo, v104, 13
	v_mad_co_u64_u32 v[44:45], null, s6, v20, s[8:9]
	v_mul_lo_u32 v21, s6, v21
	v_mul_lo_u32 v24, s7, v20
	v_mad_co_u64_u32 v[74:75], null, s6, v20, s[10:11]
	s_wait_alu 0xfffd
	v_add_co_ci_u32_e64 v13, null, 0, v3, vcc_lo
	v_add3_u32 v7, v7, v11, v10
	v_add_co_u32 v10, vcc_lo, v104, 12
	v_add3_u32 v41, v18, v41, v15
	v_add3_u32 v71, v18, v71, v15
	;; [unrolled: 1-line block ×3, first 2 shown]
	v_mul_lo_u32 v18, s7, v12
	v_mad_co_u64_u32 v[8:9], null, s6, v12, 0
	s_wait_alu 0xfffd
	v_add_co_ci_u32_e64 v11, null, 0, v3, vcc_lo
	v_add_co_u32 v12, vcc_lo, v104, 11
	v_mad_co_u64_u32 v[46:47], null, s6, v23, s[8:9]
	v_mul_lo_u32 v25, s6, v25
	v_mul_lo_u32 v28, s7, v23
	v_mad_co_u64_u32 v[76:77], null, s6, v23, s[10:11]
	v_add3_u32 v43, v22, v43, v19
	v_add3_u32 v73, v22, v73, v19
	v_mul_lo_u32 v19, s6, v13
	s_wait_alu 0xfffd
	v_add_co_ci_u32_e64 v13, null, 0, v3, vcc_lo
	v_add_co_u32 v14, vcc_lo, v104, 10
	s_wait_alu 0xfffd
	v_add_co_ci_u32_e64 v15, null, 0, v3, vcc_lo
	v_add3_u32 v45, v24, v45, v21
	v_add3_u32 v75, v24, v75, v21
	v_mul_lo_u32 v20, s7, v10
	v_mul_lo_u32 v21, s6, v11
	v_mad_co_u64_u32 v[10:11], null, s6, v10, 0
	v_mul_lo_u32 v22, s7, v12
	v_mul_lo_u32 v23, s6, v13
	v_mad_co_u64_u32 v[12:13], null, s6, v12, 0
	v_add3_u32 v47, v28, v47, v25
	v_add3_u32 v77, v28, v77, v25
	v_mul_lo_u32 v24, s7, v14
	v_add_co_u32 v16, vcc_lo, v104, 9
	v_mul_lo_u32 v25, s6, v15
	v_mad_co_u64_u32 v[14:15], null, s6, v14, 0
	s_wait_alu 0xfffd
	v_add_co_ci_u32_e64 v17, null, 0, v3, vcc_lo
	v_add3_u32 v9, v9, v19, v18
	v_add_co_u32 v18, vcc_lo, v104, 8
	v_mad_co_u64_u32 v[48:49], null, s6, v26, s[8:9]
	v_mul_lo_u32 v27, s6, v27
	v_mul_lo_u32 v29, s7, v26
	v_mad_co_u64_u32 v[78:79], null, s6, v26, s[10:11]
	v_add3_u32 v11, v11, v21, v20
	s_wait_alu 0xfffd
	v_add_co_ci_u32_e64 v19, null, 0, v3, vcc_lo
	v_add_co_u32 v20, vcc_lo, v104, 7
	v_add3_u32 v13, v13, v23, v22
	s_wait_alu 0xfffd
	v_add_co_ci_u32_e64 v21, null, 0, v3, vcc_lo
	v_add_co_u32 v22, vcc_lo, v104, 6
	;; [unrolled: 4-line block ×3, first 2 shown]
	v_mad_co_u64_u32 v[52:53], null, s6, v32, s[8:9]
	v_mul_lo_u32 v33, s6, v33
	v_mul_lo_u32 v91, s7, v32
	v_mad_co_u64_u32 v[82:83], null, s6, v32, s[10:11]
	s_wait_alu 0xfffd
	v_add_co_ci_u32_e64 v25, null, 0, v3, vcc_lo
	v_add_co_u32 v26, vcc_lo, v104, 4
	v_mad_co_u64_u32 v[56:57], null, s6, v86, s[8:9]
	v_mul_lo_u32 v94, s6, v58
	v_mul_lo_u32 v95, s7, v86
	v_mad_co_u64_u32 v[86:87], null, s6, v86, s[10:11]
	v_add3_u32 v49, v29, v49, v27
	v_add3_u32 v79, v29, v79, v27
	s_wait_alu 0xfffd
	v_add_co_ci_u32_e64 v27, null, 0, v3, vcc_lo
	v_add_co_u32 v28, vcc_lo, v104, 3
	v_mad_co_u64_u32 v[50:51], null, s6, v30, s[8:9]
	v_mul_lo_u32 v31, s6, v31
	v_mul_lo_u32 v90, s7, v30
	v_mad_co_u64_u32 v[80:81], null, s6, v30, s[10:11]
	s_wait_alu 0xfffd
	v_add_co_ci_u32_e64 v29, null, 0, v3, vcc_lo
	v_add_co_u32 v30, vcc_lo, v104, 2
	s_wait_alu 0xfffd
	v_add_co_ci_u32_e64 v3, null, 0, v3, vcc_lo
	v_add3_u32 v53, v91, v53, v33
	v_add3_u32 v83, v91, v83, v33
	v_mul_lo_u32 v32, s7, v16
	v_mul_lo_u32 v33, s6, v17
	v_mad_co_u64_u32 v[16:17], null, s6, v16, 0
	v_add3_u32 v57, v95, v57, v94
	v_add3_u32 v87, v95, v87, v94
	v_mul_lo_u32 v94, s7, v18
	v_mul_lo_u32 v95, s6, v19
	v_mad_co_u64_u32 v[18:19], null, s6, v18, 0
	;; [unrolled: 5-line block ×3, first 2 shown]
	v_add3_u32 v17, v17, v33, v32
	v_lshlrev_b64_e32 v[32:33], 3, v[1:2]
	v_add3_u32 v19, v19, v95, v94
	v_add_co_u32 v94, vcc_lo, v1, s6
	s_wait_alu 0xfffd
	v_add_co_ci_u32_e64 v95, null, s7, v2, vcc_lo
	v_add3_u32 v31, v31, v3, v106
	v_lshlrev_b64_e32 v[2:3], 3, v[4:5]
	v_add_co_u32 v134, vcc_lo, s8, v32
	s_wait_alu 0xfffd
	v_add_co_ci_u32_e64 v135, null, s9, v33, vcc_lo
	v_add_co_u32 v136, vcc_lo, s10, v32
	s_wait_alu 0xfffd
	v_add_co_ci_u32_e64 v137, null, s11, v33, vcc_lo
	v_add_co_u32 v138, vcc_lo, s8, v2
	v_lshlrev_b64_e32 v[4:5], 3, v[6:7]
	s_wait_alu 0xfffd
	v_add_co_ci_u32_e64 v139, null, s9, v3, vcc_lo
	v_add_co_u32 v140, vcc_lo, s10, v2
	s_wait_alu 0xfffd
	v_add_co_ci_u32_e64 v141, null, s11, v3, vcc_lo
	v_lshlrev_b64_e32 v[2:3], 3, v[8:9]
	v_add_co_u32 v142, vcc_lo, s8, v4
	s_wait_alu 0xfffd
	v_add_co_ci_u32_e64 v143, null, s9, v5, vcc_lo
	v_add_co_u32 v144, vcc_lo, s10, v4
	s_wait_alu 0xfffd
	v_add_co_ci_u32_e64 v145, null, s11, v5, vcc_lo
	v_add_co_u32 v146, vcc_lo, s8, v2
	v_lshlrev_b64_e32 v[4:5], 3, v[10:11]
	s_wait_alu 0xfffd
	v_add_co_ci_u32_e64 v147, null, s9, v3, vcc_lo
	v_add_co_u32 v148, vcc_lo, s10, v2
	v_mad_co_u64_u32 v[58:59], null, s6, v88, s[8:9]
	v_mul_lo_u32 v96, s6, v60
	v_mul_lo_u32 v98, s7, v88
	v_mad_co_u64_u32 v[88:89], null, s6, v88, s[10:11]
	s_wait_alu 0xfffd
	v_add_co_ci_u32_e64 v149, null, s11, v3, vcc_lo
	v_lshlrev_b64_e32 v[2:3], 3, v[12:13]
	v_add_co_u32 v150, vcc_lo, s8, v4
	s_wait_alu 0xfffd
	v_add_co_ci_u32_e64 v151, null, s9, v5, vcc_lo
	v_add_co_u32 v152, vcc_lo, s10, v4
	v_mad_co_u64_u32 v[60:61], null, s6, v97, s[8:9]
	v_mul_lo_u32 v100, s7, v97
	v_mad_co_u64_u32 v[90:91], null, s6, v97, s[10:11]
	s_wait_alu 0xfffd
	v_add_co_ci_u32_e64 v153, null, s11, v5, vcc_lo
	v_add_co_u32 v154, vcc_lo, s8, v2
	v_lshlrev_b64_e32 v[4:5], 3, v[14:15]
	v_add3_u32 v59, v98, v59, v96
	v_add3_u32 v89, v98, v89, v96
	v_mul_lo_u32 v96, s7, v20
	v_mul_lo_u32 v97, s6, v21
	v_mad_co_u64_u32 v[20:21], null, s6, v20, 0
	s_wait_alu 0xfffd
	v_add_co_ci_u32_e64 v155, null, s9, v3, vcc_lo
	v_add_co_u32 v156, vcc_lo, s10, v2
	s_wait_alu 0xfffd
	v_add_co_ci_u32_e64 v157, null, s11, v3, vcc_lo
	v_lshlrev_b64_e32 v[2:3], 3, v[16:17]
	v_add_co_u32 v158, vcc_lo, s8, v4
	v_add3_u32 v61, v100, v61, v99
	v_add3_u32 v91, v100, v91, v99
	v_mul_lo_u32 v98, s7, v22
	v_mul_lo_u32 v99, s6, v23
	v_mad_co_u64_u32 v[22:23], null, s6, v22, 0
	s_wait_alu 0xfffd
	v_add_co_ci_u32_e64 v159, null, s9, v5, vcc_lo
	v_add_co_u32 v160, vcc_lo, s10, v4
	v_add3_u32 v21, v21, v97, v96
	s_wait_alu 0xfffd
	v_add_co_ci_u32_e64 v161, null, s11, v5, vcc_lo
	v_add_co_u32 v162, vcc_lo, s8, v2
	v_lshlrev_b64_e32 v[4:5], 3, v[18:19]
	v_add3_u32 v63, v102, v63, v101
	v_add3_u32 v93, v102, v93, v101
	v_mul_lo_u32 v100, s7, v24
	v_mul_lo_u32 v101, s6, v25
	v_mad_co_u64_u32 v[24:25], null, s6, v24, 0
	s_wait_alu 0xfffd
	v_add_co_ci_u32_e64 v163, null, s9, v3, vcc_lo
	v_add_co_u32 v164, vcc_lo, s10, v2
	s_wait_alu 0xfffd
	v_add_co_ci_u32_e64 v165, null, s11, v3, vcc_lo
	v_lshlrev_b64_e32 v[2:3], 3, v[20:21]
	v_add3_u32 v23, v23, v99, v98
	v_add_co_u32 v166, vcc_lo, s8, v4
	v_mul_lo_u32 v102, s7, v26
	v_mul_lo_u32 v103, s6, v27
	v_mad_co_u64_u32 v[26:27], null, s6, v26, 0
	s_wait_alu 0xfffd
	v_add_co_ci_u32_e64 v167, null, s9, v5, vcc_lo
	v_add_co_u32 v168, vcc_lo, s10, v4
	v_add3_u32 v25, v25, v101, v100
	s_wait_alu 0xfffd
	v_add_co_ci_u32_e64 v169, null, s11, v5, vcc_lo
	v_add_co_u32 v170, vcc_lo, s8, v2
	v_lshlrev_b64_e32 v[4:5], 3, v[22:23]
	v_mul_lo_u32 v104, s6, v29
	v_mul_lo_u32 v105, s7, v28
	v_mad_co_u64_u32 v[28:29], null, s6, v28, 0
	s_wait_alu 0xfffd
	v_add_co_ci_u32_e64 v171, null, s9, v3, vcc_lo
	v_add_co_u32 v172, vcc_lo, s10, v2
	s_wait_alu 0xfffd
	v_add_co_ci_u32_e64 v173, null, s11, v3, vcc_lo
	v_lshlrev_b64_e32 v[2:3], 3, v[24:25]
	v_add3_u32 v27, v27, v103, v102
	v_add_co_u32 v174, vcc_lo, s8, v4
	s_wait_alu 0xfffd
	v_add_co_ci_u32_e64 v175, null, s9, v5, vcc_lo
	v_add_co_u32 v176, vcc_lo, s10, v4
	v_add3_u32 v29, v29, v104, v105
	s_wait_alu 0xfffd
	v_add_co_ci_u32_e64 v177, null, s11, v5, vcc_lo
	v_add_co_u32 v178, vcc_lo, s8, v2
	v_lshlrev_b64_e32 v[4:5], 3, v[26:27]
	s_wait_alu 0xfffd
	v_add_co_ci_u32_e64 v179, null, s9, v3, vcc_lo
	v_add_co_u32 v180, vcc_lo, s10, v2
	s_wait_alu 0xfffd
	v_add_co_ci_u32_e64 v181, null, s11, v3, vcc_lo
	v_lshlrev_b64_e32 v[2:3], 3, v[28:29]
	v_add_co_u32 v182, vcc_lo, s8, v4
	s_wait_alu 0xfffd
	v_add_co_ci_u32_e64 v183, null, s9, v5, vcc_lo
	v_add_co_u32 v184, vcc_lo, s10, v4
	s_wait_alu 0xfffd
	v_add_co_ci_u32_e64 v185, null, s11, v5, vcc_lo
	v_add_co_u32 v186, vcc_lo, s8, v2
	v_lshlrev_b64_e32 v[4:5], 3, v[30:31]
	s_wait_alu 0xfffd
	v_add_co_ci_u32_e64 v187, null, s9, v3, vcc_lo
	v_add_co_u32 v188, vcc_lo, s10, v2
	s_wait_alu 0xfffd
	v_add_co_ci_u32_e64 v189, null, s11, v3, vcc_lo
	v_lshlrev_b64_e32 v[2:3], 3, v[94:95]
	v_add_co_u32 v190, vcc_lo, s8, v4
	s_wait_alu 0xfffd
	v_add_co_ci_u32_e64 v191, null, s9, v5, vcc_lo
	v_add_co_u32 v133, vcc_lo, s10, v4
	v_mov_b32_e32 v1, v0
	s_wait_alu 0xfffd
	v_add_co_ci_u32_e64 v0, null, s11, v5, vcc_lo
	v_add_co_u32 v132, vcc_lo, s8, v2
	s_wait_alu 0xfffd
	v_add_co_ci_u32_e64 v98, null, s9, v3, vcc_lo
	v_add_co_u32 v99, vcc_lo, s10, v2
	s_wait_alu 0xfffd
	v_add_co_ci_u32_e64 v100, null, s11, v3, vcc_lo
	v_mov_b32_e32 v2, 0
	v_dual_mov_b32 v3, 0 :: v_dual_and_b32 v4, 0x3ff, v1
	scratch_store_b32 off, v1, off offset:44 ; 4-byte Folded Spill
	v_mov_b32_e32 v1, 0
	s_mov_b32 s3, 0
	s_clause 0x1
	scratch_store_b32 off, v4, off offset:40
	scratch_store_b64 off, v[2:3], off
	v_dual_mov_b32 v5, v1 :: v_dual_add_nc_u32 v4, s28, v4
	s_wait_kmcnt 0x0
	s_lshl_b32 s8, s2, 8
	s_wait_alu 0xfffe
	s_mov_b32 s9, s3
	s_add_nc_u64 s[10:11], s[0:1], 64
	s_wait_alu 0xfffe
	s_mul_u64 s[16:17], s[6:7], s[8:9]
	v_lshlrev_b64_e32 v[96:97], 3, v[4:5]
	s_wait_alu 0xfffe
	s_lshl_b64 s[16:17], s[16:17], 3
.LBB128_84:                             ; =>This Inner Loop Header: Depth=1
	scratch_load_b32 v2, off, off offset:36 ; 4-byte Folded Reload
	v_cmp_ge_i64_e64 s2, s[18:19], s[4:5]
                                        ; implicit-def: $vgpr94_vgpr95
	s_and_b32 vcc_lo, exec_lo, s2
	s_mov_b32 s2, -1
	s_wait_loadcnt 0x0
	v_add_co_u32 v101, s20, v2, s18
	s_wait_alu 0xf1ff
	v_add_co_ci_u32_e64 v102, null, 0, s19, s20
	s_wait_alu 0xfffe
	s_cbranch_vccz .LBB128_122
; %bb.85:                               ;   in Loop: Header=BB128_84 Depth=1
	s_load_b32 s2, s[10:11], 0xc
	s_clause 0x1
	scratch_load_b32 v2, off, off offset:32
	scratch_load_b32 v3, off, off offset:40
	v_mov_b32_e32 v94, 0
	v_mov_b32_e32 v95, 0
	s_wait_kmcnt 0x0
	s_and_b32 s2, s2, 0xffff
	s_wait_loadcnt 0x0
	s_wait_alu 0xfffe
	v_mad_u32_u24 v2, v2, s2, v3
	v_mov_b32_e32 v3, 0
	v_mov_b32_e32 v4, 0
	s_mov_b32 s2, exec_lo
	s_delay_alu instid0(VALU_DEP_3)
	v_and_b32_e32 v2, 31, v2
	scratch_store_b64 off, v[3:4], off offset:8 ; 8-byte Folded Spill
	v_cmpx_gt_u32_e32 16, v2
	s_cbranch_execz .LBB128_89
; %bb.86:                               ;   in Loop: Header=BB128_84 Depth=1
	v_add_co_u32 v2, vcc_lo, v101, v2
	s_wait_alu 0xfffd
	v_add_co_ci_u32_e64 v3, null, 0, v102, vcc_lo
	v_mov_b32_e32 v94, 0
	s_delay_alu instid0(VALU_DEP_3) | instskip(SKIP_1) | instid1(VALU_DEP_3)
	v_add_co_u32 v2, vcc_lo, 0xffffff01, v2
	s_wait_alu 0xfffd
	v_add_co_ci_u32_e64 v3, null, -1, v3, vcc_lo
	v_mov_b32_e32 v95, 0
	s_mov_b32 s20, exec_lo
	s_delay_alu instid0(VALU_DEP_2)
	v_cmpx_gt_i64_e64 s[4:5], v[2:3]
	s_cbranch_execz .LBB128_88
; %bb.87:                               ;   in Loop: Header=BB128_84 Depth=1
	v_lshlrev_b64_e32 v[2:3], 3, v[2:3]
	s_delay_alu instid0(VALU_DEP_1) | instskip(SKIP_1) | instid1(VALU_DEP_2)
	v_add_co_u32 v2, vcc_lo, s12, v2
	s_wait_alu 0xfffd
	v_add_co_ci_u32_e64 v3, null, s13, v3, vcc_lo
	global_load_b64 v[94:95], v[2:3], off
.LBB128_88:                             ;   in Loop: Header=BB128_84 Depth=1
	s_wait_alu 0xfffe
	s_or_b32 exec_lo, exec_lo, s20
.LBB128_89:                             ;   in Loop: Header=BB128_84 Depth=1
	s_wait_alu 0xfffe
	s_or_b32 exec_lo, exec_lo, s2
	v_add_co_u32 v2, vcc_lo, 0xffffff01, v101
	s_wait_alu 0xfffd
	v_add_co_ci_u32_e64 v3, null, -1, v102, vcc_lo
	v_mov_b32_e32 v32, v1
	v_dual_mov_b32 v4, v1 :: v_dual_mov_b32 v5, v1
	s_delay_alu instid0(VALU_DEP_3)
	v_cmp_gt_i64_e32 vcc_lo, s[4:5], v[2:3]
	v_dual_mov_b32 v2, v1 :: v_dual_mov_b32 v3, v1
	v_dual_mov_b32 v6, v1 :: v_dual_mov_b32 v7, v1
	;; [unrolled: 1-line block ×14, first 2 shown]
	v_mov_b32_e32 v33, v32
	s_delay_alu instid0(VALU_DEP_2) | instskip(NEXT) | instid1(VALU_DEP_3)
	v_mov_b32_e32 v32, v31
	v_mov_b32_e32 v31, v30
	;; [unrolled: 1-line block ×31, first 2 shown]
	s_and_saveexec_b32 s2, vcc_lo
	s_cbranch_execz .LBB128_91
; %bb.90:                               ;   in Loop: Header=BB128_84 Depth=1
	v_add_co_u32 v2, vcc_lo, v134, v96
	s_wait_alu 0xfffd
	v_add_co_ci_u32_e64 v3, null, v135, v97, vcc_lo
	v_add_co_u32 v4, vcc_lo, v136, v96
	s_wait_alu 0xfffd
	v_add_co_ci_u32_e64 v5, null, v137, v97, vcc_lo
	global_load_b64 v[2:3], v[2:3], off
	global_load_b64 v[4:5], v[4:5], off
	v_dual_mov_b32 v6, v1 :: v_dual_mov_b32 v7, v1
	v_dual_mov_b32 v8, v1 :: v_dual_mov_b32 v9, v1
	;; [unrolled: 1-line block ×14, first 2 shown]
	s_wait_loadcnt 0x0
	scratch_store_b64 off, v[4:5], off offset:8 ; 8-byte Folded Spill
	v_dual_mov_b32 v4, v1 :: v_dual_mov_b32 v5, v1
.LBB128_91:                             ;   in Loop: Header=BB128_84 Depth=1
	s_wait_alu 0xfffe
	s_or_b32 exec_lo, exec_lo, s2
	v_add_co_u32 v103, vcc_lo, 0xffffff02, v101
	s_wait_alu 0xfffd
	v_add_co_ci_u32_e64 v104, null, -1, v102, vcc_lo
	v_mov_b32_e32 v105, 0
	v_mov_b32_e32 v106, 0
	s_delay_alu instid0(VALU_DEP_3)
	v_cmp_gt_i64_e32 vcc_lo, s[4:5], v[103:104]
	v_mov_b32_e32 v103, 0
	v_mov_b32_e32 v104, 0
	s_clause 0x1
	scratch_store_b64 off, v[105:106], off offset:16
	scratch_store_b64 off, v[103:104], off offset:24
	s_and_saveexec_b32 s2, vcc_lo
	s_cbranch_execz .LBB128_93
; %bb.92:                               ;   in Loop: Header=BB128_84 Depth=1
	v_add_co_u32 v4, vcc_lo, v132, v96
	s_wait_alu 0xfffd
	v_add_co_ci_u32_e64 v5, null, v98, v97, vcc_lo
	v_add_co_u32 v103, vcc_lo, v99, v96
	s_wait_alu 0xfffd
	v_add_co_ci_u32_e64 v104, null, v100, v97, vcc_lo
	global_load_b64 v[4:5], v[4:5], off
	global_load_b64 v[103:104], v[103:104], off
	s_wait_loadcnt 0x0
	scratch_store_b64 off, v[103:104], off offset:24 ; 8-byte Folded Spill
.LBB128_93:                             ;   in Loop: Header=BB128_84 Depth=1
	s_wait_alu 0xfffe
	s_or_b32 exec_lo, exec_lo, s2
	v_add_co_u32 v106, vcc_lo, 0xffffff03, v101
	s_wait_alu 0xfffd
	v_add_co_ci_u32_e64 v107, null, -1, v102, vcc_lo
	s_mov_b32 s2, exec_lo
	v_cmpx_gt_i64_e64 s[4:5], v[106:107]
	s_cbranch_execz .LBB128_95
; %bb.94:                               ;   in Loop: Header=BB128_84 Depth=1
	v_add_co_u32 v6, vcc_lo, v190, v96
	s_wait_alu 0xfffd
	v_add_co_ci_u32_e64 v7, null, v191, v97, vcc_lo
	v_add_co_u32 v106, vcc_lo, v133, v96
	s_wait_alu 0xfffd
	v_add_co_ci_u32_e64 v107, null, v0, v97, vcc_lo
	global_load_b64 v[6:7], v[6:7], off
	global_load_b64 v[103:104], v[106:107], off
	s_wait_loadcnt 0x0
	scratch_store_b64 off, v[103:104], off offset:16 ; 8-byte Folded Spill
.LBB128_95:                             ;   in Loop: Header=BB128_84 Depth=1
	s_wait_alu 0xfffe
	s_or_b32 exec_lo, exec_lo, s2
	v_add_co_u32 v108, vcc_lo, 0xffffff04, v101
	s_wait_alu 0xfffd
	v_add_co_ci_u32_e64 v109, null, -1, v102, vcc_lo
	v_mov_b32_e32 v106, 0
	v_mov_b32_e32 v107, 0
	s_delay_alu instid0(VALU_DEP_3)
	v_cmp_gt_i64_e32 vcc_lo, s[4:5], v[108:109]
	v_mov_b32_e32 v108, 0
	v_mov_b32_e32 v109, 0
	s_and_saveexec_b32 s2, vcc_lo
	s_cbranch_execz .LBB128_97
; %bb.96:                               ;   in Loop: Header=BB128_84 Depth=1
	v_add_co_u32 v8, vcc_lo, v186, v96
	s_wait_alu 0xfffd
	v_add_co_ci_u32_e64 v9, null, v187, v97, vcc_lo
	v_add_co_u32 v108, vcc_lo, v188, v96
	s_wait_alu 0xfffd
	v_add_co_ci_u32_e64 v109, null, v189, v97, vcc_lo
	global_load_b64 v[8:9], v[8:9], off
	global_load_b64 v[108:109], v[108:109], off
.LBB128_97:                             ;   in Loop: Header=BB128_84 Depth=1
	s_wait_alu 0xfffe
	s_or_b32 exec_lo, exec_lo, s2
	v_add_co_u32 v110, vcc_lo, 0xffffff05, v101
	s_wait_alu 0xfffd
	v_add_co_ci_u32_e64 v111, null, -1, v102, vcc_lo
	s_mov_b32 s2, exec_lo
	v_cmpx_gt_i64_e64 s[4:5], v[110:111]
	s_cbranch_execz .LBB128_99
; %bb.98:                               ;   in Loop: Header=BB128_84 Depth=1
	v_add_co_u32 v10, vcc_lo, v182, v96
	s_wait_alu 0xfffd
	v_add_co_ci_u32_e64 v11, null, v183, v97, vcc_lo
	v_add_co_u32 v106, vcc_lo, v184, v96
	s_wait_alu 0xfffd
	v_add_co_ci_u32_e64 v107, null, v185, v97, vcc_lo
	global_load_b64 v[10:11], v[10:11], off
	global_load_b64 v[106:107], v[106:107], off
.LBB128_99:                             ;   in Loop: Header=BB128_84 Depth=1
	s_wait_alu 0xfffe
	s_or_b32 exec_lo, exec_lo, s2
	v_add_co_u32 v112, vcc_lo, 0xffffff06, v101
	s_wait_alu 0xfffd
	v_add_co_ci_u32_e64 v113, null, -1, v102, vcc_lo
	v_mov_b32_e32 v110, 0
	v_mov_b32_e32 v111, 0
	s_delay_alu instid0(VALU_DEP_3)
	v_cmp_gt_i64_e32 vcc_lo, s[4:5], v[112:113]
	v_mov_b32_e32 v112, 0
	v_mov_b32_e32 v113, 0
	s_and_saveexec_b32 s2, vcc_lo
	s_cbranch_execz .LBB128_101
; %bb.100:                              ;   in Loop: Header=BB128_84 Depth=1
	v_add_co_u32 v12, vcc_lo, v178, v96
	s_wait_alu 0xfffd
	v_add_co_ci_u32_e64 v13, null, v179, v97, vcc_lo
	v_add_co_u32 v112, vcc_lo, v180, v96
	s_wait_alu 0xfffd
	v_add_co_ci_u32_e64 v113, null, v181, v97, vcc_lo
	global_load_b64 v[12:13], v[12:13], off
	global_load_b64 v[112:113], v[112:113], off
.LBB128_101:                            ;   in Loop: Header=BB128_84 Depth=1
	s_wait_alu 0xfffe
	s_or_b32 exec_lo, exec_lo, s2
	v_add_co_u32 v114, vcc_lo, 0xffffff07, v101
	s_wait_alu 0xfffd
	v_add_co_ci_u32_e64 v115, null, -1, v102, vcc_lo
	s_mov_b32 s2, exec_lo
	v_cmpx_gt_i64_e64 s[4:5], v[114:115]
	s_cbranch_execz .LBB128_103
; %bb.102:                              ;   in Loop: Header=BB128_84 Depth=1
	v_add_co_u32 v14, vcc_lo, v174, v96
	s_wait_alu 0xfffd
	v_add_co_ci_u32_e64 v15, null, v175, v97, vcc_lo
	v_add_co_u32 v110, vcc_lo, v176, v96
	s_wait_alu 0xfffd
	v_add_co_ci_u32_e64 v111, null, v177, v97, vcc_lo
	global_load_b64 v[14:15], v[14:15], off
	global_load_b64 v[110:111], v[110:111], off
.LBB128_103:                            ;   in Loop: Header=BB128_84 Depth=1
	s_wait_alu 0xfffe
	s_or_b32 exec_lo, exec_lo, s2
	v_add_co_u32 v116, vcc_lo, 0xffffff08, v101
	s_wait_alu 0xfffd
	v_add_co_ci_u32_e64 v117, null, -1, v102, vcc_lo
	v_mov_b32_e32 v114, 0
	v_mov_b32_e32 v115, 0
	s_delay_alu instid0(VALU_DEP_3)
	v_cmp_gt_i64_e32 vcc_lo, s[4:5], v[116:117]
	v_mov_b32_e32 v116, 0
	v_mov_b32_e32 v117, 0
	s_and_saveexec_b32 s2, vcc_lo
	s_cbranch_execz .LBB128_105
; %bb.104:                              ;   in Loop: Header=BB128_84 Depth=1
	v_add_co_u32 v16, vcc_lo, v170, v96
	s_wait_alu 0xfffd
	v_add_co_ci_u32_e64 v17, null, v171, v97, vcc_lo
	v_add_co_u32 v116, vcc_lo, v172, v96
	s_wait_alu 0xfffd
	v_add_co_ci_u32_e64 v117, null, v173, v97, vcc_lo
	global_load_b64 v[16:17], v[16:17], off
	global_load_b64 v[116:117], v[116:117], off
.LBB128_105:                            ;   in Loop: Header=BB128_84 Depth=1
	s_wait_alu 0xfffe
	s_or_b32 exec_lo, exec_lo, s2
	v_add_co_u32 v118, vcc_lo, 0xffffff09, v101
	s_wait_alu 0xfffd
	v_add_co_ci_u32_e64 v119, null, -1, v102, vcc_lo
	s_mov_b32 s2, exec_lo
	v_cmpx_gt_i64_e64 s[4:5], v[118:119]
	s_cbranch_execz .LBB128_107
; %bb.106:                              ;   in Loop: Header=BB128_84 Depth=1
	v_add_co_u32 v18, vcc_lo, v166, v96
	s_wait_alu 0xfffd
	v_add_co_ci_u32_e64 v19, null, v167, v97, vcc_lo
	v_add_co_u32 v114, vcc_lo, v168, v96
	s_wait_alu 0xfffd
	v_add_co_ci_u32_e64 v115, null, v169, v97, vcc_lo
	global_load_b64 v[18:19], v[18:19], off
	global_load_b64 v[114:115], v[114:115], off
.LBB128_107:                            ;   in Loop: Header=BB128_84 Depth=1
	;; [unrolled: 41-line block ×5, first 2 shown]
	s_wait_alu 0xfffe
	s_or_b32 exec_lo, exec_lo, s2
	v_add_co_u32 v130, vcc_lo, 0xffffff10, v101
	s_wait_alu 0xfffd
	v_add_co_ci_u32_e64 v131, null, -1, v102, vcc_lo
	s_delay_alu instid0(VALU_DEP_1)
	v_cmp_gt_i64_e32 vcc_lo, s[4:5], v[130:131]
	v_mov_b32_e32 v130, 0
	v_mov_b32_e32 v131, 0
	s_and_saveexec_b32 s2, vcc_lo
	s_cbranch_execz .LBB128_121
; %bb.120:                              ;   in Loop: Header=BB128_84 Depth=1
	v_add_co_u32 v32, vcc_lo, v138, v96
	s_wait_alu 0xfffd
	v_add_co_ci_u32_e64 v33, null, v139, v97, vcc_lo
	v_add_co_u32 v130, vcc_lo, v140, v96
	s_wait_alu 0xfffd
	v_add_co_ci_u32_e64 v131, null, v141, v97, vcc_lo
	global_load_b64 v[32:33], v[32:33], off
	global_load_b64 v[130:131], v[130:131], off
.LBB128_121:                            ;   in Loop: Header=BB128_84 Depth=1
	s_wait_alu 0xfffe
	s_or_b32 exec_lo, exec_lo, s2
	scratch_load_b64 v[103:104], off, off offset:8 th:TH_LOAD_LU ; 8-byte Folded Reload
	s_wait_loadcnt 0x1
	v_mul_f64_e32 v[10:11], v[106:107], v[10:11]
	scratch_load_b64 v[105:106], off, off   ; 8-byte Folded Reload
	v_mul_f64_e32 v[8:9], v[108:109], v[8:9]
	v_mul_f64_e32 v[12:13], v[112:113], v[12:13]
	;; [unrolled: 1-line block ×12, first 2 shown]
	s_mov_b32 s2, 0
	s_wait_loadcnt 0x1
	v_mul_f64_e32 v[2:3], v[103:104], v[2:3]
	scratch_load_b64 v[103:104], off, off offset:24 th:TH_LOAD_LU ; 8-byte Folded Reload
	s_wait_loadcnt 0x0
	v_mul_f64_e32 v[4:5], v[103:104], v[4:5]
	scratch_load_b64 v[103:104], off, off offset:16 th:TH_LOAD_LU ; 8-byte Folded Reload
	s_wait_loadcnt 0x0
	v_mul_f64_e32 v[6:7], v[103:104], v[6:7]
	ds_bpermute_b32 v103, v1, v94
	ds_bpermute_b32 v104, v1, v95
	s_wait_dscnt 0x0
	v_fma_f64 v[2:3], v[2:3], v[103:104], v[105:106]
	ds_bpermute_b32 v103, v1, v94 offset:4
	ds_bpermute_b32 v104, v1, v95 offset:4
	s_wait_dscnt 0x0
	v_fma_f64 v[2:3], v[4:5], v[103:104], v[2:3]
	ds_bpermute_b32 v4, v1, v94 offset:8
	ds_bpermute_b32 v5, v1, v95 offset:8
	;; [unrolled: 4-line block ×15, first 2 shown]
	s_wait_dscnt 0x0
	v_fma_f64 v[94:95], v[32:33], v[4:5], v[2:3]
.LBB128_122:                            ;   in Loop: Header=BB128_84 Depth=1
	s_wait_alu 0xfffe
	s_and_b32 vcc_lo, exec_lo, s2
	s_wait_alu 0xfffe
	s_cbranch_vccz .LBB128_128
; %bb.123:                              ;   in Loop: Header=BB128_84 Depth=1
	s_load_b32 s2, s[10:11], 0x0
	s_wait_kmcnt 0x0
	s_cmp_lt_u32 ttmp9, s2
	s_cselect_b32 s2, 12, 18
	s_wait_alu 0xfffe
	s_add_nc_u64 s[20:21], s[10:11], s[2:3]
	s_load_u16 s2, s[20:21], 0x0
	s_clause 0x1
	scratch_load_b32 v2, off, off offset:32
	scratch_load_b32 v3, off, off offset:40
	s_wait_loadcnt 0x0
	s_wait_kmcnt 0x0
	v_mad_u32_u24 v2, v2, s2, v3
	s_mov_b32 s2, exec_lo
	s_delay_alu instid0(VALU_DEP_1) | instskip(SKIP_2) | instid1(VALU_DEP_3)
	v_and_b32_e32 v4, 31, v2
	v_mov_b32_e32 v2, 0
	v_mov_b32_e32 v3, 0
	v_cmpx_gt_u32_e32 16, v4
	s_cbranch_execz .LBB128_127
; %bb.124:                              ;   in Loop: Header=BB128_84 Depth=1
	v_add_co_u32 v2, vcc_lo, v101, v4
	s_wait_alu 0xfffd
	v_add_co_ci_u32_e64 v3, null, 0, v102, vcc_lo
	s_mov_b32 s20, exec_lo
	v_add_co_u32 v4, vcc_lo, 0xffffff01, v2
	s_wait_alu 0xfffd
	v_add_co_ci_u32_e64 v5, null, -1, v3, vcc_lo
	v_mov_b32_e32 v2, 0
	v_mov_b32_e32 v3, 0
	s_delay_alu instid0(VALU_DEP_3)
	v_cmpx_gt_i64_e64 s[4:5], v[4:5]
	s_cbranch_execz .LBB128_126
; %bb.125:                              ;   in Loop: Header=BB128_84 Depth=1
	v_lshlrev_b64_e32 v[2:3], 3, v[4:5]
	s_delay_alu instid0(VALU_DEP_1) | instskip(SKIP_1) | instid1(VALU_DEP_2)
	v_add_co_u32 v2, vcc_lo, s12, v2
	s_wait_alu 0xfffd
	v_add_co_ci_u32_e64 v3, null, s13, v3, vcc_lo
	global_load_b64 v[2:3], v[2:3], off
.LBB128_126:                            ;   in Loop: Header=BB128_84 Depth=1
	s_wait_alu 0xfffe
	s_or_b32 exec_lo, exec_lo, s20
.LBB128_127:                            ;   in Loop: Header=BB128_84 Depth=1
	s_wait_alu 0xfffe
	s_or_b32 exec_lo, exec_lo, s2
	v_add_co_u32 v4, vcc_lo, v134, v96
	s_wait_alu 0xfffd
	v_add_co_ci_u32_e64 v5, null, v135, v97, vcc_lo
	v_add_co_u32 v6, vcc_lo, v136, v96
	s_wait_alu 0xfffd
	v_add_co_ci_u32_e64 v7, null, v137, v97, vcc_lo
	global_load_b64 v[4:5], v[4:5], off
	global_load_b64 v[6:7], v[6:7], off
	v_add_co_u32 v8, vcc_lo, v34, v96
	s_wait_alu 0xfffd
	v_add_co_ci_u32_e64 v9, null, v35, v97, vcc_lo
	v_add_co_u32 v10, vcc_lo, v64, v96
	s_wait_alu 0xfffd
	v_add_co_ci_u32_e64 v11, null, v65, v97, vcc_lo
	global_load_b64 v[8:9], v[8:9], off
	global_load_b64 v[10:11], v[10:11], off
	v_add_co_u32 v12, vcc_lo, v36, v96
	s_wait_alu 0xfffd
	v_add_co_ci_u32_e64 v13, null, v37, v97, vcc_lo
	v_add_co_u32 v14, vcc_lo, v66, v96
	s_wait_alu 0xfffd
	v_add_co_ci_u32_e64 v15, null, v67, v97, vcc_lo
	;; [unrolled: 3-line block ×14, first 2 shown]
	global_load_b64 v[12:13], v[12:13], off
	global_load_b64 v[14:15], v[14:15], off
	;; [unrolled: 1-line block ×14, first 2 shown]
	s_wait_loadcnt 0x12
	ds_bpermute_b32 v107, v1, v2
	ds_bpermute_b32 v108, v1, v3
	ds_bpermute_b32 v109, v1, v2 offset:4
	ds_bpermute_b32 v110, v1, v3 offset:4
	s_wait_loadcnt 0x10
	v_mul_f64_e32 v[4:5], v[4:5], v[6:7]
	v_add_co_u32 v6, vcc_lo, v50, v96
	s_wait_alu 0xfffd
	v_add_co_ci_u32_e64 v7, null, v51, v97, vcc_lo
	v_add_co_u32 v105, vcc_lo, v80, v96
	s_wait_alu 0xfffd
	v_add_co_ci_u32_e64 v106, null, v81, v97, vcc_lo
	global_load_b64 v[6:7], v[6:7], off
	global_load_b64 v[105:106], v[105:106], off
	s_wait_loadcnt 0x10
	v_mul_f64_e32 v[8:9], v[8:9], v[10:11]
	scratch_load_b64 v[10:11], off, off th:TH_LOAD_LU ; 8-byte Folded Reload
	s_wait_loadcnt 0xf
	v_mul_f64_e32 v[12:13], v[12:13], v[14:15]
	s_wait_loadcnt 0xd
	v_mul_f64_e32 v[16:17], v[16:17], v[18:19]
	;; [unrolled: 2-line block ×8, first 2 shown]
	s_wait_loadcnt_dscnt 0x2
	v_fma_f64 v[4:5], v[4:5], v[107:108], v[10:11]
	v_add_co_u32 v10, vcc_lo, v52, v96
	s_wait_alu 0xfffd
	v_add_co_ci_u32_e64 v11, null, v53, v97, vcc_lo
	v_add_co_u32 v107, vcc_lo, v82, v96
	s_wait_alu 0xfffd
	v_add_co_ci_u32_e64 v108, null, v83, v97, vcc_lo
	global_load_b64 v[10:11], v[10:11], off
	global_load_b64 v[107:108], v[107:108], off
	s_wait_dscnt 0x0
	v_fma_f64 v[4:5], v[8:9], v[109:110], v[4:5]
	v_add_co_u32 v8, vcc_lo, v54, v96
	s_wait_alu 0xfffd
	v_add_co_ci_u32_e64 v9, null, v55, v97, vcc_lo
	v_add_co_u32 v14, vcc_lo, v84, v96
	s_wait_alu 0xfffd
	v_add_co_ci_u32_e64 v15, null, v85, v97, vcc_lo
	ds_bpermute_b32 v109, v1, v2 offset:8
	ds_bpermute_b32 v110, v1, v3 offset:8
	global_load_b64 v[8:9], v[8:9], off
	global_load_b64 v[14:15], v[14:15], off
	s_wait_dscnt 0x0
	v_fma_f64 v[4:5], v[12:13], v[109:110], v[4:5]
	v_add_co_u32 v12, vcc_lo, v56, v96
	s_wait_alu 0xfffd
	v_add_co_ci_u32_e64 v13, null, v57, v97, vcc_lo
	v_add_co_u32 v18, vcc_lo, v86, v96
	s_wait_alu 0xfffd
	v_add_co_ci_u32_e64 v19, null, v87, v97, vcc_lo
	ds_bpermute_b32 v109, v1, v2 offset:12
	ds_bpermute_b32 v110, v1, v3 offset:12
	;; [unrolled: 12-line block ×5, first 2 shown]
	global_load_b64 v[24:25], v[24:25], off
	global_load_b64 v[30:31], v[30:31], off
	s_wait_dscnt 0x0
	v_fma_f64 v[4:5], v[28:29], v[109:110], v[4:5]
	ds_bpermute_b32 v28, v1, v2 offset:28
	ds_bpermute_b32 v29, v1, v3 offset:28
	s_wait_dscnt 0x0
	v_fma_f64 v[4:5], v[32:33], v[28:29], v[4:5]
	ds_bpermute_b32 v28, v1, v2 offset:32
	ds_bpermute_b32 v29, v1, v3 offset:32
	;; [unrolled: 4-line block ×3, first 2 shown]
	s_wait_loadcnt 0xa
	v_mul_f64_e32 v[10:11], v[10:11], v[107:108]
	s_wait_dscnt 0x0
	v_fma_f64 v[4:5], v[6:7], v[28:29], v[4:5]
	ds_bpermute_b32 v6, v1, v2 offset:40
	ds_bpermute_b32 v7, v1, v3 offset:40
	s_wait_loadcnt 0x8
	v_mul_f64_e32 v[8:9], v[8:9], v[14:15]
	s_wait_dscnt 0x0
	v_fma_f64 v[4:5], v[10:11], v[6:7], v[4:5]
	ds_bpermute_b32 v6, v1, v2 offset:44
	ds_bpermute_b32 v7, v1, v3 offset:44
	;; [unrolled: 6-line block ×5, first 2 shown]
	ds_bpermute_b32 v2, v1, v2 offset:60
	ds_bpermute_b32 v3, v1, v3 offset:60
	s_wait_dscnt 0x2
	v_fma_f64 v[4:5], v[10:11], v[6:7], v[4:5]
	s_wait_loadcnt 0x0
	v_mul_f64_e32 v[6:7], v[24:25], v[30:31]
	s_wait_dscnt 0x0
	s_delay_alu instid0(VALU_DEP_1)
	v_fma_f64 v[94:95], v[6:7], v[2:3], v[4:5]
.LBB128_128:                            ;   in Loop: Header=BB128_84 Depth=1
	v_add_co_u32 v134, vcc_lo, v134, s16
	s_wait_alu 0xfffd
	v_add_co_ci_u32_e64 v135, null, s17, v135, vcc_lo
	v_add_co_u32 v136, vcc_lo, v136, s16
	s_wait_alu 0xfffd
	v_add_co_ci_u32_e64 v137, null, s17, v137, vcc_lo
	;; [unrolled: 3-line block ×59, first 2 shown]
	v_add_co_u32 v133, vcc_lo, v133, s16
	s_add_nc_u64 s[14:15], s[14:15], s[8:9]
	s_wait_alu 0xfffd
	v_add_co_ci_u32_e64 v0, null, s17, v0, vcc_lo
	v_add_co_u32 v132, vcc_lo, v132, s16
	s_wait_alu 0xfffe
	v_cmp_ge_i64_e64 s2, s[14:15], s[4:5]
	s_wait_alu 0xfffd
	v_add_co_ci_u32_e64 v98, null, s17, v98, vcc_lo
	v_add_co_u32 v99, vcc_lo, v99, s16
	s_wait_alu 0xfffd
	v_add_co_ci_u32_e64 v100, null, s17, v100, vcc_lo
	s_and_b32 vcc_lo, exec_lo, s2
	s_add_nc_u64 s[18:19], s[18:19], s[8:9]
	s_wait_alu 0xfffe
	s_cbranch_vccnz .LBB128_130
; %bb.129:                              ;   in Loop: Header=BB128_84 Depth=1
	scratch_store_b64 off, v[94:95], off    ; 8-byte Folded Spill
	s_branch .LBB128_84
.LBB128_130:
	scratch_load_b32 v0, off, off offset:44 ; 4-byte Folded Reload
.LBB128_131:
	s_wait_loadcnt 0x0
	v_and_b32_e32 v6, 0x3ff, v0
	v_bfe_u32 v2, v0, 10, 10
	v_mov_b32_e32 v0, 0
	s_mov_b32 s2, exec_lo
	s_delay_alu instid0(VALU_DEP_1) | instskip(NEXT) | instid1(VALU_DEP_3)
	v_mov_b32_e32 v1, v0
	v_mad_u32_u24 v3, 0x41, v2, v6
	s_delay_alu instid0(VALU_DEP_1)
	v_lshl_add_u32 v4, v3, 3, 0
	v_sub_nc_u32_e32 v5, v3, v2
	ds_store_b64 v4, v[94:95]
	ds_store_b64 v4, v[0:1] offset:8320
	s_wait_storecnt_dscnt 0x0
	s_barrier_signal -1
	s_barrier_wait -1
	global_inv scope:SCOPE_SE
	v_cmpx_gt_u32_e32 0x800, v5
	s_cbranch_execz .LBB128_141
; %bb.132:
	s_load_b64 s[2:3], s[0:1], 0x30
	v_and_b32_e32 v0, 31, v6
	v_lshrrev_b32_e32 v4, 5, v5
	s_delay_alu instid0(VALU_DEP_2)
	v_cmp_gt_u32_e32 vcc_lo, 16, v0
	v_mul_u32_u24_e32 v7, 0x41, v0
                                        ; implicit-def: $vgpr0_vgpr1
	s_and_saveexec_b32 s0, vcc_lo
	s_cbranch_execz .LBB128_134
; %bb.133:
	v_lshlrev_b32_e32 v0, 3, v4
	s_delay_alu instid0(VALU_DEP_2) | instskip(NEXT) | instid1(VALU_DEP_1)
	v_lshlrev_b32_e32 v1, 3, v7
	v_add3_u32 v0, 0, v0, v1
	ds_load_b64 v[0:1], v0
.LBB128_134:
	s_or_b32 exec_lo, exec_lo, s0
	v_mbcnt_lo_u32_b32 v11, -1, 0
	s_mov_b32 s4, ttmp9
	s_mov_b32 s5, 0
	s_wait_alu 0xfffe
	s_lshl_b64 s[4:5], s[4:5], 6
	v_xor_b32_e32 v2, 8, v11
	s_wait_kmcnt 0x0
	s_cmp_eq_u64 s[2:3], 0
	s_cselect_b32 s8, -1, 0
	s_delay_alu instid0(VALU_DEP_1) | instskip(NEXT) | instid1(VALU_DEP_1)
	v_cmp_gt_i32_e64 s0, 32, v2
	v_cndmask_b32_e64 v2, v11, v2, s0
	s_delay_alu instid0(VALU_DEP_1)
	v_lshlrev_b32_e32 v8, 2, v2
	s_wait_dscnt 0x0
	ds_bpermute_b32 v2, v8, v0
	ds_bpermute_b32 v3, v8, v1
	s_wait_dscnt 0x0
	v_add_f64_e32 v[0:1], v[0:1], v[2:3]
	v_xor_b32_e32 v2, 4, v11
	s_delay_alu instid0(VALU_DEP_1) | instskip(SKIP_1) | instid1(VALU_DEP_1)
	v_cmp_gt_i32_e64 s0, 32, v2
	s_wait_alu 0xf1ff
	v_cndmask_b32_e64 v2, v11, v2, s0
	s_delay_alu instid0(VALU_DEP_1)
	v_lshlrev_b32_e32 v9, 2, v2
	ds_bpermute_b32 v2, v9, v0
	ds_bpermute_b32 v3, v9, v1
	s_wait_dscnt 0x0
	v_add_f64_e32 v[0:1], v[0:1], v[2:3]
	v_xor_b32_e32 v2, 2, v11
	s_delay_alu instid0(VALU_DEP_1) | instskip(SKIP_1) | instid1(VALU_DEP_1)
	v_cmp_gt_i32_e64 s0, 32, v2
	s_wait_alu 0xf1ff
	v_cndmask_b32_e64 v2, v11, v2, s0
	s_delay_alu instid0(VALU_DEP_1)
	v_lshlrev_b32_e32 v10, 2, v2
	ds_bpermute_b32 v2, v10, v0
	ds_bpermute_b32 v3, v10, v1
	s_wait_dscnt 0x0
	v_add_f64_e32 v[0:1], v[0:1], v[2:3]
	v_xor_b32_e32 v2, 1, v11
	s_delay_alu instid0(VALU_DEP_1) | instskip(SKIP_1) | instid1(VALU_DEP_1)
	v_cmp_gt_i32_e64 s0, 32, v2
	s_wait_alu 0xf1ff
	v_cndmask_b32_e64 v2, v11, v2, s0
	v_cmp_ne_u32_e64 s0, 0, v6
	s_delay_alu instid0(VALU_DEP_2)
	v_lshlrev_b32_e32 v11, 2, v2
	ds_bpermute_b32 v2, v11, v0
	ds_bpermute_b32 v3, v11, v1
	s_wait_dscnt 0x0
	v_add_f64_e32 v[0:1], v[0:1], v[2:3]
	s_wait_alu 0xfffe
	v_or_b32_e32 v2, s4, v4
	v_mov_b32_e32 v3, s5
	s_delay_alu instid0(VALU_DEP_1)
	v_cmp_le_i64_e64 s1, s[6:7], v[2:3]
	s_or_b32 s1, s0, s1
	s_wait_alu 0xfffe
	s_nor_b32 s1, s8, s1
	s_wait_alu 0xfffe
	s_and_saveexec_b32 s9, s1
	s_cbranch_execz .LBB128_136
; %bb.135:
	v_lshlrev_b64_e32 v[2:3], 3, v[2:3]
	s_delay_alu instid0(VALU_DEP_1) | instskip(SKIP_1) | instid1(VALU_DEP_2)
	v_add_co_u32 v2, s1, s2, v2
	s_wait_alu 0xf1ff
	v_add_co_ci_u32_e64 v3, null, s3, v3, s1
	global_store_b64 v[2:3], v[0:1], off
.LBB128_136:
	s_wait_alu 0xfffe
	s_or_b32 exec_lo, exec_lo, s9
	v_cmp_gt_u32_e64 s1, 0x400, v5
	s_and_b32 exec_lo, exec_lo, s1
	s_cbranch_execz .LBB128_141
; %bb.137:
	s_and_saveexec_b32 s1, vcc_lo
	s_cbranch_execz .LBB128_139
; %bb.138:
	v_lshlrev_b32_e32 v0, 3, v4
	v_lshlrev_b32_e32 v1, 3, v7
	s_delay_alu instid0(VALU_DEP_1)
	v_add3_u32 v0, 0, v0, v1
	ds_load_b64 v[0:1], v0 offset:256
.LBB128_139:
	s_wait_alu 0xfffe
	s_or_b32 exec_lo, exec_lo, s1
	s_wait_dscnt 0x0
	ds_bpermute_b32 v2, v8, v0
	ds_bpermute_b32 v3, v8, v1
	v_dual_mov_b32 v6, s5 :: v_dual_add_nc_u32 v5, 32, v4
	s_delay_alu instid0(VALU_DEP_1) | instskip(NEXT) | instid1(VALU_DEP_1)
	v_or_b32_e32 v5, s4, v5
	v_cmp_le_i64_e32 vcc_lo, s[6:7], v[5:6]
	s_or_b32 s0, s0, vcc_lo
	s_wait_alu 0xfffe
	s_nor_b32 s0, s8, s0
	s_wait_dscnt 0x0
	v_add_f64_e32 v[0:1], v[0:1], v[2:3]
	ds_bpermute_b32 v2, v9, v0
	ds_bpermute_b32 v3, v9, v1
	s_wait_dscnt 0x0
	v_add_f64_e32 v[0:1], v[0:1], v[2:3]
	ds_bpermute_b32 v2, v10, v0
	ds_bpermute_b32 v3, v10, v1
	;; [unrolled: 4-line block ×3, first 2 shown]
	s_wait_alu 0xfffe
	s_and_saveexec_b32 s1, s0
	s_wait_alu 0xfffe
	s_xor_b32 s1, exec_lo, s1
	s_cbranch_execz .LBB128_141
; %bb.140:
	s_wait_dscnt 0x0
	v_add_f64_e32 v[0:1], v[0:1], v[2:3]
	v_add_co_u32 v2, s0, s4, v4
	s_wait_alu 0xf1ff
	v_add_co_ci_u32_e64 v3, null, s5, 0, s0
	s_delay_alu instid0(VALU_DEP_1) | instskip(NEXT) | instid1(VALU_DEP_1)
	v_lshlrev_b64_e32 v[2:3], 3, v[2:3]
	v_add_co_u32 v2, vcc_lo, s2, v2
	s_wait_alu 0xfffd
	s_delay_alu instid0(VALU_DEP_2)
	v_add_co_ci_u32_e64 v3, null, s3, v3, vcc_lo
	global_store_b64 v[2:3], v[0:1], off offset:256
.LBB128_141:
	s_nop 0
	s_sendmsg sendmsg(MSG_DEALLOC_VGPRS)
	s_endpgm
	.section	.rodata,"a",@progbits
	.p2align	6, 0x0
	.amdhsa_kernel _ZN2at6native12_GLOBAL__N_135GammaBetaBackwardCUDAKernelTemplateIddLj64ELj16ELj256ELb0ELb0ELb1EEEvllPKT_S5_PKT0_S8_PS3_S9_
		.amdhsa_group_segment_fixed_size 0
		.amdhsa_private_segment_fixed_size 52
		.amdhsa_kernarg_size 320
		.amdhsa_user_sgpr_count 2
		.amdhsa_user_sgpr_dispatch_ptr 0
		.amdhsa_user_sgpr_queue_ptr 0
		.amdhsa_user_sgpr_kernarg_segment_ptr 1
		.amdhsa_user_sgpr_dispatch_id 0
		.amdhsa_user_sgpr_private_segment_size 0
		.amdhsa_wavefront_size32 1
		.amdhsa_uses_dynamic_stack 0
		.amdhsa_enable_private_segment 1
		.amdhsa_system_sgpr_workgroup_id_x 1
		.amdhsa_system_sgpr_workgroup_id_y 1
		.amdhsa_system_sgpr_workgroup_id_z 0
		.amdhsa_system_sgpr_workgroup_info 0
		.amdhsa_system_vgpr_workitem_id 1
		.amdhsa_next_free_vgpr 192
		.amdhsa_next_free_sgpr 32
		.amdhsa_reserve_vcc 1
		.amdhsa_float_round_mode_32 0
		.amdhsa_float_round_mode_16_64 0
		.amdhsa_float_denorm_mode_32 3
		.amdhsa_float_denorm_mode_16_64 3
		.amdhsa_fp16_overflow 0
		.amdhsa_workgroup_processor_mode 1
		.amdhsa_memory_ordered 1
		.amdhsa_forward_progress 1
		.amdhsa_inst_pref_size 143
		.amdhsa_round_robin_scheduling 0
		.amdhsa_exception_fp_ieee_invalid_op 0
		.amdhsa_exception_fp_denorm_src 0
		.amdhsa_exception_fp_ieee_div_zero 0
		.amdhsa_exception_fp_ieee_overflow 0
		.amdhsa_exception_fp_ieee_underflow 0
		.amdhsa_exception_fp_ieee_inexact 0
		.amdhsa_exception_int_div_zero 0
	.end_amdhsa_kernel
	.section	.text._ZN2at6native12_GLOBAL__N_135GammaBetaBackwardCUDAKernelTemplateIddLj64ELj16ELj256ELb0ELb0ELb1EEEvllPKT_S5_PKT0_S8_PS3_S9_,"axG",@progbits,_ZN2at6native12_GLOBAL__N_135GammaBetaBackwardCUDAKernelTemplateIddLj64ELj16ELj256ELb0ELb0ELb1EEEvllPKT_S5_PKT0_S8_PS3_S9_,comdat
.Lfunc_end128:
	.size	_ZN2at6native12_GLOBAL__N_135GammaBetaBackwardCUDAKernelTemplateIddLj64ELj16ELj256ELb0ELb0ELb1EEEvllPKT_S5_PKT0_S8_PS3_S9_, .Lfunc_end128-_ZN2at6native12_GLOBAL__N_135GammaBetaBackwardCUDAKernelTemplateIddLj64ELj16ELj256ELb0ELb0ELb1EEEvllPKT_S5_PKT0_S8_PS3_S9_
                                        ; -- End function
	.set _ZN2at6native12_GLOBAL__N_135GammaBetaBackwardCUDAKernelTemplateIddLj64ELj16ELj256ELb0ELb0ELb1EEEvllPKT_S5_PKT0_S8_PS3_S9_.num_vgpr, 192
	.set _ZN2at6native12_GLOBAL__N_135GammaBetaBackwardCUDAKernelTemplateIddLj64ELj16ELj256ELb0ELb0ELb1EEEvllPKT_S5_PKT0_S8_PS3_S9_.num_agpr, 0
	.set _ZN2at6native12_GLOBAL__N_135GammaBetaBackwardCUDAKernelTemplateIddLj64ELj16ELj256ELb0ELb0ELb1EEEvllPKT_S5_PKT0_S8_PS3_S9_.numbered_sgpr, 32
	.set _ZN2at6native12_GLOBAL__N_135GammaBetaBackwardCUDAKernelTemplateIddLj64ELj16ELj256ELb0ELb0ELb1EEEvllPKT_S5_PKT0_S8_PS3_S9_.num_named_barrier, 0
	.set _ZN2at6native12_GLOBAL__N_135GammaBetaBackwardCUDAKernelTemplateIddLj64ELj16ELj256ELb0ELb0ELb1EEEvllPKT_S5_PKT0_S8_PS3_S9_.private_seg_size, 52
	.set _ZN2at6native12_GLOBAL__N_135GammaBetaBackwardCUDAKernelTemplateIddLj64ELj16ELj256ELb0ELb0ELb1EEEvllPKT_S5_PKT0_S8_PS3_S9_.uses_vcc, 1
	.set _ZN2at6native12_GLOBAL__N_135GammaBetaBackwardCUDAKernelTemplateIddLj64ELj16ELj256ELb0ELb0ELb1EEEvllPKT_S5_PKT0_S8_PS3_S9_.uses_flat_scratch, 1
	.set _ZN2at6native12_GLOBAL__N_135GammaBetaBackwardCUDAKernelTemplateIddLj64ELj16ELj256ELb0ELb0ELb1EEEvllPKT_S5_PKT0_S8_PS3_S9_.has_dyn_sized_stack, 0
	.set _ZN2at6native12_GLOBAL__N_135GammaBetaBackwardCUDAKernelTemplateIddLj64ELj16ELj256ELb0ELb0ELb1EEEvllPKT_S5_PKT0_S8_PS3_S9_.has_recursion, 0
	.set _ZN2at6native12_GLOBAL__N_135GammaBetaBackwardCUDAKernelTemplateIddLj64ELj16ELj256ELb0ELb0ELb1EEEvllPKT_S5_PKT0_S8_PS3_S9_.has_indirect_call, 0
	.section	.AMDGPU.csdata,"",@progbits
; Kernel info:
; codeLenInByte = 18188
; TotalNumSgprs: 34
; NumVgprs: 192
; ScratchSize: 52
; MemoryBound: 0
; FloatMode: 240
; IeeeMode: 1
; LDSByteSize: 0 bytes/workgroup (compile time only)
; SGPRBlocks: 0
; VGPRBlocks: 23
; NumSGPRsForWavesPerEU: 34
; NumVGPRsForWavesPerEU: 192
; Occupancy: 8
; WaveLimiterHint : 0
; COMPUTE_PGM_RSRC2:SCRATCH_EN: 1
; COMPUTE_PGM_RSRC2:USER_SGPR: 2
; COMPUTE_PGM_RSRC2:TRAP_HANDLER: 0
; COMPUTE_PGM_RSRC2:TGID_X_EN: 1
; COMPUTE_PGM_RSRC2:TGID_Y_EN: 1
; COMPUTE_PGM_RSRC2:TGID_Z_EN: 0
; COMPUTE_PGM_RSRC2:TIDIG_COMP_CNT: 1
	.section	.text._ZN2at6native12_GLOBAL__N_135GammaBetaBackwardCUDAKernelTemplateIddLj32ELj1ELj32ELb1ELb1ELb1EEEvllPKT_S5_PKT0_S8_PS3_S9_,"axG",@progbits,_ZN2at6native12_GLOBAL__N_135GammaBetaBackwardCUDAKernelTemplateIddLj32ELj1ELj32ELb1ELb1ELb1EEEvllPKT_S5_PKT0_S8_PS3_S9_,comdat
	.globl	_ZN2at6native12_GLOBAL__N_135GammaBetaBackwardCUDAKernelTemplateIddLj32ELj1ELj32ELb1ELb1ELb1EEEvllPKT_S5_PKT0_S8_PS3_S9_ ; -- Begin function _ZN2at6native12_GLOBAL__N_135GammaBetaBackwardCUDAKernelTemplateIddLj32ELj1ELj32ELb1ELb1ELb1EEEvllPKT_S5_PKT0_S8_PS3_S9_
	.p2align	8
	.type	_ZN2at6native12_GLOBAL__N_135GammaBetaBackwardCUDAKernelTemplateIddLj32ELj1ELj32ELb1ELb1ELb1EEEvllPKT_S5_PKT0_S8_PS3_S9_,@function
_ZN2at6native12_GLOBAL__N_135GammaBetaBackwardCUDAKernelTemplateIddLj32ELj1ELj32ELb1ELb1ELb1EEEvllPKT_S5_PKT0_S8_PS3_S9_: ; @_ZN2at6native12_GLOBAL__N_135GammaBetaBackwardCUDAKernelTemplateIddLj32ELj1ELj32ELb1ELb1ELb1EEEvllPKT_S5_PKT0_S8_PS3_S9_
; %bb.0:
	s_clause 0x1
	s_load_b128 s[4:7], s[0:1], 0x0
	s_load_b64 s[2:3], s[0:1], 0x30
	s_lshl_b32 s12, ttmp7, 5
	s_mov_b32 s13, 0
	v_mov_b32_e32 v10, 0
	v_mov_b32_e32 v11, 0
	v_bfe_u32 v1, v0, 10, 10
	v_and_b32_e32 v0, 0x3ff, v0
	s_wait_kmcnt 0x0
	v_cmp_le_i64_e64 s8, s[4:5], s[12:13]
	s_and_b32 vcc_lo, exec_lo, s8
	s_cbranch_vccnz .LBB129_5
; %bb.1:
	s_clause 0x3
	s_load_b32 s14, s[0:1], 0x4c
	s_load_b32 s15, s[0:1], 0x44
	s_load_b128 s[8:11], s[0:1], 0x10
	s_load_b64 s[16:17], s[0:1], 0x28
	v_dual_mov_b32 v3, 0 :: v_dual_lshlrev_b32 v4, 5, v1
	v_lshl_or_b32 v2, ttmp9, 5, v0
	v_dual_mov_b32 v31, 0x50 :: v_dual_mov_b32 v12, 4
	v_dual_mov_b32 v13, 8 :: v_dual_mov_b32 v14, 12
	;; [unrolled: 1-line block ×6, first 2 shown]
	v_mov_b32_e32 v23, 48
	s_wait_kmcnt 0x0
	s_and_b32 s14, s14, 0xffff
	v_dual_mov_b32 v24, 52 :: v_dual_mov_b32 v25, 56
	v_mad_u32_u24 v5, v1, s14, v0
	v_add_co_u32 v9, s14, v4, s12
	s_wait_alu 0xf1ff
	v_add_co_ci_u32_e64 v10, null, 0, 0, s14
	s_delay_alu instid0(VALU_DEP_3) | instskip(NEXT) | instid1(VALU_DEP_3)
	v_dual_mov_b32 v29, 0x48 :: v_dual_and_b32 v8, 31, v5
	v_mul_lo_u32 v6, s7, v9
	s_delay_alu instid0(VALU_DEP_3)
	v_mul_lo_u32 v7, s6, v10
	v_mad_co_u64_u32 v[4:5], null, s6, v9, 0
	s_lshl_b32 s14, s15, 5
	s_mov_b32 s15, s13
	v_dual_mov_b32 v26, 60 :: v_dual_mov_b32 v27, 64
	v_mov_b32_e32 v28, 0x44
	v_mov_b32_e32 v30, 0x4c
	v_add3_u32 v5, v5, v7, v6
	v_mov_b32_e32 v32, 0x54
	v_mov_b32_e32 v33, 0x58
	;; [unrolled: 1-line block ×4, first 2 shown]
	v_lshlrev_b64_e32 v[6:7], 3, v[4:5]
	v_add_co_u32 v4, vcc_lo, v9, v8
	s_delay_alu instid0(VALU_DEP_1) | instskip(SKIP_3) | instid1(VALU_DEP_4)
	v_add_co_ci_u32_e64 v5, null, 0, v10, vcc_lo
	v_lshlrev_b64_e32 v[8:9], 3, v[2:3]
	v_mov_b32_e32 v10, 0
	v_mov_b32_e32 v36, 0x64
	v_lshlrev_b64_e32 v[44:45], 3, v[4:5]
	v_mov_b32_e32 v37, 0x68
	v_mov_b32_e32 v38, 0x6c
	v_add_co_u32 v42, vcc_lo, v6, v8
	s_wait_alu 0xfffd
	v_add_co_ci_u32_e64 v43, null, v7, v9, vcc_lo
	v_add_co_u32 v6, vcc_lo, s16, v44
	v_mov_b32_e32 v39, 0x70
	v_mov_b32_e32 v40, 0x74
	;; [unrolled: 1-line block ×3, first 2 shown]
	v_dual_mov_b32 v2, 0x7c :: v_dual_mov_b32 v11, 0
	s_wait_alu 0xfffd
	v_add_co_ci_u32_e64 v7, null, s17, v45, vcc_lo
	s_wait_alu 0xfffe
	s_mul_u64 s[18:19], s[6:7], s[14:15]
	s_lshl_b64 s[20:21], s[6:7], 3
	s_lshl_b64 s[16:17], s[18:19], 3
	;; [unrolled: 1-line block ×3, first 2 shown]
	s_branch .LBB129_3
.LBB129_2:                              ;   in Loop: Header=BB129_3 Depth=1
	s_or_b32 exec_lo, exec_lo, s22
	v_add_co_u32 v44, vcc_lo, s8, v42
	s_wait_alu 0xfffd
	v_add_co_ci_u32_e64 v45, null, s9, v43, vcc_lo
	v_add_co_u32 v46, vcc_lo, s10, v42
	s_wait_alu 0xfffd
	v_add_co_ci_u32_e64 v47, null, s11, v43, vcc_lo
	global_load_b64 v[48:49], v[44:45], off
	global_load_b64 v[50:51], v[46:47], off
	v_add_co_u32 v44, vcc_lo, v44, s20
	s_wait_alu 0xfffd
	v_add_co_ci_u32_e64 v45, null, s21, v45, vcc_lo
	v_add_co_u32 v46, vcc_lo, v46, s20
	s_wait_alu 0xfffd
	v_add_co_ci_u32_e64 v47, null, s21, v47, vcc_lo
	global_load_b64 v[52:53], v[44:45], off
	global_load_b64 v[54:55], v[46:47], off
	v_add_co_u32 v44, vcc_lo, v44, s20
	s_wait_alu 0xfffd
	v_add_co_ci_u32_e64 v45, null, s21, v45, vcc_lo
	v_add_co_u32 v46, vcc_lo, v46, s20
	s_wait_alu 0xfffd
	v_add_co_ci_u32_e64 v47, null, s21, v47, vcc_lo
	global_load_b64 v[56:57], v[44:45], off
	global_load_b64 v[58:59], v[46:47], off
	v_add_co_u32 v44, vcc_lo, v44, s20
	s_wait_alu 0xfffd
	v_add_co_ci_u32_e64 v45, null, s21, v45, vcc_lo
	v_add_co_u32 v46, vcc_lo, v46, s20
	s_wait_alu 0xfffd
	v_add_co_ci_u32_e64 v47, null, s21, v47, vcc_lo
	global_load_b64 v[60:61], v[44:45], off
	global_load_b64 v[62:63], v[46:47], off
	v_add_co_u32 v44, vcc_lo, v44, s20
	s_wait_alu 0xfffd
	v_add_co_ci_u32_e64 v45, null, s21, v45, vcc_lo
	v_add_co_u32 v46, vcc_lo, v46, s20
	s_wait_alu 0xfffd
	v_add_co_ci_u32_e64 v47, null, s21, v47, vcc_lo
	global_load_b64 v[64:65], v[44:45], off
	global_load_b64 v[66:67], v[46:47], off
	v_add_co_u32 v44, vcc_lo, v44, s20
	s_wait_alu 0xfffd
	v_add_co_ci_u32_e64 v45, null, s21, v45, vcc_lo
	v_add_co_u32 v46, vcc_lo, v46, s20
	s_wait_alu 0xfffd
	v_add_co_ci_u32_e64 v47, null, s21, v47, vcc_lo
	global_load_b64 v[68:69], v[44:45], off
	global_load_b64 v[70:71], v[46:47], off
	v_add_co_u32 v44, vcc_lo, v44, s20
	s_wait_alu 0xfffd
	v_add_co_ci_u32_e64 v45, null, s21, v45, vcc_lo
	v_add_co_u32 v46, vcc_lo, v46, s20
	s_wait_alu 0xfffd
	v_add_co_ci_u32_e64 v47, null, s21, v47, vcc_lo
	global_load_b64 v[72:73], v[44:45], off
	global_load_b64 v[74:75], v[46:47], off
	v_add_co_u32 v44, vcc_lo, v44, s20
	s_wait_alu 0xfffd
	v_add_co_ci_u32_e64 v45, null, s21, v45, vcc_lo
	v_add_co_u32 v46, vcc_lo, v46, s20
	s_wait_alu 0xfffd
	v_add_co_ci_u32_e64 v47, null, s21, v47, vcc_lo
	global_load_b64 v[76:77], v[44:45], off
	global_load_b64 v[78:79], v[46:47], off
	v_add_co_u32 v44, vcc_lo, v44, s20
	s_wait_alu 0xfffd
	v_add_co_ci_u32_e64 v45, null, s21, v45, vcc_lo
	v_add_co_u32 v46, vcc_lo, v46, s20
	s_wait_alu 0xfffd
	v_add_co_ci_u32_e64 v47, null, s21, v47, vcc_lo
	global_load_b64 v[80:81], v[44:45], off
	global_load_b64 v[82:83], v[46:47], off
	v_add_co_u32 v44, vcc_lo, v44, s20
	s_wait_alu 0xfffd
	v_add_co_ci_u32_e64 v45, null, s21, v45, vcc_lo
	v_add_co_u32 v46, vcc_lo, v46, s20
	s_wait_alu 0xfffd
	v_add_co_ci_u32_e64 v47, null, s21, v47, vcc_lo
	global_load_b64 v[84:85], v[44:45], off
	global_load_b64 v[86:87], v[46:47], off
	v_add_co_u32 v44, vcc_lo, v44, s20
	s_wait_alu 0xfffd
	v_add_co_ci_u32_e64 v45, null, s21, v45, vcc_lo
	v_add_co_u32 v46, vcc_lo, v46, s20
	s_wait_alu 0xfffd
	v_add_co_ci_u32_e64 v47, null, s21, v47, vcc_lo
	s_add_nc_u64 s[12:13], s[12:13], s[14:15]
	s_wait_alu 0xfffe
	v_cmp_lt_i64_e64 s22, s[12:13], s[4:5]
	s_wait_loadcnt 0x12
	v_mul_f64_e32 v[48:49], v[48:49], v[50:51]
	ds_bpermute_b32 v50, v3, v8
	ds_bpermute_b32 v51, v3, v9
	s_wait_loadcnt 0x10
	v_mul_f64_e32 v[52:53], v[52:53], v[54:55]
	s_wait_loadcnt 0xe
	v_mul_f64_e32 v[56:57], v[56:57], v[58:59]
	s_wait_loadcnt 0xc
	v_mul_f64_e32 v[60:61], v[60:61], v[62:63]
	s_wait_dscnt 0x0
	v_fma_f64 v[10:11], v[48:49], v[50:51], v[10:11]
	ds_bpermute_b32 v48, v12, v8
	ds_bpermute_b32 v49, v12, v9
	global_load_b64 v[50:51], v[44:45], off
	global_load_b64 v[54:55], v[46:47], off
	v_add_co_u32 v44, vcc_lo, v44, s20
	s_wait_alu 0xfffd
	v_add_co_ci_u32_e64 v45, null, s21, v45, vcc_lo
	v_add_co_u32 v46, vcc_lo, v46, s20
	s_wait_alu 0xfffd
	v_add_co_ci_u32_e64 v47, null, s21, v47, vcc_lo
	s_wait_loadcnt 0xc
	v_mul_f64_e32 v[64:65], v[64:65], v[66:67]
	s_wait_loadcnt 0xa
	v_mul_f64_e32 v[68:69], v[68:69], v[70:71]
	s_wait_loadcnt 0x8
	v_mul_f64_e32 v[72:73], v[72:73], v[74:75]
	s_wait_dscnt 0x0
	v_fma_f64 v[10:11], v[52:53], v[48:49], v[10:11]
	ds_bpermute_b32 v48, v13, v8
	ds_bpermute_b32 v49, v13, v9
	global_load_b64 v[52:53], v[44:45], off
	global_load_b64 v[58:59], v[46:47], off
	v_add_co_u32 v44, vcc_lo, v44, s20
	s_wait_alu 0xfffd
	v_add_co_ci_u32_e64 v45, null, s21, v45, vcc_lo
	v_add_co_u32 v46, vcc_lo, v46, s20
	s_wait_alu 0xfffd
	v_add_co_ci_u32_e64 v47, null, s21, v47, vcc_lo
	;; [unrolled: 18-line block ×3, first 2 shown]
	s_wait_dscnt 0x0
	v_fma_f64 v[10:11], v[60:61], v[48:49], v[10:11]
	ds_bpermute_b32 v48, v15, v8
	ds_bpermute_b32 v49, v15, v9
	global_load_b64 v[60:61], v[44:45], off
	global_load_b64 v[66:67], v[46:47], off
	v_add_co_u32 v44, vcc_lo, v44, s20
	s_wait_alu 0xfffd
	v_add_co_ci_u32_e64 v45, null, s21, v45, vcc_lo
	v_add_co_u32 v46, vcc_lo, v46, s20
	s_wait_alu 0xfffd
	v_add_co_ci_u32_e64 v47, null, s21, v47, vcc_lo
	s_wait_dscnt 0x0
	v_fma_f64 v[10:11], v[64:65], v[48:49], v[10:11]
	ds_bpermute_b32 v48, v16, v8
	ds_bpermute_b32 v49, v16, v9
	global_load_b64 v[64:65], v[44:45], off
	global_load_b64 v[70:71], v[46:47], off
	v_add_co_u32 v44, vcc_lo, v44, s20
	s_wait_alu 0xfffd
	v_add_co_ci_u32_e64 v45, null, s21, v45, vcc_lo
	v_add_co_u32 v46, vcc_lo, v46, s20
	s_wait_alu 0xfffd
	v_add_co_ci_u32_e64 v47, null, s21, v47, vcc_lo
	;; [unrolled: 12-line block ×6, first 2 shown]
	s_wait_loadcnt 0x10
	v_mul_f64_e32 v[50:51], v[50:51], v[54:55]
	s_wait_dscnt 0x0
	v_fma_f64 v[10:11], v[84:85], v[48:49], v[10:11]
	ds_bpermute_b32 v48, v21, v8
	ds_bpermute_b32 v49, v21, v9
	global_load_b64 v[54:55], v[44:45], off
	global_load_b64 v[84:85], v[46:47], off
	v_add_co_u32 v44, vcc_lo, v44, s20
	s_wait_alu 0xfffd
	v_add_co_ci_u32_e64 v45, null, s21, v45, vcc_lo
	v_add_co_u32 v46, vcc_lo, v46, s20
	s_wait_alu 0xfffd
	v_add_co_ci_u32_e64 v47, null, s21, v47, vcc_lo
	s_wait_loadcnt 0x10
	v_mul_f64_e32 v[52:53], v[52:53], v[58:59]
	s_wait_dscnt 0x0
	v_fma_f64 v[10:11], v[50:51], v[48:49], v[10:11]
	ds_bpermute_b32 v48, v22, v8
	ds_bpermute_b32 v49, v22, v9
	global_load_b64 v[50:51], v[44:45], off
	global_load_b64 v[58:59], v[46:47], off
	v_add_co_u32 v44, vcc_lo, v44, s20
	s_wait_alu 0xfffd
	v_add_co_ci_u32_e64 v45, null, s21, v45, vcc_lo
	v_add_co_u32 v46, vcc_lo, v46, s20
	s_wait_alu 0xfffd
	v_add_co_ci_u32_e64 v47, null, s21, v47, vcc_lo
	;; [unrolled: 14-line block ×12, first 2 shown]
	global_load_b64 v[44:45], v[44:45], off
	global_load_b64 v[46:47], v[46:47], off
	v_add_co_u32 v42, vcc_lo, v42, s16
	s_wait_alu 0xfffd
	v_add_co_ci_u32_e64 v43, null, s17, v43, vcc_lo
	s_wait_loadcnt 0x12
	v_mul_f64_e32 v[56:57], v[56:57], v[66:67]
	v_add_co_u32 v6, vcc_lo, v6, s18
	s_wait_alu 0xfffd
	v_add_co_ci_u32_e64 v7, null, s19, v7, vcc_lo
	v_add_co_u32 v4, vcc_lo, v4, s14
	s_wait_alu 0xfffd
	v_add_co_ci_u32_e64 v5, null, 0, v5, vcc_lo
	s_and_b32 vcc_lo, exec_lo, s22
	s_wait_dscnt 0x0
	v_fma_f64 v[10:11], v[52:53], v[48:49], v[10:11]
	ds_bpermute_b32 v48, v33, v8
	ds_bpermute_b32 v49, v33, v9
	s_wait_loadcnt 0x10
	v_mul_f64_e32 v[52:53], v[60:61], v[70:71]
	s_wait_dscnt 0x0
	v_fma_f64 v[10:11], v[56:57], v[48:49], v[10:11]
	ds_bpermute_b32 v48, v34, v8
	ds_bpermute_b32 v49, v34, v9
	s_wait_loadcnt 0xe
	v_mul_f64_e32 v[56:57], v[64:65], v[74:75]
	;; [unrolled: 6-line block ×8, first 2 shown]
	s_wait_loadcnt 0x0
	v_mul_f64_e32 v[44:45], v[44:45], v[46:47]
	s_wait_dscnt 0x0
	v_fma_f64 v[10:11], v[52:53], v[48:49], v[10:11]
	ds_bpermute_b32 v48, v41, v8
	ds_bpermute_b32 v49, v41, v9
	ds_bpermute_b32 v8, v2, v8
	ds_bpermute_b32 v9, v2, v9
	s_wait_dscnt 0x2
	v_fma_f64 v[10:11], v[50:51], v[48:49], v[10:11]
	s_wait_dscnt 0x0
	s_delay_alu instid0(VALU_DEP_1)
	v_fma_f64 v[10:11], v[44:45], v[8:9], v[10:11]
	s_wait_alu 0xfffe
	s_cbranch_vccz .LBB129_5
.LBB129_3:                              ; =>This Inner Loop Header: Depth=1
	v_mov_b32_e32 v8, 0
	v_mov_b32_e32 v9, 0
	s_mov_b32 s22, exec_lo
	v_cmpx_gt_i64_e64 s[4:5], v[4:5]
	s_cbranch_execz .LBB129_2
; %bb.4:                                ;   in Loop: Header=BB129_3 Depth=1
	global_load_b64 v[8:9], v[6:7], off
	s_branch .LBB129_2
.LBB129_5:
	s_cmp_eq_u64 s[2:3], 0
	s_cbranch_scc1 .LBB129_7
; %bb.6:
	s_load_u16 s0, s[0:1], 0x4e
	v_mov_b32_e32 v2, 0
	s_mov_b32 s4, ttmp9
	s_mov_b32 s5, 0
	v_lshlrev_b32_e32 v0, 3, v0
	s_wait_kmcnt 0x0
	v_mad_co_u64_u32 v[1:2], null, s0, ttmp7, v[1:2]
	s_wait_alu 0xfffe
	s_lshl_b64 s[0:1], s[4:5], 8
	s_delay_alu instid0(VALU_DEP_1) | instskip(NEXT) | instid1(VALU_DEP_2)
	v_mul_lo_u32 v3, v2, s6
	v_mul_lo_u32 v4, v1, s7
	v_mad_co_u64_u32 v[1:2], null, v1, s6, 0
	s_delay_alu instid0(VALU_DEP_1) | instskip(NEXT) | instid1(VALU_DEP_1)
	v_add3_u32 v2, v2, v4, v3
	v_lshlrev_b64_e32 v[1:2], 3, v[1:2]
	s_delay_alu instid0(VALU_DEP_1) | instskip(SKIP_1) | instid1(VALU_DEP_2)
	v_add_co_u32 v1, vcc_lo, s2, v1
	s_wait_alu 0xfffd
	v_add_co_ci_u32_e64 v2, null, s3, v2, vcc_lo
	s_wait_alu 0xfffe
	s_delay_alu instid0(VALU_DEP_2) | instskip(SKIP_1) | instid1(VALU_DEP_2)
	v_add_co_u32 v1, vcc_lo, v1, s0
	s_wait_alu 0xfffd
	v_add_co_ci_u32_e64 v2, null, s1, v2, vcc_lo
	s_delay_alu instid0(VALU_DEP_2) | instskip(SKIP_1) | instid1(VALU_DEP_2)
	v_add_co_u32 v0, vcc_lo, v1, v0
	s_wait_alu 0xfffd
	v_add_co_ci_u32_e64 v1, null, 0, v2, vcc_lo
	global_store_b64 v[0:1], v[10:11], off
.LBB129_7:
	s_endpgm
	.section	.rodata,"a",@progbits
	.p2align	6, 0x0
	.amdhsa_kernel _ZN2at6native12_GLOBAL__N_135GammaBetaBackwardCUDAKernelTemplateIddLj32ELj1ELj32ELb1ELb1ELb1EEEvllPKT_S5_PKT0_S8_PS3_S9_
		.amdhsa_group_segment_fixed_size 0
		.amdhsa_private_segment_fixed_size 0
		.amdhsa_kernarg_size 320
		.amdhsa_user_sgpr_count 2
		.amdhsa_user_sgpr_dispatch_ptr 0
		.amdhsa_user_sgpr_queue_ptr 0
		.amdhsa_user_sgpr_kernarg_segment_ptr 1
		.amdhsa_user_sgpr_dispatch_id 0
		.amdhsa_user_sgpr_private_segment_size 0
		.amdhsa_wavefront_size32 1
		.amdhsa_uses_dynamic_stack 0
		.amdhsa_enable_private_segment 0
		.amdhsa_system_sgpr_workgroup_id_x 1
		.amdhsa_system_sgpr_workgroup_id_y 1
		.amdhsa_system_sgpr_workgroup_id_z 0
		.amdhsa_system_sgpr_workgroup_info 0
		.amdhsa_system_vgpr_workitem_id 1
		.amdhsa_next_free_vgpr 88
		.amdhsa_next_free_sgpr 23
		.amdhsa_reserve_vcc 1
		.amdhsa_float_round_mode_32 0
		.amdhsa_float_round_mode_16_64 0
		.amdhsa_float_denorm_mode_32 3
		.amdhsa_float_denorm_mode_16_64 3
		.amdhsa_fp16_overflow 0
		.amdhsa_workgroup_processor_mode 1
		.amdhsa_memory_ordered 1
		.amdhsa_forward_progress 1
		.amdhsa_inst_pref_size 32
		.amdhsa_round_robin_scheduling 0
		.amdhsa_exception_fp_ieee_invalid_op 0
		.amdhsa_exception_fp_denorm_src 0
		.amdhsa_exception_fp_ieee_div_zero 0
		.amdhsa_exception_fp_ieee_overflow 0
		.amdhsa_exception_fp_ieee_underflow 0
		.amdhsa_exception_fp_ieee_inexact 0
		.amdhsa_exception_int_div_zero 0
	.end_amdhsa_kernel
	.section	.text._ZN2at6native12_GLOBAL__N_135GammaBetaBackwardCUDAKernelTemplateIddLj32ELj1ELj32ELb1ELb1ELb1EEEvllPKT_S5_PKT0_S8_PS3_S9_,"axG",@progbits,_ZN2at6native12_GLOBAL__N_135GammaBetaBackwardCUDAKernelTemplateIddLj32ELj1ELj32ELb1ELb1ELb1EEEvllPKT_S5_PKT0_S8_PS3_S9_,comdat
.Lfunc_end129:
	.size	_ZN2at6native12_GLOBAL__N_135GammaBetaBackwardCUDAKernelTemplateIddLj32ELj1ELj32ELb1ELb1ELb1EEEvllPKT_S5_PKT0_S8_PS3_S9_, .Lfunc_end129-_ZN2at6native12_GLOBAL__N_135GammaBetaBackwardCUDAKernelTemplateIddLj32ELj1ELj32ELb1ELb1ELb1EEEvllPKT_S5_PKT0_S8_PS3_S9_
                                        ; -- End function
	.set _ZN2at6native12_GLOBAL__N_135GammaBetaBackwardCUDAKernelTemplateIddLj32ELj1ELj32ELb1ELb1ELb1EEEvllPKT_S5_PKT0_S8_PS3_S9_.num_vgpr, 88
	.set _ZN2at6native12_GLOBAL__N_135GammaBetaBackwardCUDAKernelTemplateIddLj32ELj1ELj32ELb1ELb1ELb1EEEvllPKT_S5_PKT0_S8_PS3_S9_.num_agpr, 0
	.set _ZN2at6native12_GLOBAL__N_135GammaBetaBackwardCUDAKernelTemplateIddLj32ELj1ELj32ELb1ELb1ELb1EEEvllPKT_S5_PKT0_S8_PS3_S9_.numbered_sgpr, 23
	.set _ZN2at6native12_GLOBAL__N_135GammaBetaBackwardCUDAKernelTemplateIddLj32ELj1ELj32ELb1ELb1ELb1EEEvllPKT_S5_PKT0_S8_PS3_S9_.num_named_barrier, 0
	.set _ZN2at6native12_GLOBAL__N_135GammaBetaBackwardCUDAKernelTemplateIddLj32ELj1ELj32ELb1ELb1ELb1EEEvllPKT_S5_PKT0_S8_PS3_S9_.private_seg_size, 0
	.set _ZN2at6native12_GLOBAL__N_135GammaBetaBackwardCUDAKernelTemplateIddLj32ELj1ELj32ELb1ELb1ELb1EEEvllPKT_S5_PKT0_S8_PS3_S9_.uses_vcc, 1
	.set _ZN2at6native12_GLOBAL__N_135GammaBetaBackwardCUDAKernelTemplateIddLj32ELj1ELj32ELb1ELb1ELb1EEEvllPKT_S5_PKT0_S8_PS3_S9_.uses_flat_scratch, 0
	.set _ZN2at6native12_GLOBAL__N_135GammaBetaBackwardCUDAKernelTemplateIddLj32ELj1ELj32ELb1ELb1ELb1EEEvllPKT_S5_PKT0_S8_PS3_S9_.has_dyn_sized_stack, 0
	.set _ZN2at6native12_GLOBAL__N_135GammaBetaBackwardCUDAKernelTemplateIddLj32ELj1ELj32ELb1ELb1ELb1EEEvllPKT_S5_PKT0_S8_PS3_S9_.has_recursion, 0
	.set _ZN2at6native12_GLOBAL__N_135GammaBetaBackwardCUDAKernelTemplateIddLj32ELj1ELj32ELb1ELb1ELb1EEEvllPKT_S5_PKT0_S8_PS3_S9_.has_indirect_call, 0
	.section	.AMDGPU.csdata,"",@progbits
; Kernel info:
; codeLenInByte = 4028
; TotalNumSgprs: 25
; NumVgprs: 88
; ScratchSize: 0
; MemoryBound: 0
; FloatMode: 240
; IeeeMode: 1
; LDSByteSize: 0 bytes/workgroup (compile time only)
; SGPRBlocks: 0
; VGPRBlocks: 10
; NumSGPRsForWavesPerEU: 25
; NumVGPRsForWavesPerEU: 88
; Occupancy: 16
; WaveLimiterHint : 0
; COMPUTE_PGM_RSRC2:SCRATCH_EN: 0
; COMPUTE_PGM_RSRC2:USER_SGPR: 2
; COMPUTE_PGM_RSRC2:TRAP_HANDLER: 0
; COMPUTE_PGM_RSRC2:TGID_X_EN: 1
; COMPUTE_PGM_RSRC2:TGID_Y_EN: 1
; COMPUTE_PGM_RSRC2:TGID_Z_EN: 0
; COMPUTE_PGM_RSRC2:TIDIG_COMP_CNT: 1
	.section	.text._ZN2at6native12_GLOBAL__N_135GammaBetaBackwardCUDAKernelTemplateIddLj32ELj1ELj32ELb1ELb0ELb1EEEvllPKT_S5_PKT0_S8_PS3_S9_,"axG",@progbits,_ZN2at6native12_GLOBAL__N_135GammaBetaBackwardCUDAKernelTemplateIddLj32ELj1ELj32ELb1ELb0ELb1EEEvllPKT_S5_PKT0_S8_PS3_S9_,comdat
	.globl	_ZN2at6native12_GLOBAL__N_135GammaBetaBackwardCUDAKernelTemplateIddLj32ELj1ELj32ELb1ELb0ELb1EEEvllPKT_S5_PKT0_S8_PS3_S9_ ; -- Begin function _ZN2at6native12_GLOBAL__N_135GammaBetaBackwardCUDAKernelTemplateIddLj32ELj1ELj32ELb1ELb0ELb1EEEvllPKT_S5_PKT0_S8_PS3_S9_
	.p2align	8
	.type	_ZN2at6native12_GLOBAL__N_135GammaBetaBackwardCUDAKernelTemplateIddLj32ELj1ELj32ELb1ELb0ELb1EEEvllPKT_S5_PKT0_S8_PS3_S9_,@function
_ZN2at6native12_GLOBAL__N_135GammaBetaBackwardCUDAKernelTemplateIddLj32ELj1ELj32ELb1ELb0ELb1EEEvllPKT_S5_PKT0_S8_PS3_S9_: ; @_ZN2at6native12_GLOBAL__N_135GammaBetaBackwardCUDAKernelTemplateIddLj32ELj1ELj32ELb1ELb0ELb1EEEvllPKT_S5_PKT0_S8_PS3_S9_
; %bb.0:
	s_clause 0x1
	s_load_b256 s[4:11], s[0:1], 0x0
	s_load_b64 s[12:13], s[0:1], 0x28
	s_lshl_b32 s28, ttmp9, 5
	s_mov_b32 s15, 0
	s_or_b32 s14, s28, 31
	s_wait_kmcnt 0x0
	v_cmp_le_i64_e64 s2, s[6:7], s[14:15]
	s_lshl_b32 s14, ttmp7, 5
	s_wait_alu 0xfffe
	v_cmp_gt_i64_e64 s29, s[4:5], s[14:15]
	s_and_b32 vcc_lo, exec_lo, s2
	v_cndmask_b32_e64 v1, 0, 1, s29
	s_delay_alu instid0(VALU_DEP_1)
	v_cmp_ne_u32_e64 s2, 1, v1
	s_cbranch_vccz .LBB130_140
; %bb.1:
	v_mov_b32_e32 v125, 0
	v_mov_b32_e32 v126, 0
	s_and_b32 vcc_lo, exec_lo, s2
	s_cbranch_vccnz .LBB130_142
; %bb.2:
	v_bfe_u32 v1, v0, 10, 10
	v_mov_b32_e32 v125, 0
	s_load_b32 s3, s[0:1], 0x44
	s_mov_b32 s17, 0
	s_add_nc_u64 s[18:19], s[0:1], 64
	v_dual_mov_b32 v2, 0 :: v_dual_lshlrev_b32 v137, 5, v1
	s_clause 0x1
	scratch_store_b32 off, v1, off offset:56
	scratch_store_b32 off, v0, off offset:584
	v_dual_mov_b32 v126, 0 :: v_dual_and_b32 v1, 0x3ff, v0
	v_add_co_u32 v0, s2, v137, s14
	s_delay_alu instid0(VALU_DEP_1)
	v_add_co_ci_u32_e64 v7, null, 0, 0, s2
	scratch_store_b32 off, v1, off offset:60 ; 4-byte Folded Spill
	v_mul_lo_u32 v3, s7, v0
	v_mad_co_u64_u32 v[5:6], null, s6, v0, 0
	v_mul_lo_u32 v4, s6, v7
	v_add_co_u32 v10, vcc_lo, v0, 31
	s_delay_alu instid0(VALU_DEP_1)
	v_add_co_ci_u32_e64 v8, null, 0, v7, vcc_lo
	v_add_co_u32 v12, vcc_lo, v0, 30
	s_wait_alu 0xfffd
	v_add_co_ci_u32_e64 v13, null, 0, v7, vcc_lo
	v_add3_u32 v6, v6, v4, v3
	v_mul_lo_u32 v15, s6, v8
	v_add_nc_u32_e32 v1, s28, v1
	v_mul_lo_u32 v14, s7, v10
	v_mad_co_u64_u32 v[10:11], null, s6, v10, 0
	v_lshlrev_b64_e32 v[8:9], 3, v[5:6]
	v_mul_lo_u32 v16, s7, v12
	v_mul_lo_u32 v17, s6, v13
	v_mad_co_u64_u32 v[12:13], null, s6, v12, 0
	v_cmp_gt_i64_e64 s2, s[6:7], v[1:2]
	v_lshlrev_b64_e32 v[3:4], 3, v[1:2]
	v_add_co_u32 v1, vcc_lo, s8, v8
	s_wait_alu 0xfffd
	v_add_co_ci_u32_e64 v140, null, s9, v9, vcc_lo
	v_add_co_u32 v141, vcc_lo, s10, v8
	v_add3_u32 v11, v11, v15, v14
	s_wait_alu 0xfffd
	v_add_co_ci_u32_e64 v142, null, s11, v9, vcc_lo
	v_add_co_u32 v14, vcc_lo, v0, 29
	v_add3_u32 v13, v13, v17, v16
	s_wait_alu 0xfffd
	v_add_co_ci_u32_e64 v15, null, 0, v7, vcc_lo
	v_lshlrev_b64_e32 v[8:9], 3, v[10:11]
	v_mul_lo_u32 v16, s7, v14
	v_lshlrev_b64_e32 v[10:11], 3, v[12:13]
	s_delay_alu instid0(VALU_DEP_4)
	v_mul_lo_u32 v15, s6, v15
	v_mad_co_u64_u32 v[12:13], null, s6, v14, 0
	v_add_co_u32 v143, vcc_lo, s8, v8
	s_wait_alu 0xfffd
	v_add_co_ci_u32_e64 v144, null, s9, v9, vcc_lo
	v_add_co_u32 v145, vcc_lo, s10, v8
	s_delay_alu instid0(VALU_DEP_4)
	v_add3_u32 v13, v13, v15, v16
	s_wait_alu 0xfffd
	v_add_co_ci_u32_e64 v146, null, s11, v9, vcc_lo
	v_add_co_u32 v147, vcc_lo, s8, v10
	s_wait_alu 0xfffd
	v_add_co_ci_u32_e64 v148, null, s9, v11, vcc_lo
	v_add_co_u32 v14, vcc_lo, v0, 28
	s_wait_kmcnt 0x0
	s_lshl_b32 s20, s3, 5
	v_add_co_u32 v149, s3, s10, v10
	v_lshlrev_b64_e32 v[8:9], 3, v[12:13]
	s_wait_alu 0xfffd
	v_add_co_ci_u32_e64 v10, null, 0, v7, vcc_lo
	v_add_co_u32 v12, vcc_lo, v0, 27
	s_wait_alu 0xfffd
	v_add_co_ci_u32_e64 v13, null, 0, v7, vcc_lo
	s_wait_alu 0xf1ff
	v_add_co_ci_u32_e64 v150, null, s11, v11, s3
	v_mul_lo_u32 v15, s7, v14
	v_mul_lo_u32 v16, s6, v10
	v_mad_co_u64_u32 v[10:11], null, s6, v14, 0
	v_mul_lo_u32 v14, s7, v12
	v_mul_lo_u32 v17, s6, v13
	v_mad_co_u64_u32 v[12:13], null, s6, v12, 0
	v_add_co_u32 v151, vcc_lo, s8, v8
	s_wait_alu 0xfffd
	v_add_co_ci_u32_e64 v152, null, s9, v9, vcc_lo
	v_add_co_u32 v153, vcc_lo, s10, v8
	s_wait_alu 0xfffd
	v_add_co_ci_u32_e64 v154, null, s11, v9, vcc_lo
	v_add3_u32 v13, v13, v17, v14
	v_add_co_u32 v14, vcc_lo, v0, 26
	v_add3_u32 v11, v11, v16, v15
	s_wait_alu 0xfffd
	v_add_co_ci_u32_e64 v15, null, 0, v7, vcc_lo
	s_delay_alu instid0(VALU_DEP_3)
	v_mul_lo_u32 v16, s7, v14
	s_mov_b32 s21, s17
	v_lshlrev_b64_e32 v[8:9], 3, v[10:11]
	v_lshlrev_b64_e32 v[10:11], 3, v[12:13]
	v_mul_lo_u32 v15, s6, v15
	v_mad_co_u64_u32 v[12:13], null, s6, v14, 0
	v_mov_b32_e32 v139, v2
	v_add_co_u32 v155, vcc_lo, s8, v8
	s_wait_alu 0xfffd
	v_add_co_ci_u32_e64 v156, null, s9, v9, vcc_lo
	v_add_co_u32 v157, vcc_lo, s10, v8
	v_add3_u32 v13, v13, v15, v16
	s_wait_alu 0xfffd
	v_add_co_ci_u32_e64 v158, null, s11, v9, vcc_lo
	v_add_co_u32 v159, vcc_lo, s8, v10
	s_wait_alu 0xfffd
	v_add_co_ci_u32_e64 v160, null, s9, v11, vcc_lo
	v_add_co_u32 v14, vcc_lo, v0, 25
	v_add_co_u32 v161, s3, s10, v10
	v_lshlrev_b64_e32 v[8:9], 3, v[12:13]
	s_wait_alu 0xfffd
	v_add_co_ci_u32_e64 v10, null, 0, v7, vcc_lo
	v_add_co_u32 v12, vcc_lo, v0, 24
	s_wait_alu 0xfffd
	v_add_co_ci_u32_e64 v13, null, 0, v7, vcc_lo
	s_wait_alu 0xf1ff
	v_add_co_ci_u32_e64 v162, null, s11, v11, s3
	v_mul_lo_u32 v15, s7, v14
	v_mul_lo_u32 v16, s6, v10
	v_mad_co_u64_u32 v[10:11], null, s6, v14, 0
	v_mul_lo_u32 v14, s7, v12
	v_mul_lo_u32 v17, s6, v13
	v_mad_co_u64_u32 v[12:13], null, s6, v12, 0
	v_add_co_u32 v163, vcc_lo, s8, v8
	s_wait_alu 0xfffd
	v_add_co_ci_u32_e64 v164, null, s9, v9, vcc_lo
	v_add_co_u32 v165, vcc_lo, s10, v8
	s_wait_alu 0xfffd
	v_add_co_ci_u32_e64 v166, null, s11, v9, vcc_lo
	v_add3_u32 v13, v13, v17, v14
	v_add_co_u32 v14, vcc_lo, v0, 23
	v_add3_u32 v11, v11, v16, v15
	s_wait_alu 0xfffd
	v_add_co_ci_u32_e64 v15, null, 0, v7, vcc_lo
	s_delay_alu instid0(VALU_DEP_3)
	v_mul_lo_u32 v16, s7, v14
	s_mul_u64 s[22:23], s[6:7], s[20:21]
	v_lshlrev_b64_e32 v[8:9], 3, v[10:11]
	v_lshlrev_b64_e32 v[10:11], 3, v[12:13]
	v_mul_lo_u32 v15, s6, v15
	v_mad_co_u64_u32 v[12:13], null, s6, v14, 0
	s_lshl_b64 s[22:23], s[22:23], 3
	v_add_co_u32 v167, vcc_lo, s8, v8
	s_wait_alu 0xfffd
	v_add_co_ci_u32_e64 v168, null, s9, v9, vcc_lo
	v_add_co_u32 v169, vcc_lo, s10, v8
	v_add3_u32 v13, v13, v15, v16
	s_wait_alu 0xfffd
	v_add_co_ci_u32_e64 v170, null, s11, v9, vcc_lo
	v_add_co_u32 v171, vcc_lo, s8, v10
	s_wait_alu 0xfffd
	v_add_co_ci_u32_e64 v172, null, s9, v11, vcc_lo
	v_add_co_u32 v14, vcc_lo, v0, 22
	v_add_co_u32 v173, s3, s10, v10
	v_lshlrev_b64_e32 v[8:9], 3, v[12:13]
	s_wait_alu 0xfffd
	v_add_co_ci_u32_e64 v10, null, 0, v7, vcc_lo
	v_add_co_u32 v12, vcc_lo, v0, 21
	s_wait_alu 0xfffd
	v_add_co_ci_u32_e64 v13, null, 0, v7, vcc_lo
	s_wait_alu 0xf1ff
	v_add_co_ci_u32_e64 v174, null, s11, v11, s3
	v_mul_lo_u32 v15, s7, v14
	v_mul_lo_u32 v16, s6, v10
	v_mad_co_u64_u32 v[10:11], null, s6, v14, 0
	v_mul_lo_u32 v14, s7, v12
	v_mul_lo_u32 v17, s6, v13
	v_mad_co_u64_u32 v[12:13], null, s6, v12, 0
	v_add_co_u32 v175, vcc_lo, s8, v8
	s_wait_alu 0xfffd
	v_add_co_ci_u32_e64 v176, null, s9, v9, vcc_lo
	v_add_co_u32 v177, vcc_lo, s10, v8
	s_wait_alu 0xfffd
	v_add_co_ci_u32_e64 v178, null, s11, v9, vcc_lo
	v_add3_u32 v13, v13, v17, v14
	v_add_co_u32 v14, vcc_lo, v0, 20
	v_add3_u32 v11, v11, v16, v15
	s_wait_alu 0xfffd
	v_add_co_ci_u32_e64 v15, null, 0, v7, vcc_lo
	s_delay_alu instid0(VALU_DEP_3)
	v_mul_lo_u32 v16, s7, v14
	s_mov_b64 s[24:25], 31
	v_lshlrev_b64_e32 v[8:9], 3, v[10:11]
	v_lshlrev_b64_e32 v[10:11], 3, v[12:13]
	v_mul_lo_u32 v15, s6, v15
	v_mad_co_u64_u32 v[12:13], null, s6, v14, 0
	s_mov_b64 s[26:27], s[14:15]
	v_add_co_u32 v179, vcc_lo, s8, v8
	s_wait_alu 0xfffd
	v_add_co_ci_u32_e64 v180, null, s9, v9, vcc_lo
	v_add_co_u32 v181, vcc_lo, s10, v8
	v_add3_u32 v13, v13, v15, v16
	s_wait_alu 0xfffd
	v_add_co_ci_u32_e64 v182, null, s11, v9, vcc_lo
	v_add_co_u32 v183, vcc_lo, s8, v10
	s_wait_alu 0xfffd
	v_add_co_ci_u32_e64 v184, null, s9, v11, vcc_lo
	v_add_co_u32 v14, vcc_lo, v0, 19
	v_add_co_u32 v185, s3, s10, v10
	v_lshlrev_b64_e32 v[8:9], 3, v[12:13]
	s_wait_alu 0xfffd
	v_add_co_ci_u32_e64 v10, null, 0, v7, vcc_lo
	v_add_co_u32 v12, vcc_lo, v0, 18
	s_wait_alu 0xfffd
	v_add_co_ci_u32_e64 v13, null, 0, v7, vcc_lo
	s_wait_alu 0xf1ff
	v_add_co_ci_u32_e64 v186, null, s11, v11, s3
	v_mul_lo_u32 v15, s7, v14
	v_mul_lo_u32 v16, s6, v10
	v_mad_co_u64_u32 v[10:11], null, s6, v14, 0
	v_mul_lo_u32 v14, s7, v12
	v_mul_lo_u32 v17, s6, v13
	v_mad_co_u64_u32 v[12:13], null, s6, v12, 0
	v_add_co_u32 v187, vcc_lo, s8, v8
	s_wait_alu 0xfffd
	v_add_co_ci_u32_e64 v188, null, s9, v9, vcc_lo
	v_add_co_u32 v189, vcc_lo, s10, v8
	s_wait_alu 0xfffd
	v_add_co_ci_u32_e64 v190, null, s11, v9, vcc_lo
	v_add3_u32 v13, v13, v17, v14
	v_add_co_u32 v14, vcc_lo, v0, 17
	v_add3_u32 v11, v11, v16, v15
	s_wait_alu 0xfffd
	v_add_co_ci_u32_e64 v15, null, 0, v7, vcc_lo
	s_delay_alu instid0(VALU_DEP_3) | instskip(NEXT) | instid1(VALU_DEP_3)
	v_mul_lo_u32 v16, s7, v14
	v_lshlrev_b64_e32 v[8:9], 3, v[10:11]
	v_lshlrev_b64_e32 v[10:11], 3, v[12:13]
	s_delay_alu instid0(VALU_DEP_4) | instskip(SKIP_1) | instid1(VALU_DEP_4)
	v_mul_lo_u32 v15, s6, v15
	v_mad_co_u64_u32 v[12:13], null, s6, v14, 0
	v_add_co_u32 v191, vcc_lo, s8, v8
	s_wait_alu 0xfffd
	v_add_co_ci_u32_e64 v192, null, s9, v9, vcc_lo
	v_add_co_u32 v193, vcc_lo, s10, v8
	s_delay_alu instid0(VALU_DEP_4)
	v_add3_u32 v13, v13, v15, v16
	s_wait_alu 0xfffd
	v_add_co_ci_u32_e64 v194, null, s11, v9, vcc_lo
	v_add_co_u32 v195, vcc_lo, s8, v10
	s_wait_alu 0xfffd
	v_add_co_ci_u32_e64 v196, null, s9, v11, vcc_lo
	v_add_co_u32 v14, vcc_lo, v0, 16
	v_add_co_u32 v197, s3, s10, v10
	v_lshlrev_b64_e32 v[8:9], 3, v[12:13]
	s_wait_alu 0xfffd
	v_add_co_ci_u32_e64 v10, null, 0, v7, vcc_lo
	v_add_co_u32 v12, vcc_lo, v0, 15
	s_wait_alu 0xfffd
	v_add_co_ci_u32_e64 v13, null, 0, v7, vcc_lo
	s_wait_alu 0xf1ff
	v_add_co_ci_u32_e64 v198, null, s11, v11, s3
	v_mul_lo_u32 v15, s7, v14
	v_mul_lo_u32 v16, s6, v10
	v_mad_co_u64_u32 v[10:11], null, s6, v14, 0
	v_mul_lo_u32 v14, s7, v12
	v_mul_lo_u32 v17, s6, v13
	v_mad_co_u64_u32 v[12:13], null, s6, v12, 0
	v_add_co_u32 v199, vcc_lo, s8, v8
	s_wait_alu 0xfffd
	v_add_co_ci_u32_e64 v200, null, s9, v9, vcc_lo
	v_add_co_u32 v201, vcc_lo, s10, v8
	s_wait_alu 0xfffd
	v_add_co_ci_u32_e64 v202, null, s11, v9, vcc_lo
	v_add3_u32 v13, v13, v17, v14
	v_add_co_u32 v14, vcc_lo, v0, 14
	v_add3_u32 v11, v11, v16, v15
	s_wait_alu 0xfffd
	v_add_co_ci_u32_e64 v15, null, 0, v7, vcc_lo
	s_delay_alu instid0(VALU_DEP_3) | instskip(NEXT) | instid1(VALU_DEP_3)
	v_mul_lo_u32 v16, s7, v14
	v_lshlrev_b64_e32 v[8:9], 3, v[10:11]
	v_lshlrev_b64_e32 v[10:11], 3, v[12:13]
	s_delay_alu instid0(VALU_DEP_4) | instskip(SKIP_1) | instid1(VALU_DEP_4)
	v_mul_lo_u32 v15, s6, v15
	v_mad_co_u64_u32 v[12:13], null, s6, v14, 0
	v_add_co_u32 v203, vcc_lo, s8, v8
	s_wait_alu 0xfffd
	v_add_co_ci_u32_e64 v204, null, s9, v9, vcc_lo
	v_add_co_u32 v205, vcc_lo, s10, v8
	s_delay_alu instid0(VALU_DEP_4)
	;; [unrolled: 45-line block ×4, first 2 shown]
	v_add3_u32 v13, v13, v15, v16
	s_wait_alu 0xfffd
	v_add_co_ci_u32_e64 v230, null, s11, v9, vcc_lo
	v_add_co_u32 v231, vcc_lo, s8, v10
	s_wait_alu 0xfffd
	v_add_co_ci_u32_e64 v232, null, s9, v11, vcc_lo
	v_add_co_u32 v14, vcc_lo, v0, 7
	v_add_co_u32 v233, s3, s10, v10
	v_lshlrev_b64_e32 v[8:9], 3, v[12:13]
	s_wait_alu 0xfffd
	v_add_co_ci_u32_e64 v10, null, 0, v7, vcc_lo
	v_add_co_u32 v12, vcc_lo, v0, 6
	s_wait_alu 0xfffd
	v_add_co_ci_u32_e64 v13, null, 0, v7, vcc_lo
	s_wait_alu 0xf1ff
	v_add_co_ci_u32_e64 v234, null, s11, v11, s3
	v_mul_lo_u32 v15, s7, v14
	v_mul_lo_u32 v16, s6, v10
	v_mad_co_u64_u32 v[10:11], null, s6, v14, 0
	v_mul_lo_u32 v14, s7, v12
	v_mul_lo_u32 v17, s6, v13
	v_mad_co_u64_u32 v[12:13], null, s6, v12, 0
	v_add_co_u32 v235, vcc_lo, s8, v8
	s_wait_alu 0xfffd
	v_add_co_ci_u32_e64 v236, null, s9, v9, vcc_lo
	v_add_co_u32 v237, vcc_lo, s10, v8
	v_add3_u32 v11, v11, v16, v15
	s_wait_alu 0xfffd
	v_add_co_ci_u32_e64 v238, null, s11, v9, vcc_lo
	v_add3_u32 v13, v13, v17, v14
	v_add_co_u32 v14, vcc_lo, v0, 5
	s_wait_alu 0xfffd
	v_add_co_ci_u32_e64 v15, null, 0, v7, vcc_lo
	v_lshlrev_b64_e32 v[8:9], 3, v[10:11]
	v_lshlrev_b64_e32 v[10:11], 3, v[12:13]
	v_mul_lo_u32 v16, s7, v14
	s_delay_alu instid0(VALU_DEP_4)
	v_mul_lo_u32 v15, s6, v15
	v_mad_co_u64_u32 v[12:13], null, s6, v14, 0
	v_add_co_u32 v239, vcc_lo, s8, v8
	s_wait_alu 0xfffd
	v_add_co_ci_u32_e64 v240, null, s9, v9, vcc_lo
	v_add_co_u32 v241, vcc_lo, s10, v8
	s_wait_alu 0xfffd
	v_add_co_ci_u32_e64 v242, null, s11, v9, vcc_lo
	v_add_co_u32 v243, vcc_lo, s8, v10
	v_add3_u32 v13, v13, v15, v16
	s_wait_alu 0xfffd
	v_add_co_ci_u32_e64 v244, null, s9, v11, vcc_lo
	v_add_co_u32 v14, vcc_lo, v0, 4
	v_add_co_u32 v245, s3, s10, v10
	s_wait_alu 0xfffd
	v_add_co_ci_u32_e64 v10, null, 0, v7, vcc_lo
	v_lshlrev_b64_e32 v[8:9], 3, v[12:13]
	v_add_co_u32 v12, vcc_lo, v0, 3
	s_wait_alu 0xfffd
	v_add_co_ci_u32_e64 v13, null, 0, v7, vcc_lo
	s_wait_alu 0xf1ff
	v_add_co_ci_u32_e64 v246, null, s11, v11, s3
	v_mul_lo_u32 v15, s7, v14
	v_mul_lo_u32 v16, s6, v10
	v_mad_co_u64_u32 v[10:11], null, s6, v14, 0
	v_mul_lo_u32 v14, s7, v12
	v_mul_lo_u32 v17, s6, v13
	v_mad_co_u64_u32 v[12:13], null, s6, v12, 0
	v_add_co_u32 v247, vcc_lo, s8, v8
	s_wait_alu 0xfffd
	v_add_co_ci_u32_e64 v248, null, s9, v9, vcc_lo
	v_add3_u32 v11, v11, v16, v15
	v_add_co_u32 v249, vcc_lo, s10, v8
	s_wait_alu 0xfffd
	v_add_co_ci_u32_e64 v250, null, s11, v9, vcc_lo
	v_add_co_u32 v0, vcc_lo, v0, 2
	v_add3_u32 v13, v13, v17, v14
	s_wait_alu 0xfffd
	v_add_co_ci_u32_e64 v7, null, 0, v7, vcc_lo
	v_lshlrev_b64_e32 v[8:9], 3, v[10:11]
	v_mad_co_u64_u32 v[14:15], null, s6, v0, 0
	v_lshlrev_b64_e32 v[10:11], 3, v[12:13]
	v_mul_lo_u32 v12, s7, v0
	v_mul_lo_u32 v7, s6, v7
	v_add_co_u32 v251, vcc_lo, s8, v8
	s_wait_alu 0xfffd
	v_add_co_ci_u32_e64 v252, null, s9, v9, vcc_lo
	v_add_co_u32 v253, vcc_lo, s10, v8
	s_wait_alu 0xfffd
	v_add_co_ci_u32_e64 v254, null, s11, v9, vcc_lo
	;; [unrolled: 3-line block ×3, first 2 shown]
	v_add3_u32 v15, v15, v7, v12
	v_add_co_u32 v138, vcc_lo, s10, v10
	s_wait_alu 0xfffd
	v_add_co_ci_u32_e64 v13, null, s11, v11, vcc_lo
	v_add_co_u32 v5, vcc_lo, v5, s6
	s_wait_alu 0xfffd
	v_add_co_ci_u32_e64 v6, null, s7, v6, vcc_lo
	v_lshlrev_b64_e32 v[7:8], 3, v[14:15]
	s_delay_alu instid0(VALU_DEP_2) | instskip(NEXT) | instid1(VALU_DEP_2)
	v_lshlrev_b64_e32 v[5:6], 3, v[5:6]
	v_add_co_u32 v14, vcc_lo, s8, v7
	s_wait_alu 0xfffd
	s_delay_alu instid0(VALU_DEP_3)
	v_add_co_ci_u32_e64 v15, null, s9, v8, vcc_lo
	v_add_co_u32 v16, vcc_lo, s10, v7
	s_wait_alu 0xfffd
	v_add_co_ci_u32_e64 v17, null, s11, v8, vcc_lo
	v_add_co_u32 v18, vcc_lo, s8, v5
	s_wait_alu 0xfffd
	;; [unrolled: 3-line block ×3, first 2 shown]
	v_add_co_ci_u32_e64 v21, null, s11, v6, vcc_lo
	s_branch .LBB130_5
.LBB130_3:                              ;   in Loop: Header=BB130_5 Depth=1
	s_wait_alu 0xfffe
	s_or_b32 exec_lo, exec_lo, s3
	scratch_load_b64 v[9:10], off, off th:TH_LOAD_LU ; 8-byte Folded Reload
	ds_bpermute_b32 v22, v2, v5 offset:12
	s_wait_loadcnt 0x0
	v_mul_f64_e32 v[7:8], v[7:8], v[9:10]
	ds_bpermute_b32 v9, v2, v5
	ds_bpermute_b32 v10, v2, v6
	s_wait_dscnt 0x0
	v_fma_f64 v[7:8], v[7:8], v[9:10], v[125:126]
	s_clause 0x1
	scratch_load_b64 v[9:10], off, off offset:16 th:TH_LOAD_LU
	scratch_load_b64 v[125:126], off, off offset:24 th:TH_LOAD_LU
	s_wait_loadcnt 0x0
	v_mul_f64_e32 v[9:10], v[9:10], v[125:126]
	ds_bpermute_b32 v125, v2, v5 offset:4
	ds_bpermute_b32 v126, v2, v6 offset:4
	s_wait_dscnt 0x0
	v_fma_f64 v[7:8], v[9:10], v[125:126], v[7:8]
	scratch_load_b64 v[9:10], off, off offset:8 th:TH_LOAD_LU ; 8-byte Folded Reload
	ds_bpermute_b32 v125, v2, v5 offset:8
	ds_bpermute_b32 v126, v2, v6 offset:8
	s_wait_loadcnt 0x0
	v_mul_f64_e32 v[9:10], v[9:10], v[11:12]
	ds_bpermute_b32 v11, v2, v5 offset:16
	ds_bpermute_b32 v12, v2, v6 offset:16
	s_wait_dscnt 0x2
	v_fma_f64 v[7:8], v[9:10], v[125:126], v[7:8]
	v_mul_f64_e32 v[9:10], v[135:136], v[23:24]
	ds_bpermute_b32 v23, v2, v6 offset:12
	s_wait_dscnt 0x0
	v_fma_f64 v[7:8], v[9:10], v[22:23], v[7:8]
	scratch_load_b64 v[9:10], off, off offset:32 th:TH_LOAD_LU ; 8-byte Folded Reload
	ds_bpermute_b32 v22, v2, v5 offset:60
	ds_bpermute_b32 v23, v2, v6 offset:60
	s_wait_loadcnt 0x0
	v_mul_f64_e32 v[9:10], v[9:10], v[25:26]
	s_delay_alu instid0(VALU_DEP_1)
	v_fma_f64 v[7:8], v[9:10], v[11:12], v[7:8]
	v_mul_f64_e32 v[9:10], v[29:30], v[31:32]
	ds_bpermute_b32 v11, v2, v5 offset:20
	ds_bpermute_b32 v12, v2, v6 offset:20
	s_wait_dscnt 0x0
	v_fma_f64 v[7:8], v[9:10], v[11:12], v[7:8]
	v_mul_f64_e32 v[9:10], v[27:28], v[33:34]
	ds_bpermute_b32 v11, v2, v5 offset:24
	ds_bpermute_b32 v12, v2, v6 offset:24
	s_wait_dscnt 0x0
	;; [unrolled: 5-line block ×10, first 2 shown]
	v_fma_f64 v[7:8], v[9:10], v[11:12], v[7:8]
	v_mul_f64_e32 v[9:10], v[69:70], v[71:72]
	v_mul_f64_e32 v[11:12], v[67:68], v[77:78]
	s_delay_alu instid0(VALU_DEP_2)
	v_fma_f64 v[7:8], v[9:10], v[22:23], v[7:8]
	ds_bpermute_b32 v9, v2, v5 offset:64
	ds_bpermute_b32 v10, v2, v6 offset:64
	v_mul_f64_e32 v[22:23], v[79:80], v[81:82]
	s_wait_dscnt 0x0
	v_fma_f64 v[7:8], v[11:12], v[9:10], v[7:8]
	ds_bpermute_b32 v9, v2, v5 offset:68
	ds_bpermute_b32 v10, v2, v6 offset:68
	v_mul_f64_e32 v[11:12], v[73:74], v[83:84]
	s_wait_dscnt 0x0
	;; [unrolled: 5-line block ×13, first 2 shown]
	v_fma_f64 v[7:8], v[11:12], v[9:10], v[7:8]
	ds_bpermute_b32 v9, v2, v5 offset:116
	ds_bpermute_b32 v10, v2, v6 offset:116
	;; [unrolled: 1-line block ×4, first 2 shown]
	s_wait_dscnt 0x2
	v_fma_f64 v[7:8], v[22:23], v[9:10], v[7:8]
	v_mul_f64_e32 v[9:10], v[127:128], v[133:134]
	s_wait_dscnt 0x0
	s_delay_alu instid0(VALU_DEP_1)
	v_fma_f64 v[9:10], v[9:10], v[11:12], v[7:8]
	ds_bpermute_b32 v7, v2, v5 offset:124
	ds_bpermute_b32 v8, v2, v6 offset:124
.LBB130_4:                              ;   in Loop: Header=BB130_5 Depth=1
	v_add_co_u32 v1, vcc_lo, v1, s22
	s_wait_alu 0xfffd
	v_add_co_ci_u32_e64 v140, null, s23, v140, vcc_lo
	v_add_co_u32 v141, vcc_lo, v141, s22
	s_wait_alu 0xfffd
	v_add_co_ci_u32_e64 v142, null, s23, v142, vcc_lo
	;; [unrolled: 3-line block ×48, first 2 shown]
	v_add_co_u32 v235, vcc_lo, v235, s22
	s_wait_dscnt 0x0
	v_fma_f64 v[125:126], v[75:76], v[7:8], v[9:10]
	s_wait_alu 0xfffd
	v_add_co_ci_u32_e64 v236, null, s23, v236, vcc_lo
	v_add_co_u32 v237, vcc_lo, v237, s22
	s_wait_alu 0xfffd
	v_add_co_ci_u32_e64 v238, null, s23, v238, vcc_lo
	v_add_co_u32 v239, vcc_lo, v239, s22
	;; [unrolled: 3-line block ×14, first 2 shown]
	s_add_nc_u64 s[26:27], s[26:27], s[20:21]
	s_wait_alu 0xfffd
	v_add_co_ci_u32_e64 v19, null, s23, v19, vcc_lo
	v_add_co_u32 v20, vcc_lo, v20, s22
	s_wait_alu 0xfffe
	v_cmp_lt_i64_e64 s3, s[26:27], s[4:5]
	s_wait_alu 0xfffd
	v_add_co_ci_u32_e64 v21, null, s23, v21, vcc_lo
	v_add_co_u32 v137, vcc_lo, v137, s20
	s_wait_alu 0xfffd
	v_add_co_ci_u32_e64 v139, null, 0, v139, vcc_lo
	s_and_b32 vcc_lo, exec_lo, s3
	s_add_nc_u64 s[24:25], s[24:25], s[20:21]
	s_wait_alu 0xfffe
	s_cbranch_vccz .LBB130_141
.LBB130_5:                              ; =>This Inner Loop Header: Depth=1
	s_add_nc_u64 s[30:31], s[14:15], s[24:25]
	v_add_co_u32 v5, vcc_lo, s14, v137
	s_wait_alu 0xfffe
	v_cmp_ge_i64_e64 s3, s[30:31], s[4:5]
	s_wait_alu 0xfffd
	v_add_co_ci_u32_e64 v6, null, 0, v139, vcc_lo
                                        ; implicit-def: $vgpr9_vgpr10
                                        ; implicit-def: $vgpr75_vgpr76
                                        ; implicit-def: $vgpr7
	s_and_b32 vcc_lo, exec_lo, s3
	s_mov_b32 s3, -1
	s_wait_alu 0xfffe
	s_cbranch_vccz .LBB130_73
; %bb.6:                                ;   in Loop: Header=BB130_5 Depth=1
	s_load_b32 s3, s[18:19], 0xc
	s_clause 0x1
	scratch_load_b32 v7, off, off offset:56
	scratch_load_b32 v8, off, off offset:60
	v_mov_b32_e32 v22, 0
	v_mov_b32_e32 v23, 0
	s_wait_kmcnt 0x0
	s_and_b32 s3, s3, 0xffff
	s_wait_loadcnt 0x0
	s_wait_alu 0xfffe
	v_mad_u32_u24 v7, v7, s3, v8
	s_mov_b32 s3, exec_lo
	s_delay_alu instid0(VALU_DEP_1) | instskip(NEXT) | instid1(VALU_DEP_1)
	v_and_b32_e32 v7, 31, v7
	v_add_co_u32 v11, vcc_lo, v5, v7
	v_mov_b32_e32 v7, 0
	s_wait_alu 0xfffd
	v_add_co_ci_u32_e64 v12, null, 0, v6, vcc_lo
	v_mov_b32_e32 v8, 0
	s_delay_alu instid0(VALU_DEP_2)
	v_cmpx_gt_i64_e64 s[4:5], v[11:12]
	s_cbranch_execz .LBB130_8
; %bb.7:                                ;   in Loop: Header=BB130_5 Depth=1
	v_lshlrev_b64_e32 v[7:8], 3, v[11:12]
	s_delay_alu instid0(VALU_DEP_1) | instskip(SKIP_1) | instid1(VALU_DEP_2)
	v_add_co_u32 v7, vcc_lo, s12, v7
	s_wait_alu 0xfffd
	v_add_co_ci_u32_e64 v8, null, s13, v8, vcc_lo
	global_load_b64 v[7:8], v[7:8], off
.LBB130_8:                              ;   in Loop: Header=BB130_5 Depth=1
	s_wait_alu 0xfffe
	s_or_b32 exec_lo, exec_lo, s3
	v_cmp_gt_i64_e32 vcc_lo, s[4:5], v[5:6]
	v_mov_b32_e32 v9, 0
	v_mov_b32_e32 v10, 0
	s_and_b32 s16, s2, vcc_lo
	scratch_store_b64 off, v[9:10], off     ; 8-byte Folded Spill
	s_and_saveexec_b32 s3, s16
	s_cbranch_execz .LBB130_10
; %bb.9:                                ;   in Loop: Header=BB130_5 Depth=1
	v_add_co_u32 v9, vcc_lo, v1, v3
	s_wait_alu 0xfffd
	v_add_co_ci_u32_e64 v10, null, v140, v4, vcc_lo
	v_add_co_u32 v11, vcc_lo, v141, v3
	s_wait_alu 0xfffd
	v_add_co_ci_u32_e64 v12, null, v142, v4, vcc_lo
	global_load_b64 v[22:23], v[9:10], off
	global_load_b64 v[9:10], v[11:12], off
	s_wait_loadcnt 0x0
	scratch_store_b64 off, v[9:10], off     ; 8-byte Folded Spill
.LBB130_10:                             ;   in Loop: Header=BB130_5 Depth=1
	s_wait_alu 0xfffe
	s_or_b32 exec_lo, exec_lo, s3
	v_add_co_u32 v9, vcc_lo, v5, 1
	s_wait_alu 0xfffd
	v_add_co_ci_u32_e64 v10, null, 0, v6, vcc_lo
	s_delay_alu instid0(VALU_DEP_1)
	v_cmp_gt_i64_e32 vcc_lo, s[4:5], v[9:10]
	v_mov_b32_e32 v9, 0
	v_mov_b32_e32 v10, 0
	s_and_b32 s16, s2, vcc_lo
	scratch_store_b64 off, v[9:10], off offset:8 ; 8-byte Folded Spill
	v_mov_b32_e32 v9, 0
	v_mov_b32_e32 v10, 0
	scratch_store_b64 off, v[9:10], off offset:16 ; 8-byte Folded Spill
	v_mov_b32_e32 v9, 0
	v_mov_b32_e32 v10, 0
	scratch_store_b64 off, v[9:10], off offset:24 ; 8-byte Folded Spill
	s_and_saveexec_b32 s3, s16
	s_cbranch_execz .LBB130_12
; %bb.11:                               ;   in Loop: Header=BB130_5 Depth=1
	v_add_co_u32 v9, vcc_lo, v18, v3
	s_wait_alu 0xfffd
	v_add_co_ci_u32_e64 v10, null, v19, v4, vcc_lo
	v_add_co_u32 v11, vcc_lo, v20, v3
	s_wait_alu 0xfffd
	v_add_co_ci_u32_e64 v12, null, v21, v4, vcc_lo
	global_load_b64 v[9:10], v[9:10], off
	s_wait_loadcnt 0x0
	scratch_store_b64 off, v[9:10], off offset:16 ; 8-byte Folded Spill
	global_load_b64 v[9:10], v[11:12], off
	s_wait_loadcnt 0x0
	scratch_store_b64 off, v[9:10], off offset:24 ; 8-byte Folded Spill
.LBB130_12:                             ;   in Loop: Header=BB130_5 Depth=1
	s_wait_alu 0xfffe
	s_or_b32 exec_lo, exec_lo, s3
	v_add_co_u32 v9, vcc_lo, v5, 2
	s_wait_alu 0xfffd
	v_add_co_ci_u32_e64 v10, null, 0, v6, vcc_lo
	v_mov_b32_e32 v11, 0
	v_mov_b32_e32 v12, 0
	s_delay_alu instid0(VALU_DEP_3) | instskip(SKIP_1) | instid1(SALU_CYCLE_1)
	v_cmp_gt_i64_e32 vcc_lo, s[4:5], v[9:10]
	s_and_b32 s16, s2, vcc_lo
	s_and_saveexec_b32 s3, s16
	s_cbranch_execz .LBB130_14
; %bb.13:                               ;   in Loop: Header=BB130_5 Depth=1
	v_add_co_u32 v9, vcc_lo, v14, v3
	s_wait_alu 0xfffd
	v_add_co_ci_u32_e64 v10, null, v15, v4, vcc_lo
	v_add_co_u32 v11, vcc_lo, v16, v3
	s_wait_alu 0xfffd
	v_add_co_ci_u32_e64 v12, null, v17, v4, vcc_lo
	global_load_b64 v[9:10], v[9:10], off
	global_load_b64 v[11:12], v[11:12], off
	s_wait_loadcnt 0x1
	scratch_store_b64 off, v[9:10], off offset:8 ; 8-byte Folded Spill
.LBB130_14:                             ;   in Loop: Header=BB130_5 Depth=1
	s_wait_alu 0xfffe
	s_or_b32 exec_lo, exec_lo, s3
	v_add_co_u32 v9, vcc_lo, v5, 3
	s_wait_alu 0xfffd
	v_add_co_ci_u32_e64 v10, null, 0, v6, vcc_lo
	s_delay_alu instid0(VALU_DEP_1)
	v_cmp_gt_i64_e32 vcc_lo, s[4:5], v[9:10]
	v_mov_b32_e32 v9, 0
	v_mov_b32_e32 v10, 0
	s_and_b32 s16, s2, vcc_lo
	scratch_store_b64 off, v[9:10], off offset:32 ; 8-byte Folded Spill
	v_mov_b32_e32 v9, 0
	v_mov_b32_e32 v10, 0
	scratch_store_b64 off, v[9:10], off offset:40 ; 8-byte Folded Spill
	v_mov_b32_e32 v9, 0
	v_mov_b32_e32 v10, 0
	scratch_store_b64 off, v[9:10], off offset:48 ; 8-byte Folded Spill
	s_and_saveexec_b32 s3, s16
	s_cbranch_execz .LBB130_16
; %bb.15:                               ;   in Loop: Header=BB130_5 Depth=1
	v_dual_mov_b32 v9, v22 :: v_dual_mov_b32 v10, v23
	v_add_co_u32 v22, vcc_lo, v255, v3
	s_wait_alu 0xfffd
	v_add_co_ci_u32_e64 v23, null, v0, v4, vcc_lo
	v_add_co_u32 v25, vcc_lo, v138, v3
	s_wait_alu 0xfffd
	v_add_co_ci_u32_e64 v26, null, v13, v4, vcc_lo
	global_load_b64 v[22:23], v[22:23], off
	s_wait_loadcnt 0x0
	scratch_store_b64 off, v[22:23], off offset:40 ; 8-byte Folded Spill
	v_dual_mov_b32 v23, v10 :: v_dual_mov_b32 v22, v9
	global_load_b64 v[9:10], v[25:26], off
	s_wait_loadcnt 0x0
	scratch_store_b64 off, v[9:10], off offset:48 ; 8-byte Folded Spill
.LBB130_16:                             ;   in Loop: Header=BB130_5 Depth=1
	s_wait_alu 0xfffe
	s_or_b32 exec_lo, exec_lo, s3
	v_add_co_u32 v27, vcc_lo, v5, 4
	s_wait_alu 0xfffd
	v_add_co_ci_u32_e64 v28, null, 0, v6, vcc_lo
	s_delay_alu instid0(VALU_DEP_1) | instskip(SKIP_3) | instid1(SALU_CYCLE_1)
	v_cmp_gt_i64_e32 vcc_lo, s[4:5], v[27:28]
	v_mov_b32_e32 v27, 0
	v_mov_b32_e32 v28, 0
	s_and_b32 s16, s2, vcc_lo
	s_and_saveexec_b32 s3, s16
	s_cbranch_execz .LBB130_18
; %bb.17:                               ;   in Loop: Header=BB130_5 Depth=1
	v_add_co_u32 v9, vcc_lo, v251, v3
	s_wait_alu 0xfffd
	v_add_co_ci_u32_e64 v10, null, v252, v4, vcc_lo
	v_add_co_u32 v27, vcc_lo, v253, v3
	s_wait_alu 0xfffd
	v_add_co_ci_u32_e64 v28, null, v254, v4, vcc_lo
	global_load_b64 v[9:10], v[9:10], off
	global_load_b64 v[27:28], v[27:28], off
	s_wait_loadcnt 0x1
	scratch_store_b64 off, v[9:10], off offset:32 ; 8-byte Folded Spill
.LBB130_18:                             ;   in Loop: Header=BB130_5 Depth=1
	s_wait_alu 0xfffe
	s_or_b32 exec_lo, exec_lo, s3
	v_add_co_u32 v29, vcc_lo, v5, 5
	s_wait_alu 0xfffd
	v_add_co_ci_u32_e64 v30, null, 0, v6, vcc_lo
	v_mov_b32_e32 v33, 0
	v_dual_mov_b32 v34, 0 :: v_dual_mov_b32 v31, 0
	s_delay_alu instid0(VALU_DEP_3) | instskip(SKIP_3) | instid1(SALU_CYCLE_1)
	v_cmp_gt_i64_e32 vcc_lo, s[4:5], v[29:30]
	v_dual_mov_b32 v29, 0 :: v_dual_mov_b32 v32, 0
	v_mov_b32_e32 v30, 0
	s_and_b32 s16, s2, vcc_lo
	s_and_saveexec_b32 s3, s16
	s_cbranch_execz .LBB130_20
; %bb.19:                               ;   in Loop: Header=BB130_5 Depth=1
	v_add_co_u32 v31, vcc_lo, v247, v3
	s_wait_alu 0xfffd
	v_add_co_ci_u32_e64 v32, null, v248, v4, vcc_lo
	v_add_co_u32 v33, vcc_lo, v249, v3
	s_wait_alu 0xfffd
	v_add_co_ci_u32_e64 v34, null, v250, v4, vcc_lo
	global_load_b64 v[31:32], v[31:32], off
	global_load_b64 v[33:34], v[33:34], off
.LBB130_20:                             ;   in Loop: Header=BB130_5 Depth=1
	s_wait_alu 0xfffe
	s_or_b32 exec_lo, exec_lo, s3
	v_add_co_u32 v35, vcc_lo, v5, 6
	s_wait_alu 0xfffd
	v_add_co_ci_u32_e64 v36, null, 0, v6, vcc_lo
	s_delay_alu instid0(VALU_DEP_1) | instskip(SKIP_3) | instid1(SALU_CYCLE_1)
	v_cmp_gt_i64_e32 vcc_lo, s[4:5], v[35:36]
	v_mov_b32_e32 v35, 0
	v_mov_b32_e32 v36, 0
	s_and_b32 s16, s2, vcc_lo
	s_and_saveexec_b32 s3, s16
	s_cbranch_execz .LBB130_22
; %bb.21:                               ;   in Loop: Header=BB130_5 Depth=1
	v_add_co_u32 v29, vcc_lo, v243, v3
	s_wait_alu 0xfffd
	v_add_co_ci_u32_e64 v30, null, v244, v4, vcc_lo
	v_add_co_u32 v35, vcc_lo, v245, v3
	s_wait_alu 0xfffd
	v_add_co_ci_u32_e64 v36, null, v246, v4, vcc_lo
	global_load_b64 v[29:30], v[29:30], off
	global_load_b64 v[35:36], v[35:36], off
.LBB130_22:                             ;   in Loop: Header=BB130_5 Depth=1
	s_wait_alu 0xfffe
	s_or_b32 exec_lo, exec_lo, s3
	v_add_co_u32 v37, vcc_lo, v5, 7
	s_wait_alu 0xfffd
	v_add_co_ci_u32_e64 v38, null, 0, v6, vcc_lo
	v_mov_b32_e32 v41, 0
	v_dual_mov_b32 v42, 0 :: v_dual_mov_b32 v39, 0
	s_delay_alu instid0(VALU_DEP_3) | instskip(SKIP_3) | instid1(SALU_CYCLE_1)
	v_cmp_gt_i64_e32 vcc_lo, s[4:5], v[37:38]
	v_dual_mov_b32 v37, 0 :: v_dual_mov_b32 v40, 0
	v_mov_b32_e32 v38, 0
	s_and_b32 s16, s2, vcc_lo
	s_and_saveexec_b32 s3, s16
	s_cbranch_execz .LBB130_24
; %bb.23:                               ;   in Loop: Header=BB130_5 Depth=1
	v_add_co_u32 v39, vcc_lo, v239, v3
	s_wait_alu 0xfffd
	v_add_co_ci_u32_e64 v40, null, v240, v4, vcc_lo
	v_add_co_u32 v41, vcc_lo, v241, v3
	s_wait_alu 0xfffd
	v_add_co_ci_u32_e64 v42, null, v242, v4, vcc_lo
	global_load_b64 v[39:40], v[39:40], off
	global_load_b64 v[41:42], v[41:42], off
.LBB130_24:                             ;   in Loop: Header=BB130_5 Depth=1
	s_wait_alu 0xfffe
	s_or_b32 exec_lo, exec_lo, s3
	v_add_co_u32 v43, vcc_lo, v5, 8
	s_wait_alu 0xfffd
	v_add_co_ci_u32_e64 v44, null, 0, v6, vcc_lo
	s_delay_alu instid0(VALU_DEP_1) | instskip(SKIP_3) | instid1(SALU_CYCLE_1)
	v_cmp_gt_i64_e32 vcc_lo, s[4:5], v[43:44]
	v_mov_b32_e32 v43, 0
	v_mov_b32_e32 v44, 0
	s_and_b32 s16, s2, vcc_lo
	s_and_saveexec_b32 s3, s16
	s_cbranch_execz .LBB130_26
; %bb.25:                               ;   in Loop: Header=BB130_5 Depth=1
	v_add_co_u32 v37, vcc_lo, v235, v3
	s_wait_alu 0xfffd
	v_add_co_ci_u32_e64 v38, null, v236, v4, vcc_lo
	v_add_co_u32 v43, vcc_lo, v237, v3
	s_wait_alu 0xfffd
	v_add_co_ci_u32_e64 v44, null, v238, v4, vcc_lo
	global_load_b64 v[37:38], v[37:38], off
	global_load_b64 v[43:44], v[43:44], off
.LBB130_26:                             ;   in Loop: Header=BB130_5 Depth=1
	;; [unrolled: 46-line block ×5, first 2 shown]
	s_wait_alu 0xfffe
	s_or_b32 exec_lo, exec_lo, s3
	v_add_co_u32 v69, vcc_lo, v5, 15
	s_wait_alu 0xfffd
	v_add_co_ci_u32_e64 v70, null, 0, v6, vcc_lo
	v_mov_b32_e32 v73, 0
	v_dual_mov_b32 v74, 0 :: v_dual_mov_b32 v71, 0
	s_delay_alu instid0(VALU_DEP_3) | instskip(SKIP_3) | instid1(SALU_CYCLE_1)
	v_cmp_gt_i64_e32 vcc_lo, s[4:5], v[69:70]
	v_dual_mov_b32 v69, 0 :: v_dual_mov_b32 v72, 0
	v_mov_b32_e32 v70, 0
	s_and_b32 s16, s2, vcc_lo
	s_and_saveexec_b32 s3, s16
	s_cbranch_execz .LBB130_40
; %bb.39:                               ;   in Loop: Header=BB130_5 Depth=1
	v_add_co_u32 v71, vcc_lo, v207, v3
	s_wait_alu 0xfffd
	v_add_co_ci_u32_e64 v72, null, v208, v4, vcc_lo
	v_add_co_u32 v73, vcc_lo, v209, v3
	s_wait_alu 0xfffd
	v_add_co_ci_u32_e64 v74, null, v210, v4, vcc_lo
	global_load_b64 v[71:72], v[71:72], off
	global_load_b64 v[73:74], v[73:74], off
.LBB130_40:                             ;   in Loop: Header=BB130_5 Depth=1
	s_wait_alu 0xfffe
	s_or_b32 exec_lo, exec_lo, s3
	v_add_co_u32 v75, vcc_lo, v5, 16
	s_wait_alu 0xfffd
	v_add_co_ci_u32_e64 v76, null, 0, v6, vcc_lo
	v_mov_b32_e32 v77, 0
	v_mov_b32_e32 v78, 0
	s_delay_alu instid0(VALU_DEP_3) | instskip(SKIP_1) | instid1(SALU_CYCLE_1)
	v_cmp_gt_i64_e32 vcc_lo, s[4:5], v[75:76]
	s_and_b32 s16, s2, vcc_lo
	s_and_saveexec_b32 s3, s16
	s_cbranch_execz .LBB130_42
; %bb.41:                               ;   in Loop: Header=BB130_5 Depth=1
	v_add_co_u32 v69, vcc_lo, v203, v3
	s_wait_alu 0xfffd
	v_add_co_ci_u32_e64 v70, null, v204, v4, vcc_lo
	v_add_co_u32 v75, vcc_lo, v205, v3
	s_wait_alu 0xfffd
	v_add_co_ci_u32_e64 v76, null, v206, v4, vcc_lo
	global_load_b64 v[69:70], v[69:70], off
	global_load_b64 v[77:78], v[75:76], off
.LBB130_42:                             ;   in Loop: Header=BB130_5 Depth=1
	s_wait_alu 0xfffe
	s_or_b32 exec_lo, exec_lo, s3
	v_add_co_u32 v75, vcc_lo, v5, 17
	s_wait_alu 0xfffd
	v_add_co_ci_u32_e64 v76, null, 0, v6, vcc_lo
	v_mov_b32_e32 v79, 0
	v_dual_mov_b32 v80, 0 :: v_dual_mov_b32 v81, 0
	s_delay_alu instid0(VALU_DEP_3) | instskip(SKIP_3) | instid1(SALU_CYCLE_1)
	v_cmp_gt_i64_e32 vcc_lo, s[4:5], v[75:76]
	v_dual_mov_b32 v83, 0 :: v_dual_mov_b32 v82, 0
	v_mov_b32_e32 v84, 0
	s_and_b32 s16, s2, vcc_lo
	s_and_saveexec_b32 s3, s16
	s_cbranch_execz .LBB130_44
; %bb.43:                               ;   in Loop: Header=BB130_5 Depth=1
	v_add_co_u32 v75, vcc_lo, v199, v3
	s_wait_alu 0xfffd
	v_add_co_ci_u32_e64 v76, null, v200, v4, vcc_lo
	v_add_co_u32 v83, vcc_lo, v201, v3
	s_wait_alu 0xfffd
	v_add_co_ci_u32_e64 v84, null, v202, v4, vcc_lo
	global_load_b64 v[81:82], v[75:76], off
	global_load_b64 v[83:84], v[83:84], off
.LBB130_44:                             ;   in Loop: Header=BB130_5 Depth=1
	s_wait_alu 0xfffe
	s_or_b32 exec_lo, exec_lo, s3
	v_add_co_u32 v75, vcc_lo, v5, 18
	s_wait_alu 0xfffd
	v_add_co_ci_u32_e64 v76, null, 0, v6, vcc_lo
	v_mov_b32_e32 v85, 0
	v_mov_b32_e32 v86, 0
	s_delay_alu instid0(VALU_DEP_3) | instskip(SKIP_1) | instid1(SALU_CYCLE_1)
	v_cmp_gt_i64_e32 vcc_lo, s[4:5], v[75:76]
	s_and_b32 s16, s2, vcc_lo
	s_and_saveexec_b32 s3, s16
	s_cbranch_execz .LBB130_46
; %bb.45:                               ;   in Loop: Header=BB130_5 Depth=1
	v_add_co_u32 v75, vcc_lo, v195, v3
	s_wait_alu 0xfffd
	v_add_co_ci_u32_e64 v76, null, v196, v4, vcc_lo
	v_add_co_u32 v85, vcc_lo, v197, v3
	s_wait_alu 0xfffd
	v_add_co_ci_u32_e64 v86, null, v198, v4, vcc_lo
	global_load_b64 v[79:80], v[75:76], off
	global_load_b64 v[85:86], v[85:86], off
.LBB130_46:                             ;   in Loop: Header=BB130_5 Depth=1
	;; [unrolled: 46-line block ×8, first 2 shown]
	s_wait_alu 0xfffe
	s_or_b32 exec_lo, exec_lo, s3
	v_add_co_u32 v75, vcc_lo, v5, 31
	s_wait_alu 0xfffd
	v_add_co_ci_u32_e64 v76, null, 0, v6, vcc_lo
	s_wait_loadcnt 0x0
	v_dual_mov_b32 v25, v12 :: v_dual_mov_b32 v24, v11
	s_delay_alu instid0(VALU_DEP_2) | instskip(SKIP_3) | instid1(SALU_CYCLE_1)
	v_cmp_gt_i64_e32 vcc_lo, s[4:5], v[75:76]
	v_mov_b32_e32 v75, 0
	v_mov_b32_e32 v76, 0
	s_and_b32 s16, s2, vcc_lo
	s_and_saveexec_b32 s3, s16
	s_cbranch_execz .LBB130_72
; %bb.71:                               ;   in Loop: Header=BB130_5 Depth=1
	v_add_co_u32 v75, vcc_lo, v143, v3
	s_wait_alu 0xfffd
	v_add_co_ci_u32_e64 v76, null, v144, v4, vcc_lo
	v_add_co_u32 v11, vcc_lo, v145, v3
	s_wait_alu 0xfffd
	v_add_co_ci_u32_e64 v12, null, v146, v4, vcc_lo
	global_load_b64 v[75:76], v[75:76], off
	global_load_b64 v[11:12], v[11:12], off
	s_wait_loadcnt 0x0
	v_mul_f64_e32 v[75:76], v[75:76], v[11:12]
.LBB130_72:                             ;   in Loop: Header=BB130_5 Depth=1
	s_wait_alu 0xfffe
	s_or_b32 exec_lo, exec_lo, s3
	scratch_load_b64 v[9:10], off, off th:TH_LOAD_LU ; 8-byte Folded Reload
	s_mov_b32 s3, 0
	s_wait_loadcnt 0x0
	v_mul_f64_e32 v[11:12], v[22:23], v[9:10]
	s_clause 0x1
	scratch_load_b64 v[9:10], off, off offset:16 th:TH_LOAD_LU
	scratch_load_b64 v[22:23], off, off offset:24 th:TH_LOAD_LU
	s_wait_loadcnt 0x0
	v_mul_f64_e32 v[9:10], v[9:10], v[22:23]
	ds_bpermute_b32 v22, v2, v7
	ds_bpermute_b32 v23, v2, v8
	s_wait_dscnt 0x0
	v_fma_f64 v[11:12], v[11:12], v[22:23], v[125:126]
	ds_bpermute_b32 v22, v2, v7 offset:4
	ds_bpermute_b32 v23, v2, v8 offset:4
	s_wait_dscnt 0x0
	v_fma_f64 v[9:10], v[9:10], v[22:23], v[11:12]
	scratch_load_b64 v[11:12], off, off offset:8 th:TH_LOAD_LU ; 8-byte Folded Reload
	ds_bpermute_b32 v22, v2, v7 offset:8
	ds_bpermute_b32 v23, v2, v8 offset:8
	s_wait_loadcnt 0x0
	v_mul_f64_e32 v[11:12], v[11:12], v[24:25]
	v_mul_f64_e32 v[24:25], v[81:82], v[83:84]
	s_wait_dscnt 0x0
	s_delay_alu instid0(VALU_DEP_2)
	v_fma_f64 v[9:10], v[11:12], v[22:23], v[9:10]
	s_clause 0x1
	scratch_load_b64 v[11:12], off, off offset:40 th:TH_LOAD_LU
	scratch_load_b64 v[22:23], off, off offset:48 th:TH_LOAD_LU
	s_wait_loadcnt 0x0
	v_mul_f64_e32 v[11:12], v[11:12], v[22:23]
	ds_bpermute_b32 v22, v2, v7 offset:12
	ds_bpermute_b32 v23, v2, v8 offset:12
	s_wait_dscnt 0x0
	v_fma_f64 v[9:10], v[11:12], v[22:23], v[9:10]
	scratch_load_b64 v[11:12], off, off offset:32 th:TH_LOAD_LU ; 8-byte Folded Reload
	ds_bpermute_b32 v22, v2, v7 offset:16
	ds_bpermute_b32 v23, v2, v8 offset:16
	s_wait_loadcnt 0x0
	v_mul_f64_e32 v[11:12], v[11:12], v[27:28]
	s_wait_dscnt 0x0
	s_delay_alu instid0(VALU_DEP_1)
	v_fma_f64 v[9:10], v[11:12], v[22:23], v[9:10]
	v_mul_f64_e32 v[11:12], v[31:32], v[33:34]
	ds_bpermute_b32 v22, v2, v7 offset:20
	ds_bpermute_b32 v23, v2, v8 offset:20
	s_wait_dscnt 0x0
	v_fma_f64 v[9:10], v[11:12], v[22:23], v[9:10]
	v_mul_f64_e32 v[11:12], v[29:30], v[35:36]
	ds_bpermute_b32 v22, v2, v7 offset:24
	ds_bpermute_b32 v23, v2, v8 offset:24
	s_wait_dscnt 0x0
	;; [unrolled: 5-line block ×12, first 2 shown]
	v_fma_f64 v[9:10], v[11:12], v[22:23], v[9:10]
	ds_bpermute_b32 v11, v2, v7 offset:68
	ds_bpermute_b32 v12, v2, v8 offset:68
	v_mul_f64_e32 v[22:23], v[79:80], v[85:86]
	s_wait_dscnt 0x0
	v_fma_f64 v[9:10], v[24:25], v[11:12], v[9:10]
	ds_bpermute_b32 v11, v2, v7 offset:72
	ds_bpermute_b32 v12, v2, v8 offset:72
	v_mul_f64_e32 v[24:25], v[89:90], v[91:92]
	s_wait_dscnt 0x0
	;; [unrolled: 5-line block ×12, first 2 shown]
	v_fma_f64 v[9:10], v[22:23], v[11:12], v[9:10]
	ds_bpermute_b32 v11, v2, v7 offset:116
	ds_bpermute_b32 v12, v2, v8 offset:116
	;; [unrolled: 1-line block ×6, first 2 shown]
	s_wait_dscnt 0x4
	v_fma_f64 v[9:10], v[24:25], v[11:12], v[9:10]
	v_mul_f64_e32 v[11:12], v[129:130], v[135:136]
	s_wait_dscnt 0x2
	s_delay_alu instid0(VALU_DEP_1)
	v_fma_f64 v[9:10], v[11:12], v[22:23], v[9:10]
.LBB130_73:                             ;   in Loop: Header=BB130_5 Depth=1
	s_wait_alu 0xfffe
	s_and_b32 vcc_lo, exec_lo, s3
	s_wait_alu 0xfffe
	s_cbranch_vccz .LBB130_4
; %bb.74:                               ;   in Loop: Header=BB130_5 Depth=1
	s_load_b32 s3, s[18:19], 0x0
	s_wait_kmcnt 0x0
	s_cmp_lt_u32 ttmp9, s3
	s_cselect_b32 s16, 12, 18
	s_delay_alu instid0(SALU_CYCLE_1)
	s_add_nc_u64 s[30:31], s[18:19], s[16:17]
	s_load_u16 s3, s[30:31], 0x0
	s_wait_dscnt 0x1
	scratch_load_b32 v7, off, off offset:56 ; 4-byte Folded Reload
	s_wait_dscnt 0x0
	scratch_load_b32 v8, off, off offset:60 ; 4-byte Folded Reload
	s_wait_loadcnt 0x0
	s_wait_kmcnt 0x0
	v_mad_u32_u24 v7, v7, s3, v8
	s_mov_b32 s3, exec_lo
	s_delay_alu instid0(VALU_DEP_1) | instskip(NEXT) | instid1(VALU_DEP_1)
	v_and_b32_e32 v7, 31, v7
	v_add_co_u32 v9, vcc_lo, v5, v7
	v_mov_b32_e32 v7, 0
	s_wait_alu 0xfffd
	v_add_co_ci_u32_e64 v10, null, 0, v6, vcc_lo
	v_dual_mov_b32 v8, 0 :: v_dual_mov_b32 v5, 0
	v_mov_b32_e32 v6, 0
	s_delay_alu instid0(VALU_DEP_3)
	v_cmpx_gt_i64_e64 s[4:5], v[9:10]
	s_cbranch_execz .LBB130_76
; %bb.75:                               ;   in Loop: Header=BB130_5 Depth=1
	v_lshlrev_b64_e32 v[5:6], 3, v[9:10]
	s_delay_alu instid0(VALU_DEP_1) | instskip(SKIP_1) | instid1(VALU_DEP_2)
	v_add_co_u32 v5, vcc_lo, s12, v5
	s_wait_alu 0xfffd
	v_add_co_ci_u32_e64 v6, null, s13, v6, vcc_lo
	global_load_b64 v[5:6], v[5:6], off
.LBB130_76:                             ;   in Loop: Header=BB130_5 Depth=1
	s_wait_alu 0xfffe
	s_or_b32 exec_lo, exec_lo, s3
	v_mov_b32_e32 v9, 0
	v_mov_b32_e32 v10, 0
	scratch_store_b64 off, v[9:10], off     ; 8-byte Folded Spill
	s_and_saveexec_b32 s3, s2
	s_cbranch_execz .LBB130_78
; %bb.77:                               ;   in Loop: Header=BB130_5 Depth=1
	v_add_co_u32 v7, vcc_lo, v1, v3
	s_wait_alu 0xfffd
	v_add_co_ci_u32_e64 v8, null, v140, v4, vcc_lo
	v_add_co_u32 v9, vcc_lo, v141, v3
	s_wait_alu 0xfffd
	v_add_co_ci_u32_e64 v10, null, v142, v4, vcc_lo
	global_load_b64 v[7:8], v[7:8], off
	global_load_b64 v[9:10], v[9:10], off
	s_wait_loadcnt 0x0
	scratch_store_b64 off, v[9:10], off     ; 8-byte Folded Spill
.LBB130_78:                             ;   in Loop: Header=BB130_5 Depth=1
	s_wait_alu 0xfffe
	s_or_b32 exec_lo, exec_lo, s3
	v_mov_b32_e32 v9, 0
	v_mov_b32_e32 v10, 0
	scratch_store_b64 off, v[9:10], off offset:8 ; 8-byte Folded Spill
	v_mov_b32_e32 v9, 0
	v_mov_b32_e32 v10, 0
	scratch_store_b64 off, v[9:10], off offset:16 ; 8-byte Folded Spill
	;; [unrolled: 3-line block ×3, first 2 shown]
	s_and_saveexec_b32 s3, s2
	s_cbranch_execz .LBB130_80
; %bb.79:                               ;   in Loop: Header=BB130_5 Depth=1
	v_dual_mov_b32 v12, v8 :: v_dual_mov_b32 v11, v7
	v_add_co_u32 v7, vcc_lo, v18, v3
	s_wait_alu 0xfffd
	v_add_co_ci_u32_e64 v8, null, v19, v4, vcc_lo
	v_add_co_u32 v9, vcc_lo, v20, v3
	s_wait_alu 0xfffd
	v_add_co_ci_u32_e64 v10, null, v21, v4, vcc_lo
	global_load_b64 v[7:8], v[7:8], off
	global_load_b64 v[9:10], v[9:10], off
	s_wait_loadcnt 0x1
	scratch_store_b64 off, v[7:8], off offset:16 ; 8-byte Folded Spill
	v_dual_mov_b32 v7, v11 :: v_dual_mov_b32 v8, v12
	s_wait_loadcnt 0x0
	scratch_store_b64 off, v[9:10], off offset:24 ; 8-byte Folded Spill
.LBB130_80:                             ;   in Loop: Header=BB130_5 Depth=1
	s_wait_alu 0xfffe
	s_or_b32 exec_lo, exec_lo, s3
	v_mov_b32_e32 v9, 0
	v_mov_b32_e32 v10, 0
	s_and_saveexec_b32 s3, s2
	s_cbranch_execz .LBB130_82
; %bb.81:                               ;   in Loop: Header=BB130_5 Depth=1
	v_add_co_u32 v9, vcc_lo, v14, v3
	s_wait_alu 0xfffd
	v_add_co_ci_u32_e64 v10, null, v15, v4, vcc_lo
	v_add_co_u32 v11, vcc_lo, v16, v3
	s_wait_alu 0xfffd
	v_add_co_ci_u32_e64 v12, null, v17, v4, vcc_lo
	global_load_b64 v[9:10], v[9:10], off
	s_wait_loadcnt 0x0
	scratch_store_b64 off, v[9:10], off offset:8 ; 8-byte Folded Spill
	global_load_b64 v[9:10], v[11:12], off
.LBB130_82:                             ;   in Loop: Header=BB130_5 Depth=1
	s_wait_alu 0xfffe
	s_or_b32 exec_lo, exec_lo, s3
	v_mov_b32_e32 v11, 0
	v_dual_mov_b32 v12, 0 :: v_dual_mov_b32 v135, 0
	v_dual_mov_b32 v23, 0 :: v_dual_mov_b32 v136, 0
	v_mov_b32_e32 v24, 0
	scratch_store_b64 off, v[11:12], off offset:32 ; 8-byte Folded Spill
	s_and_saveexec_b32 s3, s2
	s_cbranch_execz .LBB130_84
; %bb.83:                               ;   in Loop: Header=BB130_5 Depth=1
	v_add_co_u32 v22, vcc_lo, v255, v3
	s_wait_alu 0xfffd
	v_add_co_ci_u32_e64 v23, null, v0, v4, vcc_lo
	v_add_co_u32 v24, vcc_lo, v138, v3
	s_wait_alu 0xfffd
	v_add_co_ci_u32_e64 v25, null, v13, v4, vcc_lo
	global_load_b64 v[135:136], v[22:23], off
	global_load_b64 v[23:24], v[24:25], off
.LBB130_84:                             ;   in Loop: Header=BB130_5 Depth=1
	s_wait_alu 0xfffe
	s_or_b32 exec_lo, exec_lo, s3
	v_mov_b32_e32 v25, 0
	v_mov_b32_e32 v26, 0
	s_and_saveexec_b32 s3, s2
	s_cbranch_execz .LBB130_86
; %bb.85:                               ;   in Loop: Header=BB130_5 Depth=1
	v_add_co_u32 v11, vcc_lo, v251, v3
	s_wait_alu 0xfffd
	v_add_co_ci_u32_e64 v12, null, v252, v4, vcc_lo
	v_add_co_u32 v25, vcc_lo, v253, v3
	s_wait_alu 0xfffd
	v_add_co_ci_u32_e64 v26, null, v254, v4, vcc_lo
	global_load_b64 v[11:12], v[11:12], off
	global_load_b64 v[25:26], v[25:26], off
	s_wait_loadcnt 0x1
	scratch_store_b64 off, v[11:12], off offset:32 ; 8-byte Folded Spill
.LBB130_86:                             ;   in Loop: Header=BB130_5 Depth=1
	s_wait_alu 0xfffe
	s_or_b32 exec_lo, exec_lo, s3
	v_mov_b32_e32 v27, 0
	v_dual_mov_b32 v28, 0 :: v_dual_mov_b32 v29, 0
	v_dual_mov_b32 v31, 0 :: v_dual_mov_b32 v30, 0
	v_mov_b32_e32 v32, 0
	s_and_saveexec_b32 s3, s2
	s_cbranch_execz .LBB130_88
; %bb.87:                               ;   in Loop: Header=BB130_5 Depth=1
	v_add_co_u32 v29, vcc_lo, v247, v3
	s_wait_alu 0xfffd
	v_add_co_ci_u32_e64 v30, null, v248, v4, vcc_lo
	v_add_co_u32 v31, vcc_lo, v249, v3
	s_wait_alu 0xfffd
	v_add_co_ci_u32_e64 v32, null, v250, v4, vcc_lo
	global_load_b64 v[29:30], v[29:30], off
	global_load_b64 v[31:32], v[31:32], off
.LBB130_88:                             ;   in Loop: Header=BB130_5 Depth=1
	s_wait_alu 0xfffe
	s_or_b32 exec_lo, exec_lo, s3
	v_mov_b32_e32 v33, 0
	v_mov_b32_e32 v34, 0
	s_and_saveexec_b32 s3, s2
	s_cbranch_execz .LBB130_90
; %bb.89:                               ;   in Loop: Header=BB130_5 Depth=1
	v_add_co_u32 v27, vcc_lo, v243, v3
	s_wait_alu 0xfffd
	v_add_co_ci_u32_e64 v28, null, v244, v4, vcc_lo
	v_add_co_u32 v33, vcc_lo, v245, v3
	s_wait_alu 0xfffd
	v_add_co_ci_u32_e64 v34, null, v246, v4, vcc_lo
	global_load_b64 v[27:28], v[27:28], off
	global_load_b64 v[33:34], v[33:34], off
.LBB130_90:                             ;   in Loop: Header=BB130_5 Depth=1
	s_wait_alu 0xfffe
	s_or_b32 exec_lo, exec_lo, s3
	v_mov_b32_e32 v35, 0
	v_dual_mov_b32 v36, 0 :: v_dual_mov_b32 v37, 0
	v_dual_mov_b32 v39, 0 :: v_dual_mov_b32 v38, 0
	v_mov_b32_e32 v40, 0
	s_and_saveexec_b32 s3, s2
	s_cbranch_execz .LBB130_92
; %bb.91:                               ;   in Loop: Header=BB130_5 Depth=1
	v_add_co_u32 v37, vcc_lo, v239, v3
	s_wait_alu 0xfffd
	v_add_co_ci_u32_e64 v38, null, v240, v4, vcc_lo
	v_add_co_u32 v39, vcc_lo, v241, v3
	s_wait_alu 0xfffd
	v_add_co_ci_u32_e64 v40, null, v242, v4, vcc_lo
	global_load_b64 v[37:38], v[37:38], off
	global_load_b64 v[39:40], v[39:40], off
.LBB130_92:                             ;   in Loop: Header=BB130_5 Depth=1
	s_wait_alu 0xfffe
	s_or_b32 exec_lo, exec_lo, s3
	v_mov_b32_e32 v41, 0
	v_mov_b32_e32 v42, 0
	s_and_saveexec_b32 s3, s2
	s_cbranch_execz .LBB130_94
; %bb.93:                               ;   in Loop: Header=BB130_5 Depth=1
	v_add_co_u32 v35, vcc_lo, v235, v3
	s_wait_alu 0xfffd
	v_add_co_ci_u32_e64 v36, null, v236, v4, vcc_lo
	v_add_co_u32 v41, vcc_lo, v237, v3
	s_wait_alu 0xfffd
	v_add_co_ci_u32_e64 v42, null, v238, v4, vcc_lo
	global_load_b64 v[35:36], v[35:36], off
	global_load_b64 v[41:42], v[41:42], off
.LBB130_94:                             ;   in Loop: Header=BB130_5 Depth=1
	;; [unrolled: 34-line block ×3, first 2 shown]
	s_wait_alu 0xfffe
	s_or_b32 exec_lo, exec_lo, s3
	v_mov_b32_e32 v51, 0
	v_dual_mov_b32 v52, 0 :: v_dual_mov_b32 v53, 0
	v_dual_mov_b32 v55, 0 :: v_dual_mov_b32 v54, 0
	v_mov_b32_e32 v56, 0
	s_and_saveexec_b32 s3, s2
	s_cbranch_execz .LBB130_100
; %bb.99:                               ;   in Loop: Header=BB130_5 Depth=1
	v_add_co_u32 v53, vcc_lo, v223, v3
	s_wait_alu 0xfffd
	v_add_co_ci_u32_e64 v54, null, v224, v4, vcc_lo
	v_add_co_u32 v55, vcc_lo, v225, v3
	s_wait_alu 0xfffd
	v_add_co_ci_u32_e64 v56, null, v226, v4, vcc_lo
	global_load_b64 v[53:54], v[53:54], off
	global_load_b64 v[55:56], v[55:56], off
.LBB130_100:                            ;   in Loop: Header=BB130_5 Depth=1
	s_wait_alu 0xfffe
	s_or_b32 exec_lo, exec_lo, s3
	v_mov_b32_e32 v57, 0
	v_mov_b32_e32 v58, 0
	s_and_saveexec_b32 s3, s2
	s_cbranch_execz .LBB130_102
; %bb.101:                              ;   in Loop: Header=BB130_5 Depth=1
	v_add_co_u32 v51, vcc_lo, v219, v3
	s_wait_alu 0xfffd
	v_add_co_ci_u32_e64 v52, null, v220, v4, vcc_lo
	v_add_co_u32 v57, vcc_lo, v221, v3
	s_wait_alu 0xfffd
	v_add_co_ci_u32_e64 v58, null, v222, v4, vcc_lo
	global_load_b64 v[51:52], v[51:52], off
	global_load_b64 v[57:58], v[57:58], off
.LBB130_102:                            ;   in Loop: Header=BB130_5 Depth=1
	s_wait_alu 0xfffe
	s_or_b32 exec_lo, exec_lo, s3
	v_mov_b32_e32 v59, 0
	v_dual_mov_b32 v60, 0 :: v_dual_mov_b32 v61, 0
	v_dual_mov_b32 v63, 0 :: v_dual_mov_b32 v62, 0
	v_mov_b32_e32 v64, 0
	s_and_saveexec_b32 s3, s2
	s_cbranch_execz .LBB130_104
; %bb.103:                              ;   in Loop: Header=BB130_5 Depth=1
	v_add_co_u32 v61, vcc_lo, v215, v3
	s_wait_alu 0xfffd
	v_add_co_ci_u32_e64 v62, null, v216, v4, vcc_lo
	v_add_co_u32 v63, vcc_lo, v217, v3
	s_wait_alu 0xfffd
	v_add_co_ci_u32_e64 v64, null, v218, v4, vcc_lo
	global_load_b64 v[61:62], v[61:62], off
	global_load_b64 v[63:64], v[63:64], off
.LBB130_104:                            ;   in Loop: Header=BB130_5 Depth=1
	s_wait_alu 0xfffe
	s_or_b32 exec_lo, exec_lo, s3
	v_mov_b32_e32 v65, 0
	v_mov_b32_e32 v66, 0
	s_and_saveexec_b32 s3, s2
	s_cbranch_execz .LBB130_106
; %bb.105:                              ;   in Loop: Header=BB130_5 Depth=1
	v_add_co_u32 v59, vcc_lo, v211, v3
	s_wait_alu 0xfffd
	v_add_co_ci_u32_e64 v60, null, v212, v4, vcc_lo
	v_add_co_u32 v65, vcc_lo, v213, v3
	s_wait_alu 0xfffd
	v_add_co_ci_u32_e64 v66, null, v214, v4, vcc_lo
	global_load_b64 v[59:60], v[59:60], off
	global_load_b64 v[65:66], v[65:66], off
.LBB130_106:                            ;   in Loop: Header=BB130_5 Depth=1
	s_wait_alu 0xfffe
	s_or_b32 exec_lo, exec_lo, s3
	v_mov_b32_e32 v67, 0
	v_dual_mov_b32 v68, 0 :: v_dual_mov_b32 v69, 0
	v_dual_mov_b32 v71, 0 :: v_dual_mov_b32 v70, 0
	v_mov_b32_e32 v72, 0
	s_and_saveexec_b32 s3, s2
	s_cbranch_execz .LBB130_108
; %bb.107:                              ;   in Loop: Header=BB130_5 Depth=1
	v_add_co_u32 v69, vcc_lo, v207, v3
	s_wait_alu 0xfffd
	v_add_co_ci_u32_e64 v70, null, v208, v4, vcc_lo
	v_add_co_u32 v71, vcc_lo, v209, v3
	s_wait_alu 0xfffd
	v_add_co_ci_u32_e64 v72, null, v210, v4, vcc_lo
	global_load_b64 v[69:70], v[69:70], off
	global_load_b64 v[71:72], v[71:72], off
.LBB130_108:                            ;   in Loop: Header=BB130_5 Depth=1
	;; [unrolled: 34-line block ×9, first 2 shown]
	s_wait_alu 0xfffe
	s_or_b32 exec_lo, exec_lo, s3
	v_mov_b32_e32 v133, 0
	v_mov_b32_e32 v134, 0
	s_and_saveexec_b32 s3, s2
	s_cbranch_execz .LBB130_138
; %bb.137:                              ;   in Loop: Header=BB130_5 Depth=1
	v_add_co_u32 v75, vcc_lo, v147, v3
	s_wait_alu 0xfffd
	v_add_co_ci_u32_e64 v76, null, v148, v4, vcc_lo
	v_add_co_u32 v133, vcc_lo, v149, v3
	s_wait_alu 0xfffd
	v_add_co_ci_u32_e64 v134, null, v150, v4, vcc_lo
	global_load_b64 v[127:128], v[75:76], off
	global_load_b64 v[133:134], v[133:134], off
.LBB130_138:                            ;   in Loop: Header=BB130_5 Depth=1
	s_wait_alu 0xfffe
	s_or_b32 exec_lo, exec_lo, s3
	s_wait_loadcnt 0x0
	v_dual_mov_b32 v75, 0 :: v_dual_mov_b32 v12, v10
	v_dual_mov_b32 v11, v9 :: v_dual_mov_b32 v76, 0
	s_and_saveexec_b32 s3, s2
	s_cbranch_execz .LBB130_3
; %bb.139:                              ;   in Loop: Header=BB130_5 Depth=1
	v_add_co_u32 v75, vcc_lo, v143, v3
	s_wait_alu 0xfffd
	v_add_co_ci_u32_e64 v76, null, v144, v4, vcc_lo
	v_dual_mov_b32 v10, v8 :: v_dual_mov_b32 v9, v7
	v_add_co_u32 v7, vcc_lo, v145, v3
	s_wait_alu 0xfffd
	v_add_co_ci_u32_e64 v8, null, v146, v4, vcc_lo
	global_load_b64 v[75:76], v[75:76], off
	global_load_b64 v[7:8], v[7:8], off
	s_wait_loadcnt 0x0
	v_mul_f64_e32 v[75:76], v[75:76], v[7:8]
	v_dual_mov_b32 v7, v9 :: v_dual_mov_b32 v8, v10
	s_branch .LBB130_3
.LBB130_140:
                                        ; implicit-def: $vgpr125_vgpr126
	s_load_b64 s[2:3], s[0:1], 0x30
	s_branch .LBB130_143
.LBB130_141:
	scratch_load_b32 v0, off, off offset:584 ; 4-byte Folded Reload
.LBB130_142:
	s_load_b64 s[2:3], s[0:1], 0x30
	s_cbranch_execnz .LBB130_220
.LBB130_143:
	v_mov_b32_e32 v125, 0
	v_mov_b32_e32 v126, 0
	s_and_not1_b32 vcc_lo, exec_lo, s29
	s_wait_alu 0xfffe
	s_cbranch_vccnz .LBB130_220
; %bb.144:
	s_wait_loadcnt 0x0
	v_bfe_u32 v1, v0, 10, 10
	s_lshl_b64 s[16:17], s[14:15], 3
	s_mov_b64 s[20:21], 31
	s_mov_b64 s[22:23], s[14:15]
	v_mov_b32_e32 v198, v0
	v_lshlrev_b32_e32 v2, 5, v1
	scratch_store_b32 off, v1, off offset:576 ; 4-byte Folded Spill
	v_lshlrev_b32_e32 v1, 8, v1
	scratch_store_b32 off, v198, off offset:584 ; 4-byte Folded Spill
	v_add_co_u32 v139, s18, v2, s14
	v_add_co_u32 v121, s16, v1, s16
	s_wait_alu 0xf1ff
	v_add_co_ci_u32_e64 v122, null, 0, s17, s16
	v_add_co_ci_u32_e64 v133, null, 0, 0, s18
	s_delay_alu instid0(VALU_DEP_3) | instskip(SKIP_1) | instid1(VALU_DEP_3)
	v_add_co_u32 v9, vcc_lo, v121, 8
	s_wait_alu 0xfffd
	v_add_co_ci_u32_e64 v5, null, 0, v122, vcc_lo
	v_add_co_u32 v13, vcc_lo, v121, 16
	v_mul_lo_u32 v3, s7, v139
	s_delay_alu instid0(VALU_DEP_3)
	v_mul_lo_u32 v16, s6, v5
	s_wait_alu 0xfffd
	v_add_co_ci_u32_e64 v5, null, 0, v122, vcc_lo
	v_add_co_u32 v17, vcc_lo, v121, 24
	s_wait_alu 0xfffd
	v_add_co_ci_u32_e64 v7, null, 0, v122, vcc_lo
	v_add_co_u32 v21, vcc_lo, v121, 32
	v_mul_lo_u32 v4, s6, v133
	v_mad_co_u64_u32 v[125:126], null, s6, v139, 0
	s_wait_alu 0xfffd
	v_add_co_ci_u32_e64 v10, null, 0, v122, vcc_lo
	v_add_co_u32 v23, vcc_lo, v121, 40
	s_wait_alu 0xfffd
	v_add_co_ci_u32_e64 v14, null, 0, v122, vcc_lo
	scratch_store_b32 off, v2, off          ; 4-byte Folded Spill
	v_mad_co_u64_u32 v[1:2], null, s6, v9, s[8:9]
	v_mul_lo_u32 v15, s7, v9
	v_mul_lo_u32 v24, s6, v10
	v_mad_co_u64_u32 v[9:10], null, s6, v9, s[10:11]
	v_add3_u32 v126, v126, v4, v3
	v_mad_co_u64_u32 v[3:4], null, s6, v13, s[8:9]
	v_mul_lo_u32 v18, s6, v5
	v_mul_lo_u32 v19, s7, v13
	;; [unrolled: 1-line block ×3, first 2 shown]
	v_mad_co_u64_u32 v[13:14], null, s6, v13, s[10:11]
	v_add3_u32 v2, v15, v2, v16
	v_mad_co_u64_u32 v[5:6], null, s6, v17, s[8:9]
	v_mul_lo_u32 v20, s6, v7
	v_mul_lo_u32 v22, s7, v17
	v_add3_u32 v10, v15, v10, v16
	v_mad_co_u64_u32 v[15:16], null, s6, v17, s[10:11]
	v_mad_co_u64_u32 v[7:8], null, s6, v21, s[8:9]
	v_mul_lo_u32 v25, s7, v21
	v_add3_u32 v4, v19, v4, v18
	v_add3_u32 v14, v19, v14, v18
	v_mad_co_u64_u32 v[17:18], null, s6, v21, s[10:11]
	v_add_co_u32 v28, vcc_lo, v121, 48
	v_mad_co_u64_u32 v[11:12], null, s6, v23, s[8:9]
	v_mul_lo_u32 v27, s7, v23
	v_add3_u32 v6, v22, v6, v20
	v_add3_u32 v16, v22, v16, v20
	v_mad_co_u64_u32 v[21:22], null, s6, v23, s[10:11]
	s_wait_alu 0xfffd
	v_add_co_ci_u32_e64 v29, null, 0, v122, vcc_lo
	v_mad_co_u64_u32 v[19:20], null, s6, v28, s[8:9]
	v_add3_u32 v8, v25, v8, v24
	v_add3_u32 v18, v25, v18, v24
	v_mul_lo_u32 v30, s7, v28
	v_mad_co_u64_u32 v[23:24], null, s6, v28, s[10:11]
	v_add_co_u32 v28, vcc_lo, v121, 56
	s_wait_alu 0xfffd
	v_add_co_ci_u32_e64 v31, null, 0, v122, vcc_lo
	v_add_co_u32 v33, vcc_lo, v121, 64
	s_wait_alu 0xfffd
	v_add_co_ci_u32_e64 v34, null, 0, v122, vcc_lo
	v_mul_lo_u32 v29, s6, v29
	v_add3_u32 v12, v27, v12, v26
	v_add3_u32 v22, v27, v22, v26
	v_mad_co_u64_u32 v[25:26], null, s6, v28, s[8:9]
	v_mul_lo_u32 v31, s6, v31
	v_mul_lo_u32 v32, s7, v28
	v_mad_co_u64_u32 v[27:28], null, s6, v28, s[10:11]
	v_add_co_u32 v35, vcc_lo, 0x48, v121
	v_mul_lo_u32 v37, s6, v34
	s_wait_alu 0xfffd
	v_add_co_ci_u32_e64 v34, null, 0, v122, vcc_lo
	v_add_co_u32 v41, vcc_lo, 0x50, v121
	s_wait_alu 0xfffd
	v_add_co_ci_u32_e64 v42, null, 0, v122, vcc_lo
	v_add3_u32 v20, v30, v20, v29
	v_add3_u32 v24, v30, v24, v29
	;; [unrolled: 1-line block ×4, first 2 shown]
	v_mul_lo_u32 v38, s7, v33
	v_mad_co_u64_u32 v[29:30], null, s6, v33, s[8:9]
	v_mad_co_u64_u32 v[31:32], null, s6, v33, s[10:11]
	v_mul_lo_u32 v39, s6, v34
	v_mul_lo_u32 v40, s7, v35
	v_mad_co_u64_u32 v[33:34], null, s6, v35, s[8:9]
	v_mad_co_u64_u32 v[35:36], null, s6, v35, s[10:11]
	v_add_co_u32 v43, vcc_lo, 0x58, v121
	v_mul_lo_u32 v45, s6, v42
	s_wait_alu 0xfffd
	v_add_co_ci_u32_e64 v42, null, 0, v122, vcc_lo
	v_add_co_u32 v49, vcc_lo, 0x60, v121
	s_wait_alu 0xfffd
	v_add_co_ci_u32_e64 v50, null, 0, v122, vcc_lo
	v_add3_u32 v30, v38, v30, v37
	v_add3_u32 v32, v38, v32, v37
	;; [unrolled: 1-line block ×4, first 2 shown]
	v_mul_lo_u32 v46, s7, v41
	v_mad_co_u64_u32 v[37:38], null, s6, v41, s[8:9]
	v_mad_co_u64_u32 v[39:40], null, s6, v41, s[10:11]
	v_mul_lo_u32 v47, s6, v42
	v_mul_lo_u32 v48, s7, v43
	v_mad_co_u64_u32 v[41:42], null, s6, v43, s[8:9]
	v_mad_co_u64_u32 v[43:44], null, s6, v43, s[10:11]
	v_add_co_u32 v51, vcc_lo, 0x68, v121
	v_mul_lo_u32 v53, s6, v50
	s_wait_alu 0xfffd
	v_add_co_ci_u32_e64 v50, null, 0, v122, vcc_lo
	v_add3_u32 v38, v46, v38, v45
	v_add3_u32 v40, v46, v40, v45
	;; [unrolled: 1-line block ×4, first 2 shown]
	v_mul_lo_u32 v54, s7, v49
	v_mad_co_u64_u32 v[45:46], null, s6, v49, s[8:9]
	v_mad_co_u64_u32 v[47:48], null, s6, v49, s[10:11]
	v_mul_lo_u32 v55, s6, v50
	v_mul_lo_u32 v56, s7, v51
	v_mad_co_u64_u32 v[49:50], null, s6, v51, s[8:9]
	v_mad_co_u64_u32 v[51:52], null, s6, v51, s[10:11]
	v_add_co_u32 v57, vcc_lo, 0x70, v121
	s_wait_alu 0xfffd
	v_add_co_ci_u32_e64 v58, null, 0, v122, vcc_lo
	v_add3_u32 v46, v54, v46, v53
	v_add3_u32 v48, v54, v48, v53
	;; [unrolled: 1-line block ×4, first 2 shown]
	v_mul_lo_u32 v58, s6, v58
	v_mul_lo_u32 v59, s7, v57
	v_mad_co_u64_u32 v[53:54], null, s6, v57, s[8:9]
	v_mad_co_u64_u32 v[55:56], null, s6, v57, s[10:11]
	s_add_nc_u64 s[16:17], s[0:1], 64
	v_add3_u32 v54, v59, v54, v58
	v_add3_u32 v56, v59, v56, v58
	v_add_co_u32 v59, vcc_lo, 0x78, v121
	s_wait_alu 0xfffd
	v_add_co_ci_u32_e64 v57, null, 0, v122, vcc_lo
	v_add_co_u32 v63, vcc_lo, 0x80, v121
	s_delay_alu instid0(VALU_DEP_3) | instskip(NEXT) | instid1(VALU_DEP_3)
	v_mul_lo_u32 v62, s7, v59
	v_mul_lo_u32 v61, s6, v57
	v_mad_co_u64_u32 v[57:58], null, s6, v59, s[8:9]
	v_mad_co_u64_u32 v[59:60], null, s6, v59, s[10:11]
	v_mul_lo_u32 v66, s7, v63
	s_delay_alu instid0(VALU_DEP_3) | instskip(NEXT) | instid1(VALU_DEP_3)
	v_add3_u32 v58, v62, v58, v61
	v_add3_u32 v60, v62, v60, v61
	s_wait_alu 0xfffd
	v_add_co_ci_u32_e64 v61, null, 0, v122, vcc_lo
	v_add_co_u32 v67, vcc_lo, 0x88, v121
	s_delay_alu instid0(VALU_DEP_2) | instskip(SKIP_2) | instid1(VALU_DEP_4)
	v_mul_lo_u32 v65, s6, v61
	v_mad_co_u64_u32 v[61:62], null, s6, v63, s[8:9]
	v_mad_co_u64_u32 v[63:64], null, s6, v63, s[10:11]
	v_mul_lo_u32 v70, s7, v67
	s_delay_alu instid0(VALU_DEP_3) | instskip(NEXT) | instid1(VALU_DEP_3)
	v_add3_u32 v62, v66, v62, v65
	v_add3_u32 v64, v66, v64, v65
	s_wait_alu 0xfffd
	v_add_co_ci_u32_e64 v65, null, 0, v122, vcc_lo
	v_add_co_u32 v71, vcc_lo, 0x90, v121
	s_delay_alu instid0(VALU_DEP_2) | instskip(SKIP_2) | instid1(VALU_DEP_4)
	;; [unrolled: 11-line block ×14, first 2 shown]
	v_mul_lo_u32 v117, s6, v113
	v_mad_co_u64_u32 v[113:114], null, s6, v115, s[8:9]
	v_mad_co_u64_u32 v[115:116], null, s6, v115, s[10:11]
	v_mul_lo_u32 v124, s7, v119
	s_delay_alu instid0(VALU_DEP_3) | instskip(NEXT) | instid1(VALU_DEP_3)
	v_add3_u32 v114, v118, v114, v117
	v_add3_u32 v116, v118, v116, v117
	s_wait_alu 0xfffd
	v_add_co_ci_u32_e64 v117, null, 0, v122, vcc_lo
	s_delay_alu instid0(VALU_DEP_1) | instskip(SKIP_2) | instid1(VALU_DEP_2)
	v_mul_lo_u32 v123, s6, v117
	v_mad_co_u64_u32 v[117:118], null, s6, v119, s[8:9]
	v_mad_co_u64_u32 v[119:120], null, s6, v119, s[10:11]
	v_add3_u32 v118, v124, v118, v123
	s_delay_alu instid0(VALU_DEP_2) | instskip(SKIP_3) | instid1(VALU_DEP_2)
	v_add3_u32 v120, v124, v120, v123
	v_add_co_u32 v123, vcc_lo, 0xf8, v121
	s_wait_alu 0xfffd
	v_add_co_ci_u32_e64 v121, null, 0, v122, vcc_lo
	v_mul_lo_u32 v128, s7, v123
	s_delay_alu instid0(VALU_DEP_2) | instskip(SKIP_2) | instid1(VALU_DEP_2)
	v_mul_lo_u32 v127, s6, v121
	v_mad_co_u64_u32 v[121:122], null, s6, v123, s[8:9]
	v_mad_co_u64_u32 v[123:124], null, s6, v123, s[10:11]
	v_add3_u32 v122, v128, v122, v127
	s_delay_alu instid0(VALU_DEP_2) | instskip(SKIP_3) | instid1(VALU_DEP_2)
	v_add3_u32 v124, v128, v124, v127
	v_add_co_u32 v127, vcc_lo, v139, 31
	s_wait_alu 0xfffd
	v_add_co_ci_u32_e64 v128, null, 0, v133, vcc_lo
	v_mul_lo_u32 v130, s7, v127
	s_delay_alu instid0(VALU_DEP_2) | instskip(SKIP_1) | instid1(VALU_DEP_1)
	v_mul_lo_u32 v129, s6, v128
	v_mad_co_u64_u32 v[127:128], null, s6, v127, 0
	v_add3_u32 v128, v128, v129, v130
	v_add_co_u32 v129, vcc_lo, v139, 30
	s_wait_alu 0xfffd
	v_add_co_ci_u32_e64 v130, null, 0, v133, vcc_lo
	s_delay_alu instid0(VALU_DEP_2) | instskip(NEXT) | instid1(VALU_DEP_2)
	v_mul_lo_u32 v132, s7, v129
	v_mul_lo_u32 v131, s6, v130
	v_mad_co_u64_u32 v[129:130], null, s6, v129, 0
	s_delay_alu instid0(VALU_DEP_1) | instskip(SKIP_3) | instid1(VALU_DEP_2)
	v_add3_u32 v130, v130, v131, v132
	v_add_co_u32 v131, vcc_lo, v139, 29
	s_wait_alu 0xfffd
	v_add_co_ci_u32_e64 v132, null, 0, v133, vcc_lo
	v_mul_lo_u32 v135, s7, v131
	s_delay_alu instid0(VALU_DEP_2) | instskip(SKIP_1) | instid1(VALU_DEP_1)
	v_mul_lo_u32 v134, s6, v132
	v_mad_co_u64_u32 v[131:132], null, s6, v131, 0
	v_add3_u32 v132, v132, v134, v135
	v_add_co_u32 v134, vcc_lo, v139, 28
	s_wait_alu 0xfffd
	v_add_co_ci_u32_e64 v135, null, 0, v133, vcc_lo
	s_delay_alu instid0(VALU_DEP_2) | instskip(NEXT) | instid1(VALU_DEP_2)
	v_mul_lo_u32 v137, s7, v134
	v_mul_lo_u32 v136, s6, v135
	v_mad_co_u64_u32 v[134:135], null, s6, v134, 0
	s_delay_alu instid0(VALU_DEP_1) | instskip(SKIP_3) | instid1(VALU_DEP_2)
	v_add3_u32 v135, v135, v136, v137
	v_add_co_u32 v136, vcc_lo, v139, 27
	s_wait_alu 0xfffd
	v_add_co_ci_u32_e64 v137, null, 0, v133, vcc_lo
	v_mul_lo_u32 v138, s7, v136
	v_mad_co_u64_u32 v[140:141], null, s6, v136, 0
	s_delay_alu instid0(VALU_DEP_3) | instskip(SKIP_1) | instid1(VALU_DEP_1)
	v_mul_lo_u32 v137, s6, v137
	v_add_co_u32 v136, vcc_lo, v139, 26
	v_mad_co_u64_u32 v[142:143], null, s6, v136, 0
	s_delay_alu instid0(VALU_DEP_3) | instskip(SKIP_4) | instid1(VALU_DEP_3)
	v_add3_u32 v141, v141, v137, v138
	s_wait_alu 0xfffd
	v_add_co_ci_u32_e64 v137, null, 0, v133, vcc_lo
	v_mul_lo_u32 v138, s7, v136
	v_add_co_u32 v136, vcc_lo, v139, 25
	v_mul_lo_u32 v137, s6, v137
	s_delay_alu instid0(VALU_DEP_2) | instskip(NEXT) | instid1(VALU_DEP_2)
	v_mad_co_u64_u32 v[144:145], null, s6, v136, 0
	v_add3_u32 v143, v143, v137, v138
	s_wait_alu 0xfffd
	v_add_co_ci_u32_e64 v137, null, 0, v133, vcc_lo
	v_mul_lo_u32 v138, s7, v136
	v_add_co_u32 v136, vcc_lo, v139, 24
	s_delay_alu instid0(VALU_DEP_3) | instskip(NEXT) | instid1(VALU_DEP_2)
	v_mul_lo_u32 v137, s6, v137
	v_mad_co_u64_u32 v[146:147], null, s6, v136, 0
	s_delay_alu instid0(VALU_DEP_2) | instskip(SKIP_4) | instid1(VALU_DEP_3)
	v_add3_u32 v145, v145, v137, v138
	s_wait_alu 0xfffd
	v_add_co_ci_u32_e64 v137, null, 0, v133, vcc_lo
	v_mul_lo_u32 v138, s7, v136
	v_add_co_u32 v136, vcc_lo, v139, 23
	v_mul_lo_u32 v137, s6, v137
	s_delay_alu instid0(VALU_DEP_2) | instskip(NEXT) | instid1(VALU_DEP_2)
	v_mad_co_u64_u32 v[148:149], null, s6, v136, 0
	v_add3_u32 v147, v147, v137, v138
	s_wait_alu 0xfffd
	v_add_co_ci_u32_e64 v137, null, 0, v133, vcc_lo
	v_mul_lo_u32 v138, s7, v136
	v_add_co_u32 v136, vcc_lo, v139, 22
	s_delay_alu instid0(VALU_DEP_3) | instskip(NEXT) | instid1(VALU_DEP_2)
	v_mul_lo_u32 v137, s6, v137
	v_mad_co_u64_u32 v[150:151], null, s6, v136, 0
	s_delay_alu instid0(VALU_DEP_2) | instskip(SKIP_4) | instid1(VALU_DEP_3)
	;; [unrolled: 17-line block ×11, first 2 shown]
	v_add3_u32 v185, v185, v137, v138
	s_wait_alu 0xfffd
	v_add_co_ci_u32_e64 v137, null, 0, v133, vcc_lo
	v_mul_lo_u32 v138, s7, v136
	v_add_co_u32 v136, vcc_lo, v139, 3
	v_mul_lo_u32 v137, s6, v137
	s_delay_alu instid0(VALU_DEP_2) | instskip(NEXT) | instid1(VALU_DEP_2)
	v_mad_co_u64_u32 v[190:191], null, s6, v136, 0
	v_add3_u32 v187, v187, v137, v138
	s_wait_alu 0xfffd
	v_add_co_ci_u32_e64 v137, null, 0, v133, vcc_lo
	v_add_co_u32 v0, vcc_lo, v139, 2
	s_wait_alu 0xfffd
	v_add_co_ci_u32_e64 v133, null, 0, v133, vcc_lo
	v_mul_lo_u32 v138, s7, v136
	s_delay_alu instid0(VALU_DEP_3) | instskip(SKIP_1) | instid1(VALU_DEP_4)
	v_mul_lo_u32 v136, s7, v0
	v_mad_co_u64_u32 v[194:195], null, s6, v0, 0
	v_mul_lo_u32 v133, s6, v133
	v_add_co_u32 v200, vcc_lo, v125, s6
	v_mul_lo_u32 v137, s6, v137
	s_wait_alu 0xfffd
	v_add_co_ci_u32_e64 v201, null, s7, v126, vcc_lo
	v_lshlrev_b64_e32 v[125:126], 3, v[125:126]
	v_add3_u32 v195, v195, v133, v136
	s_delay_alu instid0(VALU_DEP_4) | instskip(NEXT) | instid1(VALU_DEP_3)
	v_add3_u32 v191, v191, v137, v138
	v_add_co_u32 v136, vcc_lo, s8, v125
	s_wait_alu 0xfffd
	s_delay_alu instid0(VALU_DEP_4)
	v_add_co_ci_u32_e64 v137, null, s9, v126, vcc_lo
	v_add_co_u32 v138, vcc_lo, s10, v125
	s_wait_alu 0xfffd
	v_add_co_ci_u32_e64 v139, null, s11, v126, vcc_lo
	v_lshlrev_b64_e32 v[125:126], 3, v[127:128]
	v_mov_b32_e32 v127, 0
	s_delay_alu instid0(VALU_DEP_2)
	v_add_co_u32 v0, vcc_lo, s8, v125
	scratch_store_b32 off, v0, off offset:8 ; 4-byte Folded Spill
	s_wait_alu 0xfffd
	v_add_co_ci_u32_e64 v0, null, s9, v126, vcc_lo
	scratch_store_b32 off, v0, off offset:16 ; 4-byte Folded Spill
	v_add_co_u32 v0, vcc_lo, s10, v125
	scratch_store_b32 off, v0, off offset:24 ; 4-byte Folded Spill
	s_wait_alu 0xfffd
	v_add_co_ci_u32_e64 v0, null, s11, v126, vcc_lo
	v_lshlrev_b64_e32 v[125:126], 3, v[129:130]
	scratch_store_b32 off, v0, off offset:32 ; 4-byte Folded Spill
	v_add_co_u32 v0, vcc_lo, s8, v125
	scratch_store_b32 off, v0, off offset:40 ; 4-byte Folded Spill
	s_wait_alu 0xfffd
	v_add_co_ci_u32_e64 v0, null, s9, v126, vcc_lo
	scratch_store_b32 off, v0, off offset:48 ; 4-byte Folded Spill
	v_add_co_u32 v0, vcc_lo, s10, v125
	scratch_store_b32 off, v0, off offset:56 ; 4-byte Folded Spill
	s_wait_alu 0xfffd
	v_add_co_ci_u32_e64 v0, null, s11, v126, vcc_lo
	v_lshlrev_b64_e32 v[125:126], 3, v[131:132]
	scratch_store_b32 off, v0, off offset:60 ; 4-byte Folded Spill
	;; [unrolled: 11-line block ×5, first 2 shown]
	v_add_co_u32 v0, vcc_lo, s8, v125
	scratch_store_b32 off, v0, off offset:112 ; 4-byte Folded Spill
	s_wait_alu 0xfffd
	v_add_co_ci_u32_e64 v0, null, s9, v126, vcc_lo
	scratch_store_b32 off, v0, off offset:116 ; 4-byte Folded Spill
	v_add_co_u32 v0, vcc_lo, s10, v125
	scratch_store_b32 off, v0, off offset:120 ; 4-byte Folded Spill
	s_wait_alu 0xfffd
	v_add_co_ci_u32_e64 v0, null, s11, v126, vcc_lo
	v_lshlrev_b64_e32 v[125:126], 3, v[144:145]
	v_mov_b32_e32 v144, v127
	scratch_store_b32 off, v0, off offset:124 ; 4-byte Folded Spill
	v_add_co_u32 v0, vcc_lo, s8, v125
	scratch_store_b32 off, v0, off offset:128 ; 4-byte Folded Spill
	s_wait_alu 0xfffd
	v_add_co_ci_u32_e64 v0, null, s9, v126, vcc_lo
	scratch_store_b32 off, v0, off offset:132 ; 4-byte Folded Spill
	v_add_co_u32 v0, vcc_lo, s10, v125
	scratch_store_b32 off, v0, off offset:136 ; 4-byte Folded Spill
	s_wait_alu 0xfffd
	v_add_co_ci_u32_e64 v0, null, s11, v126, vcc_lo
	v_lshlrev_b64_e32 v[125:126], 3, v[146:147]
	scratch_store_b32 off, v0, off offset:140 ; 4-byte Folded Spill
	v_add_co_u32 v0, vcc_lo, s8, v125
	scratch_store_b32 off, v0, off offset:144 ; 4-byte Folded Spill
	s_wait_alu 0xfffd
	v_add_co_ci_u32_e64 v0, null, s9, v126, vcc_lo
	scratch_store_b32 off, v0, off offset:148 ; 4-byte Folded Spill
	v_add_co_u32 v0, vcc_lo, s10, v125
	scratch_store_b32 off, v0, off offset:152 ; 4-byte Folded Spill
	s_wait_alu 0xfffd
	v_add_co_ci_u32_e64 v0, null, s11, v126, vcc_lo
	v_lshlrev_b64_e32 v[125:126], 3, v[148:149]
	;; [unrolled: 11-line block ×3, first 2 shown]
	v_mov_b32_e32 v149, 0
	v_mov_b32_e32 v150, 0
	scratch_store_b32 off, v0, off offset:172 ; 4-byte Folded Spill
	v_add_co_u32 v0, vcc_lo, s8, v125
	scratch_store_b32 off, v0, off offset:176 ; 4-byte Folded Spill
	s_wait_alu 0xfffd
	v_add_co_ci_u32_e64 v0, null, s9, v126, vcc_lo
	scratch_store_b32 off, v0, off offset:180 ; 4-byte Folded Spill
	v_add_co_u32 v0, vcc_lo, s10, v125
	scratch_store_b32 off, v0, off offset:184 ; 4-byte Folded Spill
	s_wait_alu 0xfffd
	v_add_co_ci_u32_e64 v0, null, s11, v126, vcc_lo
	v_lshlrev_b64_e32 v[125:126], 3, v[152:153]
	scratch_store_b32 off, v0, off offset:188 ; 4-byte Folded Spill
	v_add_co_u32 v0, vcc_lo, s8, v125
	scratch_store_b32 off, v0, off offset:192 ; 4-byte Folded Spill
	s_wait_alu 0xfffd
	v_add_co_ci_u32_e64 v0, null, s9, v126, vcc_lo
	scratch_store_b32 off, v0, off offset:196 ; 4-byte Folded Spill
	v_add_co_u32 v0, vcc_lo, s10, v125
	scratch_store_b32 off, v0, off offset:200 ; 4-byte Folded Spill
	s_wait_alu 0xfffd
	v_add_co_ci_u32_e64 v0, null, s11, v126, vcc_lo
	v_lshlrev_b64_e32 v[125:126], 3, v[154:155]
	;; [unrolled: 11-line block ×9, first 2 shown]
	scratch_store_b32 off, v0, off offset:316 ; 4-byte Folded Spill
	v_add_co_u32 v151, vcc_lo, s8, v125
	s_wait_alu 0xfffd
	v_add_co_ci_u32_e64 v152, null, s9, v126, vcc_lo
	v_add_co_u32 v153, vcc_lo, s10, v125
	s_wait_alu 0xfffd
	v_add_co_ci_u32_e64 v154, null, s11, v126, vcc_lo
	v_lshlrev_b64_e32 v[125:126], 3, v[170:171]
	s_delay_alu instid0(VALU_DEP_1) | instskip(SKIP_1) | instid1(VALU_DEP_2)
	v_add_co_u32 v155, vcc_lo, s8, v125
	s_wait_alu 0xfffd
	v_add_co_ci_u32_e64 v156, null, s9, v126, vcc_lo
	v_add_co_u32 v157, vcc_lo, s10, v125
	s_wait_alu 0xfffd
	v_add_co_ci_u32_e64 v158, null, s11, v126, vcc_lo
	v_lshlrev_b64_e32 v[125:126], 3, v[172:173]
	s_delay_alu instid0(VALU_DEP_1) | instskip(SKIP_1) | instid1(VALU_DEP_2)
	;; [unrolled: 8-line block ×11, first 2 shown]
	v_add_co_u32 v194, vcc_lo, s8, v125
	s_wait_alu 0xfffd
	v_add_co_ci_u32_e64 v195, null, s9, v126, vcc_lo
	v_add_co_u32 v196, vcc_lo, s10, v125
	s_wait_alu 0xfffd
	v_add_co_ci_u32_e64 v197, null, s11, v126, vcc_lo
	v_lshlrev_b64_e32 v[125:126], 3, v[200:201]
	s_delay_alu instid0(VALU_DEP_1)
	v_add_co_u32 v140, vcc_lo, s8, v125
	s_load_b32 s8, s[0:1], 0x44
	v_add_co_ci_u32_e64 v141, null, s9, v126, vcc_lo
	v_add_co_u32 v142, vcc_lo, s10, v125
	v_and_b32_e32 v125, 0x3ff, v198
	s_wait_alu 0xfffd
	v_add_co_ci_u32_e64 v143, null, s11, v126, vcc_lo
	s_mov_b32 s9, 0
	v_add_nc_u32_e32 v126, s28, v125
	s_wait_alu 0xfffe
	s_mov_b32 s11, s9
	scratch_store_b32 off, v125, off offset:580 ; 4-byte Folded Spill
	v_lshlrev_b64_e32 v[128:129], 3, v[126:127]
	s_wait_kmcnt 0x0
	s_lshl_b32 s10, s8, 5
	s_wait_alu 0xfffe
	s_mul_u64 s[18:19], s[6:7], s[10:11]
	s_wait_alu 0xfffe
	s_lshl_b64 s[18:19], s[18:19], 3
.LBB130_145:                            ; =>This Inner Loop Header: Depth=1
	scratch_load_b32 v125, off, off         ; 4-byte Folded Reload
	s_add_nc_u64 s[24:25], s[14:15], s[20:21]
	s_wait_alu 0xfffe
	v_cmp_ge_i64_e64 s8, s[24:25], s[4:5]
	s_wait_loadcnt 0x0
	v_add_co_u32 v132, vcc_lo, s14, v125
	s_wait_alu 0xfffd
	v_add_co_ci_u32_e64 v133, null, 0, v144, vcc_lo
	s_and_b32 vcc_lo, exec_lo, s8
	s_mov_b32 s8, -1
                                        ; implicit-def: $vgpr125_vgpr126
	s_wait_alu 0xfffe
	s_cbranch_vccz .LBB130_213
; %bb.146:                              ;   in Loop: Header=BB130_145 Depth=1
	s_load_b32 s8, s[16:17], 0xc
	s_clause 0x1
	scratch_load_b32 v125, off, off offset:576
	scratch_load_b32 v126, off, off offset:580
	v_mov_b32_e32 v146, 0
	v_mov_b32_e32 v147, 0
	s_wait_kmcnt 0x0
	s_and_b32 s8, s8, 0xffff
	s_wait_loadcnt 0x0
	s_wait_alu 0xfffe
	v_mad_u32_u24 v125, v125, s8, v126
	s_mov_b32 s8, exec_lo
	s_delay_alu instid0(VALU_DEP_1) | instskip(NEXT) | instid1(VALU_DEP_1)
	v_and_b32_e32 v125, 31, v125
	v_add_co_u32 v130, vcc_lo, v132, v125
	v_mov_b32_e32 v125, 0
	s_wait_alu 0xfffd
	v_add_co_ci_u32_e64 v131, null, 0, v133, vcc_lo
	v_mov_b32_e32 v126, 0
	s_delay_alu instid0(VALU_DEP_2)
	v_cmpx_gt_i64_e64 s[4:5], v[130:131]
	s_cbranch_execz .LBB130_148
; %bb.147:                              ;   in Loop: Header=BB130_145 Depth=1
	v_lshlrev_b64_e32 v[125:126], 3, v[130:131]
	s_delay_alu instid0(VALU_DEP_1) | instskip(SKIP_1) | instid1(VALU_DEP_2)
	v_add_co_u32 v125, vcc_lo, s12, v125
	s_wait_alu 0xfffd
	v_add_co_ci_u32_e64 v126, null, s13, v126, vcc_lo
	global_load_b64 v[125:126], v[125:126], off
.LBB130_148:                            ;   in Loop: Header=BB130_145 Depth=1
	s_wait_alu 0xfffe
	s_or_b32 exec_lo, exec_lo, s8
	v_mov_b32_e32 v198, 0
	v_mov_b32_e32 v199, 0
	s_mov_b32 s8, exec_lo
	v_cmpx_gt_i64_e64 s[4:5], v[132:133]
	s_cbranch_execz .LBB130_150
; %bb.149:                              ;   in Loop: Header=BB130_145 Depth=1
	v_add_co_u32 v130, vcc_lo, v136, v128
	s_wait_alu 0xfffd
	v_add_co_ci_u32_e64 v131, null, v137, v129, vcc_lo
	v_add_co_u32 v134, vcc_lo, v138, v128
	s_wait_alu 0xfffd
	v_add_co_ci_u32_e64 v135, null, v139, v129, vcc_lo
	global_load_b64 v[146:147], v[130:131], off
	global_load_b64 v[198:199], v[134:135], off
.LBB130_150:                            ;   in Loop: Header=BB130_145 Depth=1
	s_wait_alu 0xfffe
	s_or_b32 exec_lo, exec_lo, s8
	v_add_co_u32 v130, vcc_lo, v132, 1
	s_wait_alu 0xfffd
	v_add_co_ci_u32_e64 v131, null, 0, v133, vcc_lo
	v_mov_b32_e32 v134, 0
	v_dual_mov_b32 v135, 0 :: v_dual_mov_b32 v200, 0
	s_delay_alu instid0(VALU_DEP_3)
	v_cmp_gt_i64_e32 vcc_lo, s[4:5], v[130:131]
	v_dual_mov_b32 v130, 0 :: v_dual_mov_b32 v201, 0
	v_mov_b32_e32 v131, 0
	s_clause 0x1
	scratch_store_b64 off, v[134:135], off offset:320
	scratch_store_b64 off, v[130:131], off offset:328
	s_and_saveexec_b32 s8, vcc_lo
	s_cbranch_execz .LBB130_152
; %bb.151:                              ;   in Loop: Header=BB130_145 Depth=1
	v_add_co_u32 v130, vcc_lo, v140, v128
	s_wait_alu 0xfffd
	v_add_co_ci_u32_e64 v131, null, v141, v129, vcc_lo
	v_add_co_u32 v134, vcc_lo, v142, v128
	s_wait_alu 0xfffd
	v_add_co_ci_u32_e64 v135, null, v143, v129, vcc_lo
	global_load_b64 v[200:201], v[130:131], off
	global_load_b64 v[130:131], v[134:135], off
	s_wait_loadcnt 0x0
	scratch_store_b64 off, v[130:131], off offset:328 ; 8-byte Folded Spill
.LBB130_152:                            ;   in Loop: Header=BB130_145 Depth=1
	s_wait_alu 0xfffe
	s_or_b32 exec_lo, exec_lo, s8
	v_add_co_u32 v130, vcc_lo, v132, 2
	s_wait_alu 0xfffd
	v_add_co_ci_u32_e64 v131, null, 0, v133, vcc_lo
	s_delay_alu instid0(VALU_DEP_1)
	v_cmp_gt_i64_e32 vcc_lo, s[4:5], v[130:131]
	v_mov_b32_e32 v130, 0
	v_mov_b32_e32 v131, 0
	scratch_store_b64 off, v[130:131], off offset:336 ; 8-byte Folded Spill
	s_and_saveexec_b32 s8, vcc_lo
	s_cbranch_execz .LBB130_154
; %bb.153:                              ;   in Loop: Header=BB130_145 Depth=1
	v_add_co_u32 v130, vcc_lo, v194, v128
	s_wait_alu 0xfffd
	v_add_co_ci_u32_e64 v131, null, v195, v129, vcc_lo
	v_add_co_u32 v134, vcc_lo, v196, v128
	s_wait_alu 0xfffd
	v_add_co_ci_u32_e64 v135, null, v197, v129, vcc_lo
	global_load_b64 v[130:131], v[130:131], off
	s_wait_loadcnt 0x0
	scratch_store_b64 off, v[130:131], off offset:320 ; 8-byte Folded Spill
	global_load_b64 v[130:131], v[134:135], off
	s_wait_loadcnt 0x0
	scratch_store_b64 off, v[130:131], off offset:336 ; 8-byte Folded Spill
.LBB130_154:                            ;   in Loop: Header=BB130_145 Depth=1
	s_wait_alu 0xfffe
	s_or_b32 exec_lo, exec_lo, s8
	v_add_co_u32 v130, vcc_lo, v132, 3
	s_wait_alu 0xfffd
	v_add_co_ci_u32_e64 v131, null, 0, v133, vcc_lo
	v_mov_b32_e32 v134, 0
	v_mov_b32_e32 v135, 0
	s_delay_alu instid0(VALU_DEP_3)
	v_cmp_gt_i64_e32 vcc_lo, s[4:5], v[130:131]
	v_mov_b32_e32 v130, 0
	v_mov_b32_e32 v131, 0
	scratch_store_b64 off, v[134:135], off offset:344 ; 8-byte Folded Spill
	v_mov_b32_e32 v134, 0
	v_mov_b32_e32 v135, 0
	s_clause 0x1
	scratch_store_b64 off, v[130:131], off offset:360
	scratch_store_b64 off, v[134:135], off offset:352
	s_and_saveexec_b32 s8, vcc_lo
	s_cbranch_execz .LBB130_156
; %bb.155:                              ;   in Loop: Header=BB130_145 Depth=1
	v_add_co_u32 v130, vcc_lo, v190, v128
	s_wait_alu 0xfffd
	v_add_co_ci_u32_e64 v131, null, v191, v129, vcc_lo
	v_add_co_u32 v134, vcc_lo, v192, v128
	s_wait_alu 0xfffd
	v_add_co_ci_u32_e64 v135, null, v193, v129, vcc_lo
	global_load_b64 v[130:131], v[130:131], off
	s_wait_loadcnt 0x0
	scratch_store_b64 off, v[130:131], off offset:352 ; 8-byte Folded Spill
	global_load_b64 v[130:131], v[134:135], off
	s_wait_loadcnt 0x0
	scratch_store_b64 off, v[130:131], off offset:360 ; 8-byte Folded Spill
.LBB130_156:                            ;   in Loop: Header=BB130_145 Depth=1
	s_wait_alu 0xfffe
	s_or_b32 exec_lo, exec_lo, s8
	v_add_co_u32 v130, vcc_lo, v132, 4
	s_wait_alu 0xfffd
	v_add_co_ci_u32_e64 v131, null, 0, v133, vcc_lo
	s_delay_alu instid0(VALU_DEP_1)
	v_cmp_gt_i64_e32 vcc_lo, s[4:5], v[130:131]
	v_mov_b32_e32 v130, 0
	v_mov_b32_e32 v131, 0
	scratch_store_b64 off, v[130:131], off offset:368 ; 8-byte Folded Spill
	s_and_saveexec_b32 s8, vcc_lo
	s_cbranch_execz .LBB130_158
; %bb.157:                              ;   in Loop: Header=BB130_145 Depth=1
	v_add_co_u32 v130, vcc_lo, v186, v128
	s_wait_alu 0xfffd
	v_add_co_ci_u32_e64 v131, null, v187, v129, vcc_lo
	v_add_co_u32 v134, vcc_lo, v188, v128
	s_wait_alu 0xfffd
	v_add_co_ci_u32_e64 v135, null, v189, v129, vcc_lo
	global_load_b64 v[130:131], v[130:131], off
	s_wait_loadcnt 0x0
	scratch_store_b64 off, v[130:131], off offset:344 ; 8-byte Folded Spill
	global_load_b64 v[130:131], v[134:135], off
	s_wait_loadcnt 0x0
	scratch_store_b64 off, v[130:131], off offset:368 ; 8-byte Folded Spill
.LBB130_158:                            ;   in Loop: Header=BB130_145 Depth=1
	s_wait_alu 0xfffe
	s_or_b32 exec_lo, exec_lo, s8
	v_add_co_u32 v130, vcc_lo, v132, 5
	s_wait_alu 0xfffd
	v_add_co_ci_u32_e64 v131, null, 0, v133, vcc_lo
	v_mov_b32_e32 v134, 0
	v_mov_b32_e32 v135, 0
	s_delay_alu instid0(VALU_DEP_3)
	v_cmp_gt_i64_e32 vcc_lo, s[4:5], v[130:131]
	v_mov_b32_e32 v130, 0
	v_mov_b32_e32 v131, 0
	scratch_store_b64 off, v[134:135], off offset:376 ; 8-byte Folded Spill
	v_mov_b32_e32 v134, 0
	v_mov_b32_e32 v135, 0
	s_clause 0x1
	scratch_store_b64 off, v[130:131], off offset:392
	scratch_store_b64 off, v[134:135], off offset:384
	s_and_saveexec_b32 s8, vcc_lo
	s_cbranch_execz .LBB130_160
; %bb.159:                              ;   in Loop: Header=BB130_145 Depth=1
	v_add_co_u32 v130, vcc_lo, v182, v128
	s_wait_alu 0xfffd
	v_add_co_ci_u32_e64 v131, null, v183, v129, vcc_lo
	v_add_co_u32 v134, vcc_lo, v184, v128
	s_wait_alu 0xfffd
	v_add_co_ci_u32_e64 v135, null, v185, v129, vcc_lo
	global_load_b64 v[130:131], v[130:131], off
	s_wait_loadcnt 0x0
	scratch_store_b64 off, v[130:131], off offset:384 ; 8-byte Folded Spill
	global_load_b64 v[130:131], v[134:135], off
	s_wait_loadcnt 0x0
	scratch_store_b64 off, v[130:131], off offset:392 ; 8-byte Folded Spill
.LBB130_160:                            ;   in Loop: Header=BB130_145 Depth=1
	;; [unrolled: 59-line block ×6, first 2 shown]
	s_wait_alu 0xfffe
	s_or_b32 exec_lo, exec_lo, s8
	v_add_co_u32 v130, vcc_lo, v132, 14
	s_wait_alu 0xfffd
	v_add_co_ci_u32_e64 v131, null, 0, v133, vcc_lo
	s_delay_alu instid0(VALU_DEP_1)
	v_cmp_gt_i64_e32 vcc_lo, s[4:5], v[130:131]
	v_mov_b32_e32 v130, 0
	v_mov_b32_e32 v131, 0
	scratch_store_b64 off, v[130:131], off offset:528 ; 8-byte Folded Spill
	s_and_saveexec_b32 s8, vcc_lo
	s_cbranch_execz .LBB130_178
; %bb.177:                              ;   in Loop: Header=BB130_145 Depth=1
	s_clause 0x3
	scratch_load_b32 v130, off, off offset:304
	scratch_load_b32 v131, off, off offset:308
	;; [unrolled: 1-line block ×4, first 2 shown]
	s_wait_loadcnt 0x3
	v_add_co_u32 v130, vcc_lo, v130, v128
	s_wait_loadcnt 0x2
	s_wait_alu 0xfffd
	v_add_co_ci_u32_e64 v131, null, v131, v129, vcc_lo
	s_wait_loadcnt 0x1
	v_add_co_u32 v134, vcc_lo, v134, v128
	s_wait_loadcnt 0x0
	s_wait_alu 0xfffd
	v_add_co_ci_u32_e64 v135, null, v135, v129, vcc_lo
	global_load_b64 v[130:131], v[130:131], off
	s_wait_loadcnt 0x0
	scratch_store_b64 off, v[130:131], off offset:504 ; 8-byte Folded Spill
	global_load_b64 v[130:131], v[134:135], off
	s_wait_loadcnt 0x0
	scratch_store_b64 off, v[130:131], off offset:528 ; 8-byte Folded Spill
.LBB130_178:                            ;   in Loop: Header=BB130_145 Depth=1
	s_wait_alu 0xfffe
	s_or_b32 exec_lo, exec_lo, s8
	v_add_co_u32 v130, vcc_lo, v132, 15
	s_wait_alu 0xfffd
	v_add_co_ci_u32_e64 v131, null, 0, v133, vcc_lo
	v_mov_b32_e32 v134, 0
	v_mov_b32_e32 v135, 0
	s_delay_alu instid0(VALU_DEP_3)
	v_cmp_gt_i64_e32 vcc_lo, s[4:5], v[130:131]
	v_mov_b32_e32 v130, 0
	v_mov_b32_e32 v131, 0
	scratch_store_b64 off, v[134:135], off offset:536 ; 8-byte Folded Spill
	v_mov_b32_e32 v134, 0
	v_mov_b32_e32 v135, 0
	s_clause 0x1
	scratch_store_b64 off, v[130:131], off offset:552
	scratch_store_b64 off, v[134:135], off offset:544
	s_and_saveexec_b32 s8, vcc_lo
	s_cbranch_execz .LBB130_180
; %bb.179:                              ;   in Loop: Header=BB130_145 Depth=1
	s_clause 0x3
	scratch_load_b32 v130, off, off offset:288
	scratch_load_b32 v131, off, off offset:292
	;; [unrolled: 1-line block ×4, first 2 shown]
	s_wait_loadcnt 0x3
	v_add_co_u32 v130, vcc_lo, v130, v128
	s_wait_loadcnt 0x2
	s_wait_alu 0xfffd
	v_add_co_ci_u32_e64 v131, null, v131, v129, vcc_lo
	s_wait_loadcnt 0x1
	v_add_co_u32 v134, vcc_lo, v134, v128
	s_wait_loadcnt 0x0
	s_wait_alu 0xfffd
	v_add_co_ci_u32_e64 v135, null, v135, v129, vcc_lo
	global_load_b64 v[130:131], v[130:131], off
	s_wait_loadcnt 0x0
	scratch_store_b64 off, v[130:131], off offset:544 ; 8-byte Folded Spill
	global_load_b64 v[130:131], v[134:135], off
	s_wait_loadcnt 0x0
	scratch_store_b64 off, v[130:131], off offset:552 ; 8-byte Folded Spill
.LBB130_180:                            ;   in Loop: Header=BB130_145 Depth=1
	s_wait_alu 0xfffe
	s_or_b32 exec_lo, exec_lo, s8
	v_add_co_u32 v130, vcc_lo, v132, 16
	s_wait_alu 0xfffd
	v_add_co_ci_u32_e64 v131, null, 0, v133, vcc_lo
	s_delay_alu instid0(VALU_DEP_1)
	v_cmp_gt_i64_e32 vcc_lo, s[4:5], v[130:131]
	v_mov_b32_e32 v130, 0
	v_mov_b32_e32 v131, 0
	scratch_store_b64 off, v[130:131], off offset:560 ; 8-byte Folded Spill
	s_and_saveexec_b32 s8, vcc_lo
	s_cbranch_execz .LBB130_182
; %bb.181:                              ;   in Loop: Header=BB130_145 Depth=1
	s_clause 0x3
	scratch_load_b32 v130, off, off offset:272
	scratch_load_b32 v131, off, off offset:276
	;; [unrolled: 1-line block ×4, first 2 shown]
	s_wait_loadcnt 0x3
	v_add_co_u32 v130, vcc_lo, v130, v128
	s_wait_loadcnt 0x2
	s_wait_alu 0xfffd
	v_add_co_ci_u32_e64 v131, null, v131, v129, vcc_lo
	s_wait_loadcnt 0x1
	v_add_co_u32 v134, vcc_lo, v134, v128
	s_wait_loadcnt 0x0
	s_wait_alu 0xfffd
	v_add_co_ci_u32_e64 v135, null, v135, v129, vcc_lo
	global_load_b64 v[130:131], v[130:131], off
	s_wait_loadcnt 0x0
	scratch_store_b64 off, v[130:131], off offset:536 ; 8-byte Folded Spill
	global_load_b64 v[130:131], v[134:135], off
	s_wait_loadcnt 0x0
	scratch_store_b64 off, v[130:131], off offset:560 ; 8-byte Folded Spill
.LBB130_182:                            ;   in Loop: Header=BB130_145 Depth=1
	s_wait_alu 0xfffe
	s_or_b32 exec_lo, exec_lo, s8
	v_add_co_u32 v130, vcc_lo, v132, 17
	v_mov_b32_e32 v134, 0
	v_dual_mov_b32 v135, 0 :: v_dual_mov_b32 v204, 0
	v_mov_b32_e32 v206, 0
	s_wait_alu 0xfffd
	v_add_co_ci_u32_e64 v131, null, 0, v133, vcc_lo
	v_mov_b32_e32 v205, 0
	v_mov_b32_e32 v207, 0
	s_mov_b32 s8, exec_lo
	scratch_store_b64 off, v[134:135], off offset:568 ; 8-byte Folded Spill
	v_cmpx_gt_i64_e64 s[4:5], v[130:131]
	s_cbranch_execz .LBB130_184
; %bb.183:                              ;   in Loop: Header=BB130_145 Depth=1
	s_clause 0x3
	scratch_load_b32 v130, off, off offset:256
	scratch_load_b32 v131, off, off offset:260
	;; [unrolled: 1-line block ×4, first 2 shown]
	s_wait_loadcnt 0x3
	v_add_co_u32 v130, vcc_lo, v130, v128
	s_wait_loadcnt 0x2
	s_wait_alu 0xfffd
	v_add_co_ci_u32_e64 v131, null, v131, v129, vcc_lo
	s_wait_loadcnt 0x1
	v_add_co_u32 v134, vcc_lo, v134, v128
	s_wait_loadcnt 0x0
	s_wait_alu 0xfffd
	v_add_co_ci_u32_e64 v135, null, v135, v129, vcc_lo
	global_load_b64 v[204:205], v[130:131], off
	global_load_b64 v[206:207], v[134:135], off
.LBB130_184:                            ;   in Loop: Header=BB130_145 Depth=1
	s_wait_alu 0xfffe
	s_or_b32 exec_lo, exec_lo, s8
	v_add_co_u32 v130, vcc_lo, v132, 18
	v_mov_b32_e32 v208, 0
	s_wait_alu 0xfffd
	v_add_co_ci_u32_e64 v131, null, 0, v133, vcc_lo
	v_mov_b32_e32 v209, 0
	s_mov_b32 s8, exec_lo
	s_delay_alu instid0(VALU_DEP_2)
	v_cmpx_gt_i64_e64 s[4:5], v[130:131]
	s_cbranch_execz .LBB130_186
; %bb.185:                              ;   in Loop: Header=BB130_145 Depth=1
	s_clause 0x3
	scratch_load_b32 v130, off, off offset:240
	scratch_load_b32 v131, off, off offset:244
	;; [unrolled: 1-line block ×4, first 2 shown]
	s_wait_loadcnt 0x3
	v_add_co_u32 v130, vcc_lo, v130, v128
	s_wait_loadcnt 0x2
	s_wait_alu 0xfffd
	v_add_co_ci_u32_e64 v131, null, v131, v129, vcc_lo
	s_wait_loadcnt 0x1
	v_add_co_u32 v134, vcc_lo, v134, v128
	s_wait_loadcnt 0x0
	s_wait_alu 0xfffd
	v_add_co_ci_u32_e64 v135, null, v135, v129, vcc_lo
	global_load_b64 v[130:131], v[130:131], off
	global_load_b64 v[208:209], v[134:135], off
	s_wait_loadcnt 0x1
	scratch_store_b64 off, v[130:131], off offset:568 ; 8-byte Folded Spill
.LBB130_186:                            ;   in Loop: Header=BB130_145 Depth=1
	s_wait_alu 0xfffe
	s_or_b32 exec_lo, exec_lo, s8
	v_add_co_u32 v130, vcc_lo, v132, 19
	v_mov_b32_e32 v210, 0
	v_dual_mov_b32 v211, 0 :: v_dual_mov_b32 v212, 0
	v_mov_b32_e32 v214, 0
	s_wait_alu 0xfffd
	v_add_co_ci_u32_e64 v131, null, 0, v133, vcc_lo
	v_mov_b32_e32 v213, 0
	v_mov_b32_e32 v215, 0
	s_mov_b32 s8, exec_lo
	s_delay_alu instid0(VALU_DEP_3)
	v_cmpx_gt_i64_e64 s[4:5], v[130:131]
	s_cbranch_execz .LBB130_188
; %bb.187:                              ;   in Loop: Header=BB130_145 Depth=1
	s_clause 0x3
	scratch_load_b32 v130, off, off offset:224
	scratch_load_b32 v131, off, off offset:228
	scratch_load_b32 v134, off, off offset:232
	scratch_load_b32 v135, off, off offset:236
	s_wait_loadcnt 0x3
	v_add_co_u32 v130, vcc_lo, v130, v128
	s_wait_loadcnt 0x2
	s_wait_alu 0xfffd
	v_add_co_ci_u32_e64 v131, null, v131, v129, vcc_lo
	s_wait_loadcnt 0x1
	v_add_co_u32 v134, vcc_lo, v134, v128
	s_wait_loadcnt 0x0
	s_wait_alu 0xfffd
	v_add_co_ci_u32_e64 v135, null, v135, v129, vcc_lo
	global_load_b64 v[212:213], v[130:131], off
	global_load_b64 v[214:215], v[134:135], off
.LBB130_188:                            ;   in Loop: Header=BB130_145 Depth=1
	s_wait_alu 0xfffe
	s_or_b32 exec_lo, exec_lo, s8
	v_add_co_u32 v130, vcc_lo, v132, 20
	v_mov_b32_e32 v216, 0
	s_wait_alu 0xfffd
	v_add_co_ci_u32_e64 v131, null, 0, v133, vcc_lo
	v_mov_b32_e32 v217, 0
	s_mov_b32 s8, exec_lo
	s_delay_alu instid0(VALU_DEP_2)
	v_cmpx_gt_i64_e64 s[4:5], v[130:131]
	s_cbranch_execz .LBB130_190
; %bb.189:                              ;   in Loop: Header=BB130_145 Depth=1
	s_clause 0x3
	scratch_load_b32 v130, off, off offset:208
	scratch_load_b32 v131, off, off offset:212
	scratch_load_b32 v134, off, off offset:216
	scratch_load_b32 v135, off, off offset:220
	s_wait_loadcnt 0x3
	v_add_co_u32 v130, vcc_lo, v130, v128
	s_wait_loadcnt 0x2
	s_wait_alu 0xfffd
	v_add_co_ci_u32_e64 v131, null, v131, v129, vcc_lo
	s_wait_loadcnt 0x1
	v_add_co_u32 v134, vcc_lo, v134, v128
	s_wait_loadcnt 0x0
	s_wait_alu 0xfffd
	v_add_co_ci_u32_e64 v135, null, v135, v129, vcc_lo
	global_load_b64 v[210:211], v[130:131], off
	global_load_b64 v[216:217], v[134:135], off
.LBB130_190:                            ;   in Loop: Header=BB130_145 Depth=1
	s_wait_alu 0xfffe
	s_or_b32 exec_lo, exec_lo, s8
	v_add_co_u32 v130, vcc_lo, v132, 21
	v_mov_b32_e32 v218, 0
	v_dual_mov_b32 v219, 0 :: v_dual_mov_b32 v220, 0
	v_mov_b32_e32 v222, 0
	s_wait_alu 0xfffd
	v_add_co_ci_u32_e64 v131, null, 0, v133, vcc_lo
	v_mov_b32_e32 v221, 0
	v_mov_b32_e32 v223, 0
	s_mov_b32 s8, exec_lo
	s_delay_alu instid0(VALU_DEP_3)
	v_cmpx_gt_i64_e64 s[4:5], v[130:131]
	s_cbranch_execz .LBB130_192
; %bb.191:                              ;   in Loop: Header=BB130_145 Depth=1
	s_clause 0x3
	scratch_load_b32 v130, off, off offset:192
	scratch_load_b32 v131, off, off offset:196
	scratch_load_b32 v134, off, off offset:200
	scratch_load_b32 v135, off, off offset:204
	s_wait_loadcnt 0x3
	v_add_co_u32 v130, vcc_lo, v130, v128
	s_wait_loadcnt 0x2
	s_wait_alu 0xfffd
	v_add_co_ci_u32_e64 v131, null, v131, v129, vcc_lo
	s_wait_loadcnt 0x1
	v_add_co_u32 v134, vcc_lo, v134, v128
	s_wait_loadcnt 0x0
	s_wait_alu 0xfffd
	v_add_co_ci_u32_e64 v135, null, v135, v129, vcc_lo
	global_load_b64 v[220:221], v[130:131], off
	global_load_b64 v[222:223], v[134:135], off
.LBB130_192:                            ;   in Loop: Header=BB130_145 Depth=1
	s_wait_alu 0xfffe
	s_or_b32 exec_lo, exec_lo, s8
	v_add_co_u32 v130, vcc_lo, v132, 22
	v_mov_b32_e32 v224, 0
	s_wait_alu 0xfffd
	v_add_co_ci_u32_e64 v131, null, 0, v133, vcc_lo
	v_mov_b32_e32 v225, 0
	s_mov_b32 s8, exec_lo
	s_delay_alu instid0(VALU_DEP_2)
	v_cmpx_gt_i64_e64 s[4:5], v[130:131]
	s_cbranch_execz .LBB130_194
; %bb.193:                              ;   in Loop: Header=BB130_145 Depth=1
	s_clause 0x3
	scratch_load_b32 v130, off, off offset:176
	scratch_load_b32 v131, off, off offset:180
	scratch_load_b32 v134, off, off offset:184
	scratch_load_b32 v135, off, off offset:188
	s_wait_loadcnt 0x3
	v_add_co_u32 v130, vcc_lo, v130, v128
	s_wait_loadcnt 0x2
	s_wait_alu 0xfffd
	v_add_co_ci_u32_e64 v131, null, v131, v129, vcc_lo
	s_wait_loadcnt 0x1
	v_add_co_u32 v134, vcc_lo, v134, v128
	s_wait_loadcnt 0x0
	s_wait_alu 0xfffd
	v_add_co_ci_u32_e64 v135, null, v135, v129, vcc_lo
	global_load_b64 v[218:219], v[130:131], off
	global_load_b64 v[224:225], v[134:135], off
.LBB130_194:                            ;   in Loop: Header=BB130_145 Depth=1
	;; [unrolled: 63-line block ×5, first 2 shown]
	s_wait_alu 0xfffe
	s_or_b32 exec_lo, exec_lo, s8
	v_add_co_u32 v130, vcc_lo, v132, 29
	v_mov_b32_e32 v250, 0
	v_dual_mov_b32 v251, 0 :: v_dual_mov_b32 v252, 0
	v_mov_b32_e32 v254, 0
	s_wait_alu 0xfffd
	v_add_co_ci_u32_e64 v131, null, 0, v133, vcc_lo
	v_mov_b32_e32 v253, 0
	v_mov_b32_e32 v255, 0
	s_mov_b32 s8, exec_lo
	s_delay_alu instid0(VALU_DEP_3)
	v_cmpx_gt_i64_e64 s[4:5], v[130:131]
	s_cbranch_execz .LBB130_208
; %bb.207:                              ;   in Loop: Header=BB130_145 Depth=1
	s_clause 0x3
	scratch_load_b32 v130, off, off offset:64
	scratch_load_b32 v131, off, off offset:68
	;; [unrolled: 1-line block ×4, first 2 shown]
	s_wait_loadcnt 0x3
	v_add_co_u32 v130, vcc_lo, v130, v128
	s_wait_loadcnt 0x2
	s_wait_alu 0xfffd
	v_add_co_ci_u32_e64 v131, null, v131, v129, vcc_lo
	s_wait_loadcnt 0x1
	v_add_co_u32 v134, vcc_lo, v134, v128
	s_wait_loadcnt 0x0
	s_wait_alu 0xfffd
	v_add_co_ci_u32_e64 v135, null, v135, v129, vcc_lo
	global_load_b64 v[252:253], v[130:131], off
	global_load_b64 v[254:255], v[134:135], off
.LBB130_208:                            ;   in Loop: Header=BB130_145 Depth=1
	s_wait_alu 0xfffe
	s_or_b32 exec_lo, exec_lo, s8
	v_add_co_u32 v130, vcc_lo, v132, 30
	s_wait_alu 0xfffd
	v_add_co_ci_u32_e64 v131, null, 0, v133, vcc_lo
	s_delay_alu instid0(VALU_DEP_1)
	v_cmp_gt_i64_e32 vcc_lo, s[4:5], v[130:131]
	v_mov_b32_e32 v130, 0
	v_mov_b32_e32 v131, 0
	s_and_saveexec_b32 s8, vcc_lo
	s_cbranch_execz .LBB130_210
; %bb.209:                              ;   in Loop: Header=BB130_145 Depth=1
	s_clause 0x3
	scratch_load_b32 v130, off, off offset:40
	scratch_load_b32 v131, off, off offset:48
	;; [unrolled: 1-line block ×4, first 2 shown]
	s_wait_loadcnt 0x3
	v_add_co_u32 v130, vcc_lo, v130, v128
	s_wait_loadcnt 0x2
	s_wait_alu 0xfffd
	v_add_co_ci_u32_e64 v131, null, v131, v129, vcc_lo
	s_wait_loadcnt 0x1
	v_add_co_u32 v134, vcc_lo, v134, v128
	s_wait_loadcnt 0x0
	s_wait_alu 0xfffd
	v_add_co_ci_u32_e64 v135, null, v135, v129, vcc_lo
	global_load_b64 v[250:251], v[130:131], off
	global_load_b64 v[130:131], v[134:135], off
.LBB130_210:                            ;   in Loop: Header=BB130_145 Depth=1
	s_wait_alu 0xfffe
	s_or_b32 exec_lo, exec_lo, s8
	v_add_co_u32 v134, vcc_lo, v132, 31
	s_wait_alu 0xfffd
	v_add_co_ci_u32_e64 v135, null, 0, v133, vcc_lo
	s_delay_alu instid0(VALU_DEP_1)
	v_cmp_gt_i64_e32 vcc_lo, s[4:5], v[134:135]
	v_mov_b32_e32 v134, 0
	v_mov_b32_e32 v135, 0
	s_and_saveexec_b32 s8, vcc_lo
	s_cbranch_execz .LBB130_212
; %bb.211:                              ;   in Loop: Header=BB130_145 Depth=1
	s_clause 0x2
	scratch_load_b32 v134, off, off offset:8
	scratch_load_b32 v135, off, off offset:16
	;; [unrolled: 1-line block ×3, first 2 shown]
	v_dual_mov_b32 v148, v151 :: v_dual_mov_b32 v173, v171
	v_dual_mov_b32 v171, v169 :: v_dual_mov_b32 v172, v170
	;; [unrolled: 1-line block ×5, first 2 shown]
	v_mov_b32_e32 v166, v201
	v_dual_mov_b32 v200, v163 :: v_dual_mov_b32 v163, v162
	v_dual_mov_b32 v162, v161 :: v_dual_mov_b32 v161, v160
	;; [unrolled: 1-line block ×6, first 2 shown]
	s_wait_loadcnt 0x4
	v_dual_mov_b32 v152, v147 :: v_dual_mov_b32 v151, v146
	s_wait_loadcnt 0x3
	v_dual_mov_b32 v146, v198 :: v_dual_mov_b32 v147, v199
	s_wait_loadcnt 0x2
	v_add_co_u32 v134, vcc_lo, v134, v128
	s_wait_loadcnt 0x1
	s_wait_alu 0xfffd
	v_add_co_ci_u32_e64 v135, null, v135, v129, vcc_lo
	s_wait_loadcnt 0x0
	v_add_co_u32 v198, vcc_lo, v145, v128
	scratch_load_b32 v145, off, off offset:32 ; 4-byte Folded Reload
	s_wait_loadcnt 0x0
	s_wait_alu 0xfffd
	v_add_co_ci_u32_e64 v199, null, v145, v129, vcc_lo
	global_load_b64 v[134:135], v[134:135], off
	global_load_b64 v[198:199], v[198:199], off
	s_wait_loadcnt 0x0
	v_mul_f64_e32 v[134:135], v[134:135], v[198:199]
	v_dual_mov_b32 v199, v147 :: v_dual_mov_b32 v198, v146
	v_dual_mov_b32 v146, v151 :: v_dual_mov_b32 v147, v152
	;; [unrolled: 1-line block ×13, first 2 shown]
	v_mov_b32_e32 v151, v148
.LBB130_212:                            ;   in Loop: Header=BB130_145 Depth=1
	s_wait_alu 0xfffe
	s_or_b32 exec_lo, exec_lo, s8
	s_wait_loadcnt 0x0
	v_mul_f64_e32 v[198:199], v[146:147], v[198:199]
	scratch_load_b64 v[145:146], off, off offset:328 th:TH_LOAD_LU ; 8-byte Folded Reload
	ds_bpermute_b32 v147, v127, v125
	ds_bpermute_b32 v148, v127, v126
	v_mul_f64_e32 v[130:131], v[250:251], v[130:131]
	s_mov_b32 s8, 0
	s_wait_dscnt 0x0
	v_fma_f64 v[147:148], v[198:199], v[147:148], v[149:150]
	ds_bpermute_b32 v198, v127, v125 offset:4
	ds_bpermute_b32 v199, v127, v126 offset:4
	s_wait_loadcnt 0x0
	v_mul_f64_e32 v[145:146], v[200:201], v[145:146]
	ds_bpermute_b32 v200, v127, v125 offset:64
	ds_bpermute_b32 v201, v127, v126 offset:64
	s_wait_dscnt 0x2
	v_fma_f64 v[145:146], v[145:146], v[198:199], v[147:148]
	s_clause 0x1
	scratch_load_b64 v[147:148], off, off offset:320 th:TH_LOAD_LU
	scratch_load_b64 v[198:199], off, off offset:336 th:TH_LOAD_LU
	s_wait_loadcnt 0x0
	v_mul_f64_e32 v[147:148], v[147:148], v[198:199]
	ds_bpermute_b32 v198, v127, v125 offset:8
	ds_bpermute_b32 v199, v127, v126 offset:8
	s_wait_dscnt 0x0
	v_fma_f64 v[145:146], v[147:148], v[198:199], v[145:146]
	s_clause 0x1
	scratch_load_b64 v[147:148], off, off offset:352 th:TH_LOAD_LU
	scratch_load_b64 v[198:199], off, off offset:360 th:TH_LOAD_LU
	;; [unrolled: 9-line block ×15, first 2 shown]
	s_wait_loadcnt 0x0
	v_mul_f64_e32 v[147:148], v[147:148], v[198:199]
	v_mul_f64_e32 v[198:199], v[204:205], v[206:207]
	s_delay_alu instid0(VALU_DEP_2)
	v_fma_f64 v[145:146], v[147:148], v[200:201], v[145:146]
	scratch_load_b64 v[200:201], off, off offset:568 th:TH_LOAD_LU ; 8-byte Folded Reload
	ds_bpermute_b32 v147, v127, v125 offset:68
	ds_bpermute_b32 v148, v127, v126 offset:68
	s_wait_dscnt 0x0
	v_fma_f64 v[145:146], v[198:199], v[147:148], v[145:146]
	ds_bpermute_b32 v147, v127, v125 offset:72
	ds_bpermute_b32 v148, v127, v126 offset:72
	v_mul_f64_e32 v[198:199], v[212:213], v[214:215]
	s_wait_loadcnt 0x0
	v_mul_f64_e32 v[200:201], v[200:201], v[208:209]
	s_wait_dscnt 0x0
	s_delay_alu instid0(VALU_DEP_1)
	v_fma_f64 v[145:146], v[200:201], v[147:148], v[145:146]
	ds_bpermute_b32 v147, v127, v125 offset:76
	ds_bpermute_b32 v148, v127, v126 offset:76
	v_mul_f64_e32 v[200:201], v[210:211], v[216:217]
	s_wait_dscnt 0x0
	v_fma_f64 v[145:146], v[198:199], v[147:148], v[145:146]
	ds_bpermute_b32 v147, v127, v125 offset:80
	ds_bpermute_b32 v148, v127, v126 offset:80
	v_mul_f64_e32 v[198:199], v[220:221], v[222:223]
	s_wait_dscnt 0x0
	;; [unrolled: 5-line block ×10, first 2 shown]
	v_fma_f64 v[145:146], v[200:201], v[147:148], v[145:146]
	ds_bpermute_b32 v147, v127, v125 offset:116
	ds_bpermute_b32 v148, v127, v126 offset:116
	s_wait_dscnt 0x0
	v_fma_f64 v[145:146], v[198:199], v[147:148], v[145:146]
	ds_bpermute_b32 v147, v127, v125 offset:120
	ds_bpermute_b32 v148, v127, v126 offset:120
	ds_bpermute_b32 v125, v127, v125 offset:124
	ds_bpermute_b32 v126, v127, v126 offset:124
	s_wait_dscnt 0x2
	v_fma_f64 v[130:131], v[130:131], v[147:148], v[145:146]
	s_wait_dscnt 0x0
	s_delay_alu instid0(VALU_DEP_1)
	v_fma_f64 v[125:126], v[134:135], v[125:126], v[130:131]
.LBB130_213:                            ;   in Loop: Header=BB130_145 Depth=1
	s_wait_alu 0xfffe
	s_and_b32 vcc_lo, exec_lo, s8
	s_wait_alu 0xfffe
	s_cbranch_vccz .LBB130_217
; %bb.214:                              ;   in Loop: Header=BB130_145 Depth=1
	s_load_b32 s8, s[16:17], 0x0
	s_wait_kmcnt 0x0
	s_cmp_lt_u32 ttmp9, s8
	s_cselect_b32 s8, 12, 18
	s_wait_alu 0xfffe
	s_add_nc_u64 s[24:25], s[16:17], s[8:9]
	s_load_u16 s8, s[24:25], 0x0
	s_clause 0x1
	scratch_load_b32 v125, off, off offset:576
	scratch_load_b32 v126, off, off offset:580
	s_wait_loadcnt 0x0
	s_wait_kmcnt 0x0
	v_mad_u32_u24 v125, v125, s8, v126
	s_mov_b32 s8, exec_lo
	s_delay_alu instid0(VALU_DEP_1) | instskip(NEXT) | instid1(VALU_DEP_1)
	v_and_b32_e32 v125, 31, v125
	v_add_co_u32 v130, vcc_lo, v132, v125
	v_mov_b32_e32 v125, 0
	s_wait_alu 0xfffd
	v_add_co_ci_u32_e64 v131, null, 0, v133, vcc_lo
	v_mov_b32_e32 v126, 0
	s_delay_alu instid0(VALU_DEP_2)
	v_cmpx_gt_i64_e64 s[4:5], v[130:131]
	s_cbranch_execz .LBB130_216
; %bb.215:                              ;   in Loop: Header=BB130_145 Depth=1
	v_lshlrev_b64_e32 v[125:126], 3, v[130:131]
	s_delay_alu instid0(VALU_DEP_1) | instskip(SKIP_1) | instid1(VALU_DEP_2)
	v_add_co_u32 v125, vcc_lo, s12, v125
	s_wait_alu 0xfffd
	v_add_co_ci_u32_e64 v126, null, s13, v126, vcc_lo
	global_load_b64 v[125:126], v[125:126], off
.LBB130_216:                            ;   in Loop: Header=BB130_145 Depth=1
	s_wait_alu 0xfffe
	s_or_b32 exec_lo, exec_lo, s8
	v_add_co_u32 v130, vcc_lo, v136, v128
	s_wait_alu 0xfffd
	v_add_co_ci_u32_e64 v131, null, v137, v129, vcc_lo
	v_add_co_u32 v132, vcc_lo, v138, v128
	s_wait_alu 0xfffd
	v_add_co_ci_u32_e64 v133, null, v139, v129, vcc_lo
	global_load_b64 v[130:131], v[130:131], off
	global_load_b64 v[132:133], v[132:133], off
	s_wait_loadcnt 0x0
	v_mul_f64_e32 v[130:131], v[130:131], v[132:133]
	ds_bpermute_b32 v132, v127, v125
	ds_bpermute_b32 v133, v127, v126
	s_wait_dscnt 0x0
	v_fma_f64 v[130:131], v[130:131], v[132:133], v[149:150]
	v_add_co_u32 v132, vcc_lo, v1, v128
	s_wait_alu 0xfffd
	v_add_co_ci_u32_e64 v133, null, v2, v129, vcc_lo
	v_add_co_u32 v134, vcc_lo, v9, v128
	s_wait_alu 0xfffd
	v_add_co_ci_u32_e64 v135, null, v10, v129, vcc_lo
	global_load_b64 v[132:133], v[132:133], off
	global_load_b64 v[134:135], v[134:135], off
	s_wait_loadcnt 0x0
	v_mul_f64_e32 v[132:133], v[132:133], v[134:135]
	ds_bpermute_b32 v134, v127, v125 offset:4
	ds_bpermute_b32 v135, v127, v126 offset:4
	s_wait_dscnt 0x0
	v_fma_f64 v[130:131], v[132:133], v[134:135], v[130:131]
	v_add_co_u32 v132, vcc_lo, v3, v128
	s_wait_alu 0xfffd
	v_add_co_ci_u32_e64 v133, null, v4, v129, vcc_lo
	v_add_co_u32 v134, vcc_lo, v13, v128
	s_wait_alu 0xfffd
	v_add_co_ci_u32_e64 v135, null, v14, v129, vcc_lo
	global_load_b64 v[132:133], v[132:133], off
	global_load_b64 v[134:135], v[134:135], off
	s_wait_loadcnt 0x0
	v_mul_f64_e32 v[132:133], v[132:133], v[134:135]
	ds_bpermute_b32 v134, v127, v125 offset:8
	ds_bpermute_b32 v135, v127, v126 offset:8
	;; [unrolled: 14-line block ×30, first 2 shown]
	ds_bpermute_b32 v125, v127, v125 offset:124
	ds_bpermute_b32 v126, v127, v126 offset:124
	s_wait_dscnt 0x2
	v_fma_f64 v[130:131], v[132:133], v[134:135], v[130:131]
	v_add_co_u32 v132, vcc_lo, v121, v128
	s_wait_alu 0xfffd
	v_add_co_ci_u32_e64 v133, null, v122, v129, vcc_lo
	v_add_co_u32 v134, vcc_lo, v123, v128
	s_wait_alu 0xfffd
	v_add_co_ci_u32_e64 v135, null, v124, v129, vcc_lo
	global_load_b64 v[132:133], v[132:133], off
	global_load_b64 v[134:135], v[134:135], off
	s_wait_loadcnt 0x0
	v_mul_f64_e32 v[132:133], v[132:133], v[134:135]
	s_wait_dscnt 0x0
	s_delay_alu instid0(VALU_DEP_1)
	v_fma_f64 v[125:126], v[132:133], v[125:126], v[130:131]
.LBB130_217:                            ;   in Loop: Header=BB130_145 Depth=1
	scratch_load_b32 v130, off, off         ; 4-byte Folded Reload
	v_add_co_u32 v136, vcc_lo, v136, s18
	s_wait_alu 0xfffd
	v_add_co_ci_u32_e64 v137, null, s19, v137, vcc_lo
	v_add_co_u32 v138, vcc_lo, v138, s18
	s_wait_alu 0xfffd
	v_add_co_ci_u32_e64 v139, null, s19, v139, vcc_lo
	;; [unrolled: 3-line block ×64, first 2 shown]
	s_add_nc_u64 s[22:23], s[22:23], s[10:11]
	s_add_nc_u64 s[20:21], s[20:21], s[10:11]
	s_wait_alu 0xfffe
	v_cmp_ge_i64_e64 s8, s[22:23], s[4:5]
	s_wait_loadcnt 0x0
	v_add_co_u32 v130, vcc_lo, v130, s10
	s_wait_alu 0xfffd
	v_add_co_ci_u32_e64 v144, null, 0, v144, vcc_lo
	scratch_store_b32 off, v130, off        ; 4-byte Folded Spill
	scratch_load_b32 v130, off, off offset:8 ; 4-byte Folded Reload
	s_wait_loadcnt 0x0
	v_add_co_u32 v130, vcc_lo, v130, s18
	scratch_store_b32 off, v130, off offset:8 ; 4-byte Folded Spill
	scratch_load_b32 v130, off, off offset:16 ; 4-byte Folded Reload
	s_wait_loadcnt 0x0
	s_wait_alu 0xfffd
	v_add_co_ci_u32_e64 v130, null, s19, v130, vcc_lo
	scratch_store_b32 off, v130, off offset:16 ; 4-byte Folded Spill
	scratch_load_b32 v130, off, off offset:24 ; 4-byte Folded Reload
	s_wait_loadcnt 0x0
	v_add_co_u32 v130, vcc_lo, v130, s18
	scratch_store_b32 off, v130, off offset:24 ; 4-byte Folded Spill
	scratch_load_b32 v130, off, off offset:32 ; 4-byte Folded Reload
	s_wait_loadcnt 0x0
	s_wait_alu 0xfffd
	v_add_co_ci_u32_e64 v130, null, s19, v130, vcc_lo
	scratch_store_b32 off, v130, off offset:32 ; 4-byte Folded Spill
	;; [unrolled: 9-line block ×35, first 2 shown]
	scratch_load_b32 v130, off, off offset:312 ; 4-byte Folded Reload
	s_wait_loadcnt 0x0
	v_add_co_u32 v130, vcc_lo, v130, s18
	scratch_store_b32 off, v130, off offset:312 ; 4-byte Folded Spill
	scratch_load_b32 v130, off, off offset:316 ; 4-byte Folded Reload
	s_wait_loadcnt 0x0
	s_wait_alu 0xfffd
	v_add_co_ci_u32_e64 v130, null, s19, v130, vcc_lo
	v_add_co_u32 v151, vcc_lo, v151, s18
	s_wait_alu 0xfffd
	v_add_co_ci_u32_e64 v152, null, s19, v152, vcc_lo
	v_add_co_u32 v153, vcc_lo, v153, s18
	;; [unrolled: 3-line block ×26, first 2 shown]
	s_wait_alu 0xfffd
	v_add_co_ci_u32_e64 v143, null, s19, v143, vcc_lo
	s_and_b32 vcc_lo, exec_lo, s8
	scratch_store_b32 off, v130, off offset:316 ; 4-byte Folded Spill
	s_wait_alu 0xfffe
	s_cbranch_vccnz .LBB130_219
; %bb.218:                              ;   in Loop: Header=BB130_145 Depth=1
	v_dual_mov_b32 v150, v126 :: v_dual_mov_b32 v149, v125
	s_branch .LBB130_145
.LBB130_219:
	scratch_load_b32 v0, off, off offset:584 ; 4-byte Folded Reload
.LBB130_220:
	s_mov_b32 s4, ttmp9
	s_mov_b32 s5, 0
	s_wait_alu 0xfffe
	s_lshl_b64 s[4:5], s[4:5], 5
	s_wait_kmcnt 0x0
	s_cmp_lg_u64 s[2:3], 0
	s_wait_loadcnt 0x0
	s_wait_alu 0xfffe
	v_and_or_b32 v1, 0x3ff, v0, s4
	v_mov_b32_e32 v2, s5
	s_cselect_b32 s4, -1, 0
	s_delay_alu instid0(VALU_DEP_1)
	v_cmp_gt_i64_e32 vcc_lo, s[6:7], v[1:2]
	s_wait_alu 0xfffe
	s_and_b32 s4, vcc_lo, s4
	s_wait_alu 0xfffe
	s_and_saveexec_b32 s5, s4
	s_cbranch_execz .LBB130_222
; %bb.221:
	s_load_u16 s0, s[0:1], 0x4e
	v_bfe_u32 v3, v0, 10, 10
	v_mov_b32_e32 v4, 0
	s_wait_kmcnt 0x0
	s_delay_alu instid0(VALU_DEP_1) | instskip(NEXT) | instid1(VALU_DEP_1)
	v_mad_co_u64_u32 v[3:4], null, s0, ttmp7, v[3:4]
	v_mul_lo_u32 v0, v4, s6
	s_delay_alu instid0(VALU_DEP_2) | instskip(SKIP_1) | instid1(VALU_DEP_1)
	v_mul_lo_u32 v5, v3, s7
	v_mad_co_u64_u32 v[3:4], null, v3, s6, 0
	v_add3_u32 v4, v4, v5, v0
	v_lshlrev_b64_e32 v[0:1], 3, v[1:2]
	s_delay_alu instid0(VALU_DEP_2) | instskip(NEXT) | instid1(VALU_DEP_1)
	v_lshlrev_b64_e32 v[3:4], 3, v[3:4]
	v_add_co_u32 v2, vcc_lo, s2, v3
	s_wait_alu 0xfffd
	s_delay_alu instid0(VALU_DEP_2) | instskip(NEXT) | instid1(VALU_DEP_2)
	v_add_co_ci_u32_e64 v3, null, s3, v4, vcc_lo
	v_add_co_u32 v0, vcc_lo, v2, v0
	s_wait_alu 0xfffd
	s_delay_alu instid0(VALU_DEP_2)
	v_add_co_ci_u32_e64 v1, null, v3, v1, vcc_lo
	global_store_b64 v[0:1], v[125:126], off
.LBB130_222:
	s_nop 0
	s_sendmsg sendmsg(MSG_DEALLOC_VGPRS)
	s_endpgm
	.section	.rodata,"a",@progbits
	.p2align	6, 0x0
	.amdhsa_kernel _ZN2at6native12_GLOBAL__N_135GammaBetaBackwardCUDAKernelTemplateIddLj32ELj1ELj32ELb1ELb0ELb1EEEvllPKT_S5_PKT0_S8_PS3_S9_
		.amdhsa_group_segment_fixed_size 0
		.amdhsa_private_segment_fixed_size 592
		.amdhsa_kernarg_size 320
		.amdhsa_user_sgpr_count 2
		.amdhsa_user_sgpr_dispatch_ptr 0
		.amdhsa_user_sgpr_queue_ptr 0
		.amdhsa_user_sgpr_kernarg_segment_ptr 1
		.amdhsa_user_sgpr_dispatch_id 0
		.amdhsa_user_sgpr_private_segment_size 0
		.amdhsa_wavefront_size32 1
		.amdhsa_uses_dynamic_stack 0
		.amdhsa_enable_private_segment 1
		.amdhsa_system_sgpr_workgroup_id_x 1
		.amdhsa_system_sgpr_workgroup_id_y 1
		.amdhsa_system_sgpr_workgroup_id_z 0
		.amdhsa_system_sgpr_workgroup_info 0
		.amdhsa_system_vgpr_workitem_id 1
		.amdhsa_next_free_vgpr 256
		.amdhsa_next_free_sgpr 32
		.amdhsa_reserve_vcc 1
		.amdhsa_float_round_mode_32 0
		.amdhsa_float_round_mode_16_64 0
		.amdhsa_float_denorm_mode_32 3
		.amdhsa_float_denorm_mode_16_64 3
		.amdhsa_fp16_overflow 0
		.amdhsa_workgroup_processor_mode 1
		.amdhsa_memory_ordered 1
		.amdhsa_forward_progress 1
		.amdhsa_inst_pref_size 255
		.amdhsa_round_robin_scheduling 0
		.amdhsa_exception_fp_ieee_invalid_op 0
		.amdhsa_exception_fp_denorm_src 0
		.amdhsa_exception_fp_ieee_div_zero 0
		.amdhsa_exception_fp_ieee_overflow 0
		.amdhsa_exception_fp_ieee_underflow 0
		.amdhsa_exception_fp_ieee_inexact 0
		.amdhsa_exception_int_div_zero 0
	.end_amdhsa_kernel
	.section	.text._ZN2at6native12_GLOBAL__N_135GammaBetaBackwardCUDAKernelTemplateIddLj32ELj1ELj32ELb1ELb0ELb1EEEvllPKT_S5_PKT0_S8_PS3_S9_,"axG",@progbits,_ZN2at6native12_GLOBAL__N_135GammaBetaBackwardCUDAKernelTemplateIddLj32ELj1ELj32ELb1ELb0ELb1EEEvllPKT_S5_PKT0_S8_PS3_S9_,comdat
.Lfunc_end130:
	.size	_ZN2at6native12_GLOBAL__N_135GammaBetaBackwardCUDAKernelTemplateIddLj32ELj1ELj32ELb1ELb0ELb1EEEvllPKT_S5_PKT0_S8_PS3_S9_, .Lfunc_end130-_ZN2at6native12_GLOBAL__N_135GammaBetaBackwardCUDAKernelTemplateIddLj32ELj1ELj32ELb1ELb0ELb1EEEvllPKT_S5_PKT0_S8_PS3_S9_
                                        ; -- End function
	.set _ZN2at6native12_GLOBAL__N_135GammaBetaBackwardCUDAKernelTemplateIddLj32ELj1ELj32ELb1ELb0ELb1EEEvllPKT_S5_PKT0_S8_PS3_S9_.num_vgpr, 256
	.set _ZN2at6native12_GLOBAL__N_135GammaBetaBackwardCUDAKernelTemplateIddLj32ELj1ELj32ELb1ELb0ELb1EEEvllPKT_S5_PKT0_S8_PS3_S9_.num_agpr, 0
	.set _ZN2at6native12_GLOBAL__N_135GammaBetaBackwardCUDAKernelTemplateIddLj32ELj1ELj32ELb1ELb0ELb1EEEvllPKT_S5_PKT0_S8_PS3_S9_.numbered_sgpr, 32
	.set _ZN2at6native12_GLOBAL__N_135GammaBetaBackwardCUDAKernelTemplateIddLj32ELj1ELj32ELb1ELb0ELb1EEEvllPKT_S5_PKT0_S8_PS3_S9_.num_named_barrier, 0
	.set _ZN2at6native12_GLOBAL__N_135GammaBetaBackwardCUDAKernelTemplateIddLj32ELj1ELj32ELb1ELb0ELb1EEEvllPKT_S5_PKT0_S8_PS3_S9_.private_seg_size, 592
	.set _ZN2at6native12_GLOBAL__N_135GammaBetaBackwardCUDAKernelTemplateIddLj32ELj1ELj32ELb1ELb0ELb1EEEvllPKT_S5_PKT0_S8_PS3_S9_.uses_vcc, 1
	.set _ZN2at6native12_GLOBAL__N_135GammaBetaBackwardCUDAKernelTemplateIddLj32ELj1ELj32ELb1ELb0ELb1EEEvllPKT_S5_PKT0_S8_PS3_S9_.uses_flat_scratch, 1
	.set _ZN2at6native12_GLOBAL__N_135GammaBetaBackwardCUDAKernelTemplateIddLj32ELj1ELj32ELb1ELb0ELb1EEEvllPKT_S5_PKT0_S8_PS3_S9_.has_dyn_sized_stack, 0
	.set _ZN2at6native12_GLOBAL__N_135GammaBetaBackwardCUDAKernelTemplateIddLj32ELj1ELj32ELb1ELb0ELb1EEEvllPKT_S5_PKT0_S8_PS3_S9_.has_recursion, 0
	.set _ZN2at6native12_GLOBAL__N_135GammaBetaBackwardCUDAKernelTemplateIddLj32ELj1ELj32ELb1ELb0ELb1EEEvllPKT_S5_PKT0_S8_PS3_S9_.has_indirect_call, 0
	.section	.AMDGPU.csdata,"",@progbits
; Kernel info:
; codeLenInByte = 38064
; TotalNumSgprs: 34
; NumVgprs: 256
; ScratchSize: 592
; MemoryBound: 1
; FloatMode: 240
; IeeeMode: 1
; LDSByteSize: 0 bytes/workgroup (compile time only)
; SGPRBlocks: 0
; VGPRBlocks: 31
; NumSGPRsForWavesPerEU: 34
; NumVGPRsForWavesPerEU: 256
; Occupancy: 5
; WaveLimiterHint : 0
; COMPUTE_PGM_RSRC2:SCRATCH_EN: 1
; COMPUTE_PGM_RSRC2:USER_SGPR: 2
; COMPUTE_PGM_RSRC2:TRAP_HANDLER: 0
; COMPUTE_PGM_RSRC2:TGID_X_EN: 1
; COMPUTE_PGM_RSRC2:TGID_Y_EN: 1
; COMPUTE_PGM_RSRC2:TGID_Z_EN: 0
; COMPUTE_PGM_RSRC2:TIDIG_COMP_CNT: 1
	.section	.text._ZN2at6native12_GLOBAL__N_135GammaBetaBackwardCUDAKernelTemplateIddLj32ELj1ELj8ELb1ELb1ELb1EEEvllPKT_S5_PKT0_S8_PS3_S9_,"axG",@progbits,_ZN2at6native12_GLOBAL__N_135GammaBetaBackwardCUDAKernelTemplateIddLj32ELj1ELj8ELb1ELb1ELb1EEEvllPKT_S5_PKT0_S8_PS3_S9_,comdat
	.globl	_ZN2at6native12_GLOBAL__N_135GammaBetaBackwardCUDAKernelTemplateIddLj32ELj1ELj8ELb1ELb1ELb1EEEvllPKT_S5_PKT0_S8_PS3_S9_ ; -- Begin function _ZN2at6native12_GLOBAL__N_135GammaBetaBackwardCUDAKernelTemplateIddLj32ELj1ELj8ELb1ELb1ELb1EEEvllPKT_S5_PKT0_S8_PS3_S9_
	.p2align	8
	.type	_ZN2at6native12_GLOBAL__N_135GammaBetaBackwardCUDAKernelTemplateIddLj32ELj1ELj8ELb1ELb1ELb1EEEvllPKT_S5_PKT0_S8_PS3_S9_,@function
_ZN2at6native12_GLOBAL__N_135GammaBetaBackwardCUDAKernelTemplateIddLj32ELj1ELj8ELb1ELb1ELb1EEEvllPKT_S5_PKT0_S8_PS3_S9_: ; @_ZN2at6native12_GLOBAL__N_135GammaBetaBackwardCUDAKernelTemplateIddLj32ELj1ELj8ELb1ELb1ELb1EEEvllPKT_S5_PKT0_S8_PS3_S9_
; %bb.0:
	s_clause 0x1
	s_load_b128 s[4:7], s[0:1], 0x0
	s_load_b64 s[12:13], s[0:1], 0x30
	s_lshl_b32 s14, ttmp7, 3
	s_mov_b32 s15, 0
	v_mov_b32_e32 v8, 0
	v_mov_b32_e32 v9, 0
	v_bfe_u32 v1, v0, 10, 10
	v_and_b32_e32 v0, 0x3ff, v0
	s_wait_kmcnt 0x0
	v_cmp_le_i64_e64 s2, s[4:5], s[14:15]
	s_and_b32 vcc_lo, exec_lo, s2
	s_cbranch_vccnz .LBB131_7
; %bb.1:
	s_load_b32 s2, s[0:1], 0x4c
	v_dual_mov_b32 v3, 0 :: v_dual_lshlrev_b32 v2, 3, v1
	s_clause 0x2
	s_load_b32 s3, s[0:1], 0x44
	s_load_b128 s[8:11], s[0:1], 0x10
	s_load_b64 s[18:19], s[0:1], 0x28
	s_mov_b32 s17, s15
	v_dual_mov_b32 v12, 8 :: v_dual_mov_b32 v13, 4
	v_add_co_u32 v4, s16, v2, s14
	s_delay_alu instid0(VALU_DEP_1) | instskip(SKIP_1) | instid1(VALU_DEP_3)
	v_add_co_ci_u32_e64 v5, null, 0, 0, s16
	v_lshl_or_b32 v2, ttmp9, 5, v0
	v_mul_lo_u32 v10, s7, v4
	v_mad_co_u64_u32 v[6:7], null, s6, v4, 0
	s_delay_alu instid0(VALU_DEP_4)
	v_mul_lo_u32 v11, s6, v5
	v_dual_mov_b32 v14, 12 :: v_dual_mov_b32 v15, 16
	v_dual_mov_b32 v16, 20 :: v_dual_mov_b32 v17, 24
	s_wait_kmcnt 0x0
	s_and_b32 s2, s2, 0xffff
	s_lshl_b32 s16, s3, 3
	v_mad_u32_u24 v8, v1, s2, v0
	s_delay_alu instid0(VALU_DEP_4)
	v_add3_u32 v7, v7, v11, v10
	s_wait_alu 0xfffe
	s_mul_u64 s[20:21], s[6:7], s[16:17]
	s_lshl_b64 s[22:23], s[6:7], 3
	s_lshl_b64 s[20:21], s[20:21], 3
	v_and_b32_e32 v20, 31, v8
	v_lshlrev_b64_e32 v[8:9], 3, v[2:3]
	v_lshlrev_b64_e32 v[6:7], 3, v[6:7]
	v_mov_b32_e32 v2, 28
	s_delay_alu instid0(VALU_DEP_4) | instskip(NEXT) | instid1(VALU_DEP_1)
	v_add_co_u32 v4, vcc_lo, v4, v20
	v_add_co_ci_u32_e64 v5, null, 0, v5, vcc_lo
	s_delay_alu instid0(VALU_DEP_4) | instskip(SKIP_2) | instid1(VALU_DEP_3)
	v_add_co_u32 v18, vcc_lo, v6, v8
	s_wait_alu 0xfffd
	v_add_co_ci_u32_e64 v19, null, v7, v9, vcc_lo
	v_lshlrev_b64_e32 v[10:11], 3, v[4:5]
	v_mov_b32_e32 v8, 0
	v_mov_b32_e32 v9, 0
	v_cmp_gt_u32_e64 s2, 8, v20
	s_delay_alu instid0(VALU_DEP_4)
	v_add_co_u32 v6, vcc_lo, s18, v10
	s_wait_alu 0xfffd
	v_add_co_ci_u32_e64 v7, null, s19, v11, vcc_lo
	s_lshl_b64 s[18:19], s[16:17], 3
	s_branch .LBB131_4
.LBB131_2:                              ;   in Loop: Header=BB131_4 Depth=1
	s_or_b32 exec_lo, exec_lo, s24
.LBB131_3:                              ;   in Loop: Header=BB131_4 Depth=1
	s_wait_alu 0xfffe
	s_or_b32 exec_lo, exec_lo, s3
	v_add_co_u32 v20, vcc_lo, s8, v18
	s_wait_alu 0xfffd
	v_add_co_ci_u32_e64 v21, null, s9, v19, vcc_lo
	v_add_co_u32 v22, vcc_lo, s10, v18
	s_wait_alu 0xfffd
	v_add_co_ci_u32_e64 v23, null, s11, v19, vcc_lo
	global_load_b64 v[24:25], v[20:21], off
	global_load_b64 v[26:27], v[22:23], off
	v_add_co_u32 v20, vcc_lo, v20, s22
	s_wait_alu 0xfffd
	v_add_co_ci_u32_e64 v21, null, s23, v21, vcc_lo
	v_add_co_u32 v22, vcc_lo, v22, s22
	s_wait_alu 0xfffd
	v_add_co_ci_u32_e64 v23, null, s23, v23, vcc_lo
	global_load_b64 v[28:29], v[20:21], off
	global_load_b64 v[30:31], v[22:23], off
	;; [unrolled: 8-line block ×8, first 2 shown]
	v_add_co_u32 v6, vcc_lo, v6, s18
	s_add_nc_u64 s[14:15], s[14:15], s[16:17]
	s_wait_alu 0xfffd
	v_add_co_ci_u32_e64 v7, null, s19, v7, vcc_lo
	v_add_co_u32 v4, vcc_lo, v4, s16
	s_wait_alu 0xfffe
	v_cmp_lt_i64_e64 s3, s[14:15], s[4:5]
	s_wait_alu 0xfffd
	v_add_co_ci_u32_e64 v5, null, 0, v5, vcc_lo
	v_add_co_u32 v18, vcc_lo, v18, s20
	s_wait_alu 0xfffd
	v_add_co_ci_u32_e64 v19, null, s21, v19, vcc_lo
	s_and_b32 vcc_lo, exec_lo, s3
	s_wait_loadcnt 0xe
	v_mul_f64_e32 v[24:25], v[24:25], v[26:27]
	ds_bpermute_b32 v26, v3, v10
	ds_bpermute_b32 v27, v3, v11
	s_wait_loadcnt 0xc
	v_mul_f64_e32 v[28:29], v[28:29], v[30:31]
	s_wait_dscnt 0x0
	v_fma_f64 v[8:9], v[24:25], v[26:27], v[8:9]
	ds_bpermute_b32 v24, v13, v10
	ds_bpermute_b32 v25, v13, v11
	s_wait_loadcnt 0xa
	v_mul_f64_e32 v[26:27], v[32:33], v[34:35]
	s_wait_dscnt 0x0
	v_fma_f64 v[8:9], v[28:29], v[24:25], v[8:9]
	ds_bpermute_b32 v24, v12, v10
	ds_bpermute_b32 v25, v12, v11
	s_wait_loadcnt 0x8
	v_mul_f64_e32 v[28:29], v[36:37], v[38:39]
	s_wait_loadcnt 0x0
	v_mul_f64_e32 v[20:21], v[20:21], v[22:23]
	s_wait_dscnt 0x0
	v_fma_f64 v[8:9], v[26:27], v[24:25], v[8:9]
	ds_bpermute_b32 v24, v14, v10
	ds_bpermute_b32 v25, v14, v11
	v_mul_f64_e32 v[26:27], v[40:41], v[42:43]
	s_wait_dscnt 0x0
	v_fma_f64 v[8:9], v[28:29], v[24:25], v[8:9]
	ds_bpermute_b32 v24, v15, v10
	ds_bpermute_b32 v25, v15, v11
	;; [unrolled: 5-line block ×4, first 2 shown]
	ds_bpermute_b32 v10, v2, v10
	ds_bpermute_b32 v11, v2, v11
	s_wait_dscnt 0x2
	v_fma_f64 v[8:9], v[26:27], v[24:25], v[8:9]
	s_wait_dscnt 0x0
	s_delay_alu instid0(VALU_DEP_1)
	v_fma_f64 v[8:9], v[20:21], v[10:11], v[8:9]
	s_wait_alu 0xfffe
	s_cbranch_vccz .LBB131_7
.LBB131_4:                              ; =>This Inner Loop Header: Depth=1
	v_mov_b32_e32 v10, 0
	v_mov_b32_e32 v11, 0
	s_and_saveexec_b32 s3, s2
	s_cbranch_execz .LBB131_3
; %bb.5:                                ;   in Loop: Header=BB131_4 Depth=1
	v_mov_b32_e32 v10, 0
	v_mov_b32_e32 v11, 0
	s_mov_b32 s24, exec_lo
	v_cmpx_gt_i64_e64 s[4:5], v[4:5]
	s_cbranch_execz .LBB131_2
; %bb.6:                                ;   in Loop: Header=BB131_4 Depth=1
	global_load_b64 v[10:11], v[6:7], off
	s_branch .LBB131_2
.LBB131_7:
	s_cmp_eq_u64 s[12:13], 0
	s_cbranch_scc1 .LBB131_9
; %bb.8:
	s_load_u16 s0, s[0:1], 0x4e
	v_mov_b32_e32 v2, 0
	s_mov_b32 s2, ttmp9
	s_mov_b32 s3, 0
	v_lshlrev_b32_e32 v0, 3, v0
	s_wait_kmcnt 0x0
	v_mad_co_u64_u32 v[1:2], null, s0, ttmp7, v[1:2]
	s_wait_alu 0xfffe
	s_lshl_b64 s[0:1], s[2:3], 8
	s_delay_alu instid0(VALU_DEP_1) | instskip(NEXT) | instid1(VALU_DEP_2)
	v_mul_lo_u32 v3, v2, s6
	v_mul_lo_u32 v4, v1, s7
	v_mad_co_u64_u32 v[1:2], null, v1, s6, 0
	s_delay_alu instid0(VALU_DEP_1) | instskip(NEXT) | instid1(VALU_DEP_1)
	v_add3_u32 v2, v2, v4, v3
	v_lshlrev_b64_e32 v[1:2], 3, v[1:2]
	s_delay_alu instid0(VALU_DEP_1) | instskip(SKIP_1) | instid1(VALU_DEP_2)
	v_add_co_u32 v1, vcc_lo, s12, v1
	s_wait_alu 0xfffd
	v_add_co_ci_u32_e64 v2, null, s13, v2, vcc_lo
	s_wait_alu 0xfffe
	s_delay_alu instid0(VALU_DEP_2) | instskip(SKIP_1) | instid1(VALU_DEP_2)
	v_add_co_u32 v1, vcc_lo, v1, s0
	s_wait_alu 0xfffd
	v_add_co_ci_u32_e64 v2, null, s1, v2, vcc_lo
	s_delay_alu instid0(VALU_DEP_2) | instskip(SKIP_1) | instid1(VALU_DEP_2)
	v_add_co_u32 v0, vcc_lo, v1, v0
	s_wait_alu 0xfffd
	v_add_co_ci_u32_e64 v1, null, 0, v2, vcc_lo
	global_store_b64 v[0:1], v[8:9], off
.LBB131_9:
	s_endpgm
	.section	.rodata,"a",@progbits
	.p2align	6, 0x0
	.amdhsa_kernel _ZN2at6native12_GLOBAL__N_135GammaBetaBackwardCUDAKernelTemplateIddLj32ELj1ELj8ELb1ELb1ELb1EEEvllPKT_S5_PKT0_S8_PS3_S9_
		.amdhsa_group_segment_fixed_size 0
		.amdhsa_private_segment_fixed_size 0
		.amdhsa_kernarg_size 320
		.amdhsa_user_sgpr_count 2
		.amdhsa_user_sgpr_dispatch_ptr 0
		.amdhsa_user_sgpr_queue_ptr 0
		.amdhsa_user_sgpr_kernarg_segment_ptr 1
		.amdhsa_user_sgpr_dispatch_id 0
		.amdhsa_user_sgpr_private_segment_size 0
		.amdhsa_wavefront_size32 1
		.amdhsa_uses_dynamic_stack 0
		.amdhsa_enable_private_segment 0
		.amdhsa_system_sgpr_workgroup_id_x 1
		.amdhsa_system_sgpr_workgroup_id_y 1
		.amdhsa_system_sgpr_workgroup_id_z 0
		.amdhsa_system_sgpr_workgroup_info 0
		.amdhsa_system_vgpr_workitem_id 1
		.amdhsa_next_free_vgpr 52
		.amdhsa_next_free_sgpr 25
		.amdhsa_reserve_vcc 1
		.amdhsa_float_round_mode_32 0
		.amdhsa_float_round_mode_16_64 0
		.amdhsa_float_denorm_mode_32 3
		.amdhsa_float_denorm_mode_16_64 3
		.amdhsa_fp16_overflow 0
		.amdhsa_workgroup_processor_mode 1
		.amdhsa_memory_ordered 1
		.amdhsa_forward_progress 1
		.amdhsa_inst_pref_size 12
		.amdhsa_round_robin_scheduling 0
		.amdhsa_exception_fp_ieee_invalid_op 0
		.amdhsa_exception_fp_denorm_src 0
		.amdhsa_exception_fp_ieee_div_zero 0
		.amdhsa_exception_fp_ieee_overflow 0
		.amdhsa_exception_fp_ieee_underflow 0
		.amdhsa_exception_fp_ieee_inexact 0
		.amdhsa_exception_int_div_zero 0
	.end_amdhsa_kernel
	.section	.text._ZN2at6native12_GLOBAL__N_135GammaBetaBackwardCUDAKernelTemplateIddLj32ELj1ELj8ELb1ELb1ELb1EEEvllPKT_S5_PKT0_S8_PS3_S9_,"axG",@progbits,_ZN2at6native12_GLOBAL__N_135GammaBetaBackwardCUDAKernelTemplateIddLj32ELj1ELj8ELb1ELb1ELb1EEEvllPKT_S5_PKT0_S8_PS3_S9_,comdat
.Lfunc_end131:
	.size	_ZN2at6native12_GLOBAL__N_135GammaBetaBackwardCUDAKernelTemplateIddLj32ELj1ELj8ELb1ELb1ELb1EEEvllPKT_S5_PKT0_S8_PS3_S9_, .Lfunc_end131-_ZN2at6native12_GLOBAL__N_135GammaBetaBackwardCUDAKernelTemplateIddLj32ELj1ELj8ELb1ELb1ELb1EEEvllPKT_S5_PKT0_S8_PS3_S9_
                                        ; -- End function
	.set _ZN2at6native12_GLOBAL__N_135GammaBetaBackwardCUDAKernelTemplateIddLj32ELj1ELj8ELb1ELb1ELb1EEEvllPKT_S5_PKT0_S8_PS3_S9_.num_vgpr, 52
	.set _ZN2at6native12_GLOBAL__N_135GammaBetaBackwardCUDAKernelTemplateIddLj32ELj1ELj8ELb1ELb1ELb1EEEvllPKT_S5_PKT0_S8_PS3_S9_.num_agpr, 0
	.set _ZN2at6native12_GLOBAL__N_135GammaBetaBackwardCUDAKernelTemplateIddLj32ELj1ELj8ELb1ELb1ELb1EEEvllPKT_S5_PKT0_S8_PS3_S9_.numbered_sgpr, 25
	.set _ZN2at6native12_GLOBAL__N_135GammaBetaBackwardCUDAKernelTemplateIddLj32ELj1ELj8ELb1ELb1ELb1EEEvllPKT_S5_PKT0_S8_PS3_S9_.num_named_barrier, 0
	.set _ZN2at6native12_GLOBAL__N_135GammaBetaBackwardCUDAKernelTemplateIddLj32ELj1ELj8ELb1ELb1ELb1EEEvllPKT_S5_PKT0_S8_PS3_S9_.private_seg_size, 0
	.set _ZN2at6native12_GLOBAL__N_135GammaBetaBackwardCUDAKernelTemplateIddLj32ELj1ELj8ELb1ELb1ELb1EEEvllPKT_S5_PKT0_S8_PS3_S9_.uses_vcc, 1
	.set _ZN2at6native12_GLOBAL__N_135GammaBetaBackwardCUDAKernelTemplateIddLj32ELj1ELj8ELb1ELb1ELb1EEEvllPKT_S5_PKT0_S8_PS3_S9_.uses_flat_scratch, 0
	.set _ZN2at6native12_GLOBAL__N_135GammaBetaBackwardCUDAKernelTemplateIddLj32ELj1ELj8ELb1ELb1ELb1EEEvllPKT_S5_PKT0_S8_PS3_S9_.has_dyn_sized_stack, 0
	.set _ZN2at6native12_GLOBAL__N_135GammaBetaBackwardCUDAKernelTemplateIddLj32ELj1ELj8ELb1ELb1ELb1EEEvllPKT_S5_PKT0_S8_PS3_S9_.has_recursion, 0
	.set _ZN2at6native12_GLOBAL__N_135GammaBetaBackwardCUDAKernelTemplateIddLj32ELj1ELj8ELb1ELb1ELb1EEEvllPKT_S5_PKT0_S8_PS3_S9_.has_indirect_call, 0
	.section	.AMDGPU.csdata,"",@progbits
; Kernel info:
; codeLenInByte = 1500
; TotalNumSgprs: 27
; NumVgprs: 52
; ScratchSize: 0
; MemoryBound: 0
; FloatMode: 240
; IeeeMode: 1
; LDSByteSize: 0 bytes/workgroup (compile time only)
; SGPRBlocks: 0
; VGPRBlocks: 6
; NumSGPRsForWavesPerEU: 27
; NumVGPRsForWavesPerEU: 52
; Occupancy: 16
; WaveLimiterHint : 0
; COMPUTE_PGM_RSRC2:SCRATCH_EN: 0
; COMPUTE_PGM_RSRC2:USER_SGPR: 2
; COMPUTE_PGM_RSRC2:TRAP_HANDLER: 0
; COMPUTE_PGM_RSRC2:TGID_X_EN: 1
; COMPUTE_PGM_RSRC2:TGID_Y_EN: 1
; COMPUTE_PGM_RSRC2:TGID_Z_EN: 0
; COMPUTE_PGM_RSRC2:TIDIG_COMP_CNT: 1
	.section	.text._ZN2at6native12_GLOBAL__N_135GammaBetaBackwardCUDAKernelTemplateIddLj32ELj1ELj8ELb1ELb0ELb1EEEvllPKT_S5_PKT0_S8_PS3_S9_,"axG",@progbits,_ZN2at6native12_GLOBAL__N_135GammaBetaBackwardCUDAKernelTemplateIddLj32ELj1ELj8ELb1ELb0ELb1EEEvllPKT_S5_PKT0_S8_PS3_S9_,comdat
	.globl	_ZN2at6native12_GLOBAL__N_135GammaBetaBackwardCUDAKernelTemplateIddLj32ELj1ELj8ELb1ELb0ELb1EEEvllPKT_S5_PKT0_S8_PS3_S9_ ; -- Begin function _ZN2at6native12_GLOBAL__N_135GammaBetaBackwardCUDAKernelTemplateIddLj32ELj1ELj8ELb1ELb0ELb1EEEvllPKT_S5_PKT0_S8_PS3_S9_
	.p2align	8
	.type	_ZN2at6native12_GLOBAL__N_135GammaBetaBackwardCUDAKernelTemplateIddLj32ELj1ELj8ELb1ELb0ELb1EEEvllPKT_S5_PKT0_S8_PS3_S9_,@function
_ZN2at6native12_GLOBAL__N_135GammaBetaBackwardCUDAKernelTemplateIddLj32ELj1ELj8ELb1ELb0ELb1EEEvllPKT_S5_PKT0_S8_PS3_S9_: ; @_ZN2at6native12_GLOBAL__N_135GammaBetaBackwardCUDAKernelTemplateIddLj32ELj1ELj8ELb1ELb0ELb1EEEvllPKT_S5_PKT0_S8_PS3_S9_
; %bb.0:
	s_clause 0x1
	s_load_b256 s[4:11], s[0:1], 0x0
	s_load_b64 s[12:13], s[0:1], 0x28
	s_lshl_b32 s28, ttmp9, 5
	s_mov_b32 s15, 0
	s_or_b32 s14, s28, 31
	s_wait_kmcnt 0x0
	v_cmp_le_i64_e64 s2, s[6:7], s[14:15]
	s_lshl_b32 s14, ttmp7, 3
	s_wait_alu 0xfffe
	v_cmp_gt_i64_e64 s29, s[4:5], s[14:15]
	s_and_b32 vcc_lo, exec_lo, s2
	v_cndmask_b32_e64 v1, 0, 1, s29
	s_delay_alu instid0(VALU_DEP_1)
	v_cmp_ne_u32_e64 s2, 1, v1
	s_cbranch_vccz .LBB132_48
; %bb.1:
	v_mov_b32_e32 v36, 0
	v_mov_b32_e32 v37, 0
	s_and_b32 vcc_lo, exec_lo, s2
	s_cbranch_vccnz .LBB132_49
; %bb.2:
	v_bfe_u32 v44, v0, 10, 10
	v_dual_mov_b32 v1, 0 :: v_dual_and_b32 v46, 0x3ff, v0
	s_load_b32 s3, s[0:1], 0x44
	s_mov_b32 s17, 0
	s_delay_alu instid0(VALU_DEP_2) | instskip(NEXT) | instid1(VALU_DEP_2)
	v_dual_mov_b32 v36, 0 :: v_dual_lshlrev_b32 v45, 3, v44
	v_dual_mov_b32 v5, v1 :: v_dual_add_nc_u32 v4, s28, v46
	s_mov_b32 s21, s17
	s_delay_alu instid0(VALU_DEP_2) | instskip(NEXT) | instid1(VALU_DEP_1)
	v_add_co_u32 v10, s2, v45, s14
	v_add_co_ci_u32_e64 v11, null, 0, 0, s2
	s_delay_alu instid0(VALU_DEP_3) | instskip(NEXT) | instid1(VALU_DEP_3)
	v_cmp_gt_i64_e64 s2, s[6:7], v[4:5]
	v_mul_lo_u32 v6, s7, v10
	v_mad_co_u64_u32 v[2:3], null, s6, v10, 0
	s_delay_alu instid0(VALU_DEP_4)
	v_mul_lo_u32 v7, s6, v11
	v_lshlrev_b64_e32 v[34:35], 3, v[4:5]
	v_mov_b32_e32 v47, v1
	v_mov_b32_e32 v37, 0
	s_add_nc_u64 s[18:19], s[0:1], 64
	s_wait_kmcnt 0x0
	s_lshl_b32 s20, s3, 3
	s_mov_b64 s[24:25], 7
	s_mul_u64 s[22:23], s[6:7], s[20:21]
	v_add3_u32 v3, v3, v7, v6
	v_add_co_u32 v6, vcc_lo, v10, 7
	s_delay_alu instid0(VALU_DEP_1)
	v_add_co_ci_u32_e64 v7, null, 0, v11, vcc_lo
	v_add_co_u32 v8, vcc_lo, v10, 6
	s_wait_alu 0xfffd
	v_add_co_ci_u32_e64 v9, null, 0, v11, vcc_lo
	v_lshlrev_b64_e32 v[4:5], 3, v[2:3]
	v_mul_lo_u32 v12, s7, v6
	v_mul_lo_u32 v13, s6, v7
	v_mad_co_u64_u32 v[6:7], null, s6, v6, 0
	v_mul_lo_u32 v14, s7, v8
	v_mul_lo_u32 v15, s6, v9
	v_mad_co_u64_u32 v[8:9], null, s6, v8, 0
	v_add_co_u32 v48, vcc_lo, s8, v4
	s_wait_alu 0xfffd
	v_add_co_ci_u32_e64 v49, null, s9, v5, vcc_lo
	v_add_co_u32 v50, vcc_lo, s10, v4
	v_add3_u32 v7, v7, v13, v12
	s_wait_alu 0xfffd
	v_add_co_ci_u32_e64 v51, null, s11, v5, vcc_lo
	v_add_co_u32 v12, vcc_lo, v10, 5
	v_add3_u32 v9, v9, v15, v14
	s_wait_alu 0xfffd
	v_add_co_ci_u32_e64 v13, null, 0, v11, vcc_lo
	v_lshlrev_b64_e32 v[4:5], 3, v[6:7]
	v_mul_lo_u32 v14, s7, v12
	v_lshlrev_b64_e32 v[6:7], 3, v[8:9]
	s_delay_alu instid0(VALU_DEP_4)
	v_mul_lo_u32 v13, s6, v13
	v_mad_co_u64_u32 v[8:9], null, s6, v12, 0
	v_add_co_u32 v52, vcc_lo, s8, v4
	s_wait_alu 0xfffd
	v_add_co_ci_u32_e64 v53, null, s9, v5, vcc_lo
	v_add_co_u32 v54, vcc_lo, s10, v4
	s_wait_alu 0xfffd
	v_add_co_ci_u32_e64 v55, null, s11, v5, vcc_lo
	v_add_co_u32 v56, vcc_lo, s8, v6
	v_add3_u32 v9, v9, v13, v14
	s_wait_alu 0xfffd
	v_add_co_ci_u32_e64 v57, null, s9, v7, vcc_lo
	v_add_co_u32 v12, vcc_lo, v10, 4
	v_add_co_u32 v58, s3, s10, v6
	s_wait_alu 0xfffd
	v_add_co_ci_u32_e64 v6, null, 0, v11, vcc_lo
	v_lshlrev_b64_e32 v[4:5], 3, v[8:9]
	v_add_co_u32 v8, vcc_lo, v10, 3
	s_wait_alu 0xfffd
	v_add_co_ci_u32_e64 v9, null, 0, v11, vcc_lo
	s_wait_alu 0xf1ff
	v_add_co_ci_u32_e64 v59, null, s11, v7, s3
	v_mul_lo_u32 v13, s7, v12
	v_mul_lo_u32 v14, s6, v6
	v_mad_co_u64_u32 v[6:7], null, s6, v12, 0
	v_mul_lo_u32 v12, s7, v8
	v_mul_lo_u32 v15, s6, v9
	v_mad_co_u64_u32 v[8:9], null, s6, v8, 0
	v_add_co_u32 v60, vcc_lo, s8, v4
	s_wait_alu 0xfffd
	v_add_co_ci_u32_e64 v61, null, s9, v5, vcc_lo
	v_add3_u32 v7, v7, v14, v13
	v_add_co_u32 v62, vcc_lo, s10, v4
	s_wait_alu 0xfffd
	v_add_co_ci_u32_e64 v63, null, s11, v5, vcc_lo
	v_add_co_u32 v10, vcc_lo, v10, 2
	v_add3_u32 v9, v9, v15, v12
	s_wait_alu 0xfffd
	v_add_co_ci_u32_e64 v11, null, 0, v11, vcc_lo
	v_lshlrev_b64_e32 v[4:5], 3, v[6:7]
	v_mul_lo_u32 v12, s7, v10
	v_lshlrev_b64_e32 v[6:7], 3, v[8:9]
	s_delay_alu instid0(VALU_DEP_4)
	v_mul_lo_u32 v11, s6, v11
	v_mad_co_u64_u32 v[8:9], null, s6, v10, 0
	v_add_co_u32 v64, vcc_lo, s8, v4
	s_wait_alu 0xfffd
	v_add_co_ci_u32_e64 v65, null, s9, v5, vcc_lo
	v_add_co_u32 v66, vcc_lo, s10, v4
	s_wait_alu 0xfffd
	v_add_co_ci_u32_e64 v67, null, s11, v5, vcc_lo
	;; [unrolled: 3-line block ×3, first 2 shown]
	v_add3_u32 v9, v9, v11, v12
	v_add_co_u32 v70, vcc_lo, s10, v6
	s_wait_alu 0xfffd
	v_add_co_ci_u32_e64 v71, null, s11, v7, vcc_lo
	v_add_co_u32 v2, vcc_lo, v2, s6
	s_wait_alu 0xfffd
	v_add_co_ci_u32_e64 v3, null, s7, v3, vcc_lo
	v_lshlrev_b64_e32 v[4:5], 3, v[8:9]
	s_lshl_b64 s[22:23], s[22:23], 3
	s_mov_b64 s[26:27], s[14:15]
	s_delay_alu instid0(VALU_DEP_2) | instskip(NEXT) | instid1(VALU_DEP_2)
	v_lshlrev_b64_e32 v[2:3], 3, v[2:3]
	v_add_co_u32 v72, vcc_lo, s8, v4
	s_wait_alu 0xfffd
	v_add_co_ci_u32_e64 v73, null, s9, v5, vcc_lo
	v_add_co_u32 v74, vcc_lo, s10, v4
	s_wait_alu 0xfffd
	v_add_co_ci_u32_e64 v75, null, s11, v5, vcc_lo
	;; [unrolled: 3-line block ×4, first 2 shown]
	s_branch .LBB132_5
.LBB132_3:                              ;   in Loop: Header=BB132_5 Depth=1
	s_wait_alu 0xfffe
	s_or_b32 exec_lo, exec_lo, s3
	s_wait_loadcnt 0x0
	v_mul_f64_e32 v[2:3], v[18:19], v[2:3]
	ds_bpermute_b32 v18, v1, v40
	ds_bpermute_b32 v19, v1, v41
	v_mul_f64_e32 v[4:5], v[20:21], v[4:5]
	v_mul_f64_e32 v[6:7], v[22:23], v[6:7]
	;; [unrolled: 1-line block ×3, first 2 shown]
	s_wait_dscnt 0x0
	v_fma_f64 v[2:3], v[2:3], v[18:19], v[36:37]
	ds_bpermute_b32 v18, v1, v40 offset:4
	ds_bpermute_b32 v19, v1, v41 offset:4
	s_wait_dscnt 0x0
	v_fma_f64 v[2:3], v[4:5], v[18:19], v[2:3]
	ds_bpermute_b32 v4, v1, v40 offset:8
	ds_bpermute_b32 v5, v1, v41 offset:8
	s_wait_dscnt 0x0
	v_fma_f64 v[2:3], v[6:7], v[4:5], v[2:3]
	ds_bpermute_b32 v4, v1, v40 offset:12
	ds_bpermute_b32 v5, v1, v41 offset:12
	v_mul_f64_e32 v[6:7], v[26:27], v[10:11]
	s_wait_dscnt 0x0
	v_fma_f64 v[2:3], v[8:9], v[4:5], v[2:3]
	ds_bpermute_b32 v4, v1, v40 offset:16
	ds_bpermute_b32 v5, v1, v41 offset:16
	v_mul_f64_e32 v[8:9], v[28:29], v[12:13]
	s_wait_dscnt 0x0
	v_fma_f64 v[2:3], v[6:7], v[4:5], v[2:3]
	ds_bpermute_b32 v4, v1, v40 offset:20
	ds_bpermute_b32 v5, v1, v41 offset:20
	ds_bpermute_b32 v6, v1, v40 offset:24
	ds_bpermute_b32 v7, v1, v41 offset:24
	s_wait_dscnt 0x2
	v_fma_f64 v[2:3], v[8:9], v[4:5], v[2:3]
	v_mul_f64_e32 v[4:5], v[30:31], v[14:15]
	s_wait_dscnt 0x0
	s_delay_alu instid0(VALU_DEP_1)
	v_fma_f64 v[42:43], v[4:5], v[6:7], v[2:3]
	ds_bpermute_b32 v2, v1, v40 offset:28
	ds_bpermute_b32 v3, v1, v41 offset:28
.LBB132_4:                              ;   in Loop: Header=BB132_5 Depth=1
	v_mul_f64_e32 v[4:5], v[16:17], v[32:33]
	v_add_co_u32 v48, vcc_lo, v48, s22
	s_wait_alu 0xfffd
	v_add_co_ci_u32_e64 v49, null, s23, v49, vcc_lo
	v_add_co_u32 v50, vcc_lo, v50, s22
	s_wait_alu 0xfffd
	v_add_co_ci_u32_e64 v51, null, s23, v51, vcc_lo
	;; [unrolled: 3-line block ×9, first 2 shown]
	v_add_co_u32 v66, vcc_lo, v66, s22
	s_wait_dscnt 0x0
	v_fma_f64 v[36:37], v[4:5], v[2:3], v[42:43]
	s_wait_alu 0xfffd
	v_add_co_ci_u32_e64 v67, null, s23, v67, vcc_lo
	v_add_co_u32 v68, vcc_lo, v68, s22
	s_wait_alu 0xfffd
	v_add_co_ci_u32_e64 v69, null, s23, v69, vcc_lo
	v_add_co_u32 v70, vcc_lo, v70, s22
	;; [unrolled: 3-line block ×5, first 2 shown]
	s_add_nc_u64 s[26:27], s[26:27], s[20:21]
	s_wait_alu 0xfffd
	v_add_co_ci_u32_e64 v77, null, s23, v77, vcc_lo
	v_add_co_u32 v78, vcc_lo, v78, s22
	s_wait_alu 0xfffe
	v_cmp_lt_i64_e64 s3, s[26:27], s[4:5]
	s_wait_alu 0xfffd
	v_add_co_ci_u32_e64 v79, null, s23, v79, vcc_lo
	v_add_co_u32 v45, vcc_lo, v45, s20
	s_wait_alu 0xfffd
	v_add_co_ci_u32_e64 v47, null, 0, v47, vcc_lo
	s_and_b32 vcc_lo, exec_lo, s3
	s_add_nc_u64 s[24:25], s[24:25], s[20:21]
	s_wait_alu 0xfffe
	s_cbranch_vccz .LBB132_49
.LBB132_5:                              ; =>This Inner Loop Header: Depth=1
	s_add_nc_u64 s[30:31], s[14:15], s[24:25]
	v_add_co_u32 v38, vcc_lo, s14, v45
	s_wait_alu 0xfffe
	v_cmp_ge_i64_e64 s3, s[30:31], s[4:5]
	s_wait_alu 0xfffd
	v_add_co_ci_u32_e64 v39, null, 0, v47, vcc_lo
                                        ; implicit-def: $vgpr2_vgpr3_vgpr4_vgpr5_vgpr6_vgpr7_vgpr8_vgpr9_vgpr10_vgpr11_vgpr12_vgpr13_vgpr14_vgpr15_vgpr16_vgpr17
                                        ; implicit-def: $vgpr42_vgpr43
                                        ; implicit-def: $vgpr18_vgpr19_vgpr20_vgpr21_vgpr22_vgpr23_vgpr24_vgpr25_vgpr26_vgpr27_vgpr28_vgpr29_vgpr30_vgpr31_vgpr32_vgpr33
                                        ; implicit-def: $vgpr2
	s_and_b32 vcc_lo, exec_lo, s3
	s_mov_b32 s3, -1
	s_wait_alu 0xfffe
	s_cbranch_vccz .LBB132_27
; %bb.6:                                ;   in Loop: Header=BB132_5 Depth=1
	s_load_b32 s3, s[18:19], 0xc
	v_mov_b32_e32 v40, 0
	v_mov_b32_e32 v41, 0
	s_wait_kmcnt 0x0
	s_and_b32 s3, s3, 0xffff
	s_wait_alu 0xfffe
	v_mad_u32_u24 v2, v44, s3, v46
	s_mov_b32 s3, exec_lo
	s_delay_alu instid0(VALU_DEP_1) | instskip(NEXT) | instid1(VALU_DEP_1)
	v_and_b32_e32 v2, 31, v2
	v_cmpx_gt_u32_e32 8, v2
	s_cbranch_execz .LBB132_10
; %bb.7:                                ;   in Loop: Header=BB132_5 Depth=1
	v_add_co_u32 v2, vcc_lo, v38, v2
	v_mov_b32_e32 v40, 0
	s_wait_alu 0xfffd
	v_add_co_ci_u32_e64 v3, null, 0, v39, vcc_lo
	v_mov_b32_e32 v41, 0
	s_mov_b32 s16, exec_lo
	s_delay_alu instid0(VALU_DEP_2)
	v_cmpx_gt_i64_e64 s[4:5], v[2:3]
	s_cbranch_execz .LBB132_9
; %bb.8:                                ;   in Loop: Header=BB132_5 Depth=1
	v_lshlrev_b64_e32 v[2:3], 3, v[2:3]
	s_delay_alu instid0(VALU_DEP_1) | instskip(SKIP_1) | instid1(VALU_DEP_2)
	v_add_co_u32 v2, vcc_lo, s12, v2
	s_wait_alu 0xfffd
	v_add_co_ci_u32_e64 v3, null, s13, v3, vcc_lo
	global_load_b64 v[40:41], v[2:3], off
.LBB132_9:                              ;   in Loop: Header=BB132_5 Depth=1
	s_or_b32 exec_lo, exec_lo, s16
.LBB132_10:                             ;   in Loop: Header=BB132_5 Depth=1
	s_wait_alu 0xfffe
	s_or_b32 exec_lo, exec_lo, s3
	v_mov_b32_e32 v16, v1
	v_dual_mov_b32 v2, v1 :: v_dual_mov_b32 v3, v1
	v_dual_mov_b32 v4, v1 :: v_dual_mov_b32 v5, v1
	;; [unrolled: 1-line block ×7, first 2 shown]
	v_cmp_gt_i64_e32 vcc_lo, s[4:5], v[38:39]
	s_delay_alu instid0(VALU_DEP_3) | instskip(NEXT) | instid1(VALU_DEP_3)
	v_dual_mov_b32 v33, v16 :: v_dual_mov_b32 v30, v13
	v_dual_mov_b32 v31, v14 :: v_dual_mov_b32 v32, v15
	;; [unrolled: 1-line block ×8, first 2 shown]
	v_mov_b32_e32 v17, v16
	v_mov_b32_e32 v16, v15
	;; [unrolled: 1-line block ×16, first 2 shown]
	s_and_b32 s16, s2, vcc_lo
	s_delay_alu instid0(SALU_CYCLE_1)
	s_and_saveexec_b32 s3, s16
	s_cbranch_execz .LBB132_12
; %bb.11:                               ;   in Loop: Header=BB132_5 Depth=1
	v_add_co_u32 v2, vcc_lo, v48, v34
	s_wait_alu 0xfffd
	v_add_co_ci_u32_e64 v3, null, v49, v35, vcc_lo
	v_add_co_u32 v4, vcc_lo, v50, v34
	s_wait_alu 0xfffd
	v_add_co_ci_u32_e64 v5, null, v51, v35, vcc_lo
	global_load_b64 v[2:3], v[2:3], off
	global_load_b64 v[18:19], v[4:5], off
	v_dual_mov_b32 v4, v1 :: v_dual_mov_b32 v5, v1
	v_dual_mov_b32 v6, v1 :: v_dual_mov_b32 v7, v1
	v_dual_mov_b32 v8, v1 :: v_dual_mov_b32 v9, v1
	v_dual_mov_b32 v10, v1 :: v_dual_mov_b32 v11, v1
	v_dual_mov_b32 v12, v1 :: v_dual_mov_b32 v13, v1
	v_dual_mov_b32 v14, v1 :: v_dual_mov_b32 v15, v1
	v_dual_mov_b32 v16, v1 :: v_dual_mov_b32 v17, v1
	v_dual_mov_b32 v20, v1 :: v_dual_mov_b32 v21, v1
	v_dual_mov_b32 v22, v1 :: v_dual_mov_b32 v23, v1
	v_dual_mov_b32 v24, v1 :: v_dual_mov_b32 v25, v1
	v_dual_mov_b32 v26, v1 :: v_dual_mov_b32 v27, v1
	v_dual_mov_b32 v28, v1 :: v_dual_mov_b32 v29, v1
	v_dual_mov_b32 v30, v1 :: v_dual_mov_b32 v31, v1
	v_dual_mov_b32 v32, v1 :: v_dual_mov_b32 v33, v1
.LBB132_12:                             ;   in Loop: Header=BB132_5 Depth=1
	s_wait_alu 0xfffe
	s_or_b32 exec_lo, exec_lo, s3
	v_add_co_u32 v42, vcc_lo, v38, 1
	s_wait_alu 0xfffd
	v_add_co_ci_u32_e64 v43, null, 0, v39, vcc_lo
	s_delay_alu instid0(VALU_DEP_1) | instskip(SKIP_1) | instid1(SALU_CYCLE_1)
	v_cmp_gt_i64_e32 vcc_lo, s[4:5], v[42:43]
	s_and_b32 s16, s2, vcc_lo
	s_and_saveexec_b32 s3, s16
	s_cbranch_execz .LBB132_14
; %bb.13:                               ;   in Loop: Header=BB132_5 Depth=1
	v_add_co_u32 v4, vcc_lo, v76, v34
	s_wait_alu 0xfffd
	v_add_co_ci_u32_e64 v5, null, v77, v35, vcc_lo
	v_add_co_u32 v20, vcc_lo, v78, v34
	s_wait_alu 0xfffd
	v_add_co_ci_u32_e64 v21, null, v79, v35, vcc_lo
	global_load_b64 v[4:5], v[4:5], off
	global_load_b64 v[20:21], v[20:21], off
.LBB132_14:                             ;   in Loop: Header=BB132_5 Depth=1
	s_wait_alu 0xfffe
	s_or_b32 exec_lo, exec_lo, s3
	v_add_co_u32 v42, vcc_lo, v38, 2
	s_wait_alu 0xfffd
	v_add_co_ci_u32_e64 v43, null, 0, v39, vcc_lo
	s_delay_alu instid0(VALU_DEP_1) | instskip(SKIP_1) | instid1(SALU_CYCLE_1)
	v_cmp_gt_i64_e32 vcc_lo, s[4:5], v[42:43]
	s_and_b32 s16, s2, vcc_lo
	s_and_saveexec_b32 s3, s16
	s_cbranch_execz .LBB132_16
; %bb.15:                               ;   in Loop: Header=BB132_5 Depth=1
	v_add_co_u32 v6, vcc_lo, v72, v34
	s_wait_alu 0xfffd
	v_add_co_ci_u32_e64 v7, null, v73, v35, vcc_lo
	v_add_co_u32 v22, vcc_lo, v74, v34
	s_wait_alu 0xfffd
	v_add_co_ci_u32_e64 v23, null, v75, v35, vcc_lo
	global_load_b64 v[6:7], v[6:7], off
	global_load_b64 v[22:23], v[22:23], off
.LBB132_16:                             ;   in Loop: Header=BB132_5 Depth=1
	;; [unrolled: 20-line block ×7, first 2 shown]
	s_wait_alu 0xfffe
	s_or_b32 exec_lo, exec_lo, s3
	s_wait_loadcnt 0x0
	v_mul_f64_e32 v[2:3], v[18:19], v[2:3]
	ds_bpermute_b32 v18, v1, v40
	ds_bpermute_b32 v19, v1, v41
	v_mul_f64_e32 v[4:5], v[20:21], v[4:5]
	v_mul_f64_e32 v[6:7], v[22:23], v[6:7]
	;; [unrolled: 1-line block ×3, first 2 shown]
	s_mov_b32 s3, 0
	s_wait_dscnt 0x0
	v_fma_f64 v[2:3], v[2:3], v[18:19], v[36:37]
	ds_bpermute_b32 v18, v1, v40 offset:4
	ds_bpermute_b32 v19, v1, v41 offset:4
	s_wait_dscnt 0x0
	v_fma_f64 v[2:3], v[4:5], v[18:19], v[2:3]
	ds_bpermute_b32 v4, v1, v40 offset:8
	ds_bpermute_b32 v5, v1, v41 offset:8
	;; [unrolled: 4-line block ×3, first 2 shown]
	v_mul_f64_e32 v[6:7], v[26:27], v[10:11]
	s_wait_dscnt 0x0
	v_fma_f64 v[2:3], v[8:9], v[4:5], v[2:3]
	ds_bpermute_b32 v4, v1, v40 offset:16
	ds_bpermute_b32 v5, v1, v41 offset:16
	v_mul_f64_e32 v[8:9], v[28:29], v[12:13]
	s_wait_dscnt 0x0
	v_fma_f64 v[2:3], v[6:7], v[4:5], v[2:3]
	ds_bpermute_b32 v4, v1, v40 offset:20
	ds_bpermute_b32 v5, v1, v41 offset:20
	;; [unrolled: 1-line block ×4, first 2 shown]
	s_wait_dscnt 0x2
	v_fma_f64 v[2:3], v[8:9], v[4:5], v[2:3]
	v_mul_f64_e32 v[4:5], v[30:31], v[14:15]
	s_wait_dscnt 0x0
	s_delay_alu instid0(VALU_DEP_1)
	v_fma_f64 v[42:43], v[4:5], v[6:7], v[2:3]
	ds_bpermute_b32 v2, v1, v40 offset:28
	ds_bpermute_b32 v3, v1, v41 offset:28
.LBB132_27:                             ;   in Loop: Header=BB132_5 Depth=1
	s_wait_alu 0xfffe
	s_and_b32 vcc_lo, exec_lo, s3
	s_wait_alu 0xfffe
	s_cbranch_vccz .LBB132_4
; %bb.28:                               ;   in Loop: Header=BB132_5 Depth=1
	s_load_b32 s3, s[18:19], 0x0
	v_mov_b32_e32 v40, 0
	v_mov_b32_e32 v41, 0
	s_wait_kmcnt 0x0
	s_cmp_lt_u32 ttmp9, s3
	s_cselect_b32 s16, 12, 18
	s_delay_alu instid0(SALU_CYCLE_1)
	s_add_nc_u64 s[30:31], s[18:19], s[16:17]
	s_load_u16 s3, s[30:31], 0x0
	s_wait_dscnt 0x1
	s_wait_kmcnt 0x0
	v_mad_u32_u24 v2, v44, s3, v46
	s_mov_b32 s3, exec_lo
	s_delay_alu instid0(VALU_DEP_1) | instskip(NEXT) | instid1(VALU_DEP_1)
	v_and_b32_e32 v2, 31, v2
	v_cmpx_gt_u32_e32 8, v2
	s_cbranch_execz .LBB132_32
; %bb.29:                               ;   in Loop: Header=BB132_5 Depth=1
	v_add_co_u32 v2, vcc_lo, v38, v2
	v_mov_b32_e32 v40, 0
	s_wait_dscnt 0x0
	s_wait_alu 0xfffd
	v_add_co_ci_u32_e64 v3, null, 0, v39, vcc_lo
	v_mov_b32_e32 v41, 0
	s_mov_b32 s16, exec_lo
	s_delay_alu instid0(VALU_DEP_2)
	v_cmpx_gt_i64_e64 s[4:5], v[2:3]
	s_cbranch_execz .LBB132_31
; %bb.30:                               ;   in Loop: Header=BB132_5 Depth=1
	v_lshlrev_b64_e32 v[2:3], 3, v[2:3]
	s_delay_alu instid0(VALU_DEP_1) | instskip(SKIP_1) | instid1(VALU_DEP_2)
	v_add_co_u32 v2, vcc_lo, s12, v2
	s_wait_alu 0xfffd
	v_add_co_ci_u32_e64 v3, null, s13, v3, vcc_lo
	global_load_b64 v[40:41], v[2:3], off
.LBB132_31:                             ;   in Loop: Header=BB132_5 Depth=1
	s_or_b32 exec_lo, exec_lo, s16
.LBB132_32:                             ;   in Loop: Header=BB132_5 Depth=1
	s_wait_alu 0xfffe
	s_or_b32 exec_lo, exec_lo, s3
	v_mov_b32_e32 v16, v1
	s_wait_dscnt 0x0
	v_dual_mov_b32 v2, v1 :: v_dual_mov_b32 v3, v1
	v_dual_mov_b32 v4, v1 :: v_dual_mov_b32 v5, v1
	;; [unrolled: 1-line block ×7, first 2 shown]
	v_mov_b32_e32 v33, v16
	s_delay_alu instid0(VALU_DEP_3) | instskip(NEXT) | instid1(VALU_DEP_3)
	v_dual_mov_b32 v29, v12 :: v_dual_mov_b32 v28, v11
	v_dual_mov_b32 v31, v14 :: v_dual_mov_b32 v30, v13
	s_delay_alu instid0(VALU_DEP_4)
	v_dual_mov_b32 v32, v15 :: v_dual_mov_b32 v27, v10
	v_dual_mov_b32 v26, v9 :: v_dual_mov_b32 v25, v8
	v_dual_mov_b32 v24, v7 :: v_dual_mov_b32 v23, v6
	v_dual_mov_b32 v22, v5 :: v_dual_mov_b32 v21, v4
	v_dual_mov_b32 v20, v3 :: v_dual_mov_b32 v19, v2
	v_dual_mov_b32 v18, v1 :: v_dual_mov_b32 v17, v16
	v_mov_b32_e32 v16, v15
	v_mov_b32_e32 v15, v14
	;; [unrolled: 1-line block ×15, first 2 shown]
	s_and_saveexec_b32 s3, s2
	s_cbranch_execnz .LBB132_40
; %bb.33:                               ;   in Loop: Header=BB132_5 Depth=1
	s_wait_alu 0xfffe
	s_or_b32 exec_lo, exec_lo, s3
	s_and_saveexec_b32 s3, s2
	s_cbranch_execnz .LBB132_41
.LBB132_34:                             ;   in Loop: Header=BB132_5 Depth=1
	s_wait_alu 0xfffe
	s_or_b32 exec_lo, exec_lo, s3
	s_and_saveexec_b32 s3, s2
	s_cbranch_execnz .LBB132_42
.LBB132_35:                             ;   in Loop: Header=BB132_5 Depth=1
	s_wait_alu 0xfffe
	s_or_b32 exec_lo, exec_lo, s3
	s_and_saveexec_b32 s3, s2
	s_cbranch_execnz .LBB132_43
.LBB132_36:                             ;   in Loop: Header=BB132_5 Depth=1
	s_wait_alu 0xfffe
	s_or_b32 exec_lo, exec_lo, s3
	s_and_saveexec_b32 s3, s2
	s_cbranch_execnz .LBB132_44
.LBB132_37:                             ;   in Loop: Header=BB132_5 Depth=1
	s_wait_alu 0xfffe
	s_or_b32 exec_lo, exec_lo, s3
	s_and_saveexec_b32 s3, s2
	s_cbranch_execnz .LBB132_45
.LBB132_38:                             ;   in Loop: Header=BB132_5 Depth=1
	s_wait_alu 0xfffe
	s_or_b32 exec_lo, exec_lo, s3
	s_and_saveexec_b32 s3, s2
	s_cbranch_execnz .LBB132_46
.LBB132_39:                             ;   in Loop: Header=BB132_5 Depth=1
	s_wait_alu 0xfffe
	s_or_b32 exec_lo, exec_lo, s3
	s_and_saveexec_b32 s3, s2
	s_cbranch_execz .LBB132_3
	s_branch .LBB132_47
.LBB132_40:                             ;   in Loop: Header=BB132_5 Depth=1
	v_add_co_u32 v2, vcc_lo, v48, v34
	s_wait_alu 0xfffd
	v_add_co_ci_u32_e64 v3, null, v49, v35, vcc_lo
	v_add_co_u32 v4, vcc_lo, v50, v34
	s_wait_alu 0xfffd
	v_add_co_ci_u32_e64 v5, null, v51, v35, vcc_lo
	global_load_b64 v[2:3], v[2:3], off
	global_load_b64 v[18:19], v[4:5], off
	v_dual_mov_b32 v4, v1 :: v_dual_mov_b32 v5, v1
	v_dual_mov_b32 v6, v1 :: v_dual_mov_b32 v7, v1
	;; [unrolled: 1-line block ×14, first 2 shown]
	s_wait_alu 0xfffe
	s_or_b32 exec_lo, exec_lo, s3
	s_and_saveexec_b32 s3, s2
	s_cbranch_execz .LBB132_34
.LBB132_41:                             ;   in Loop: Header=BB132_5 Depth=1
	v_add_co_u32 v4, vcc_lo, v76, v34
	s_wait_alu 0xfffd
	v_add_co_ci_u32_e64 v5, null, v77, v35, vcc_lo
	v_add_co_u32 v20, vcc_lo, v78, v34
	s_wait_alu 0xfffd
	v_add_co_ci_u32_e64 v21, null, v79, v35, vcc_lo
	global_load_b64 v[4:5], v[4:5], off
	global_load_b64 v[20:21], v[20:21], off
	s_wait_alu 0xfffe
	s_or_b32 exec_lo, exec_lo, s3
	s_and_saveexec_b32 s3, s2
	s_cbranch_execz .LBB132_35
.LBB132_42:                             ;   in Loop: Header=BB132_5 Depth=1
	v_add_co_u32 v6, vcc_lo, v72, v34
	s_wait_alu 0xfffd
	v_add_co_ci_u32_e64 v7, null, v73, v35, vcc_lo
	v_add_co_u32 v22, vcc_lo, v74, v34
	s_wait_alu 0xfffd
	v_add_co_ci_u32_e64 v23, null, v75, v35, vcc_lo
	global_load_b64 v[6:7], v[6:7], off
	global_load_b64 v[22:23], v[22:23], off
	s_wait_alu 0xfffe
	s_or_b32 exec_lo, exec_lo, s3
	s_and_saveexec_b32 s3, s2
	s_cbranch_execz .LBB132_36
.LBB132_43:                             ;   in Loop: Header=BB132_5 Depth=1
	v_add_co_u32 v8, vcc_lo, v68, v34
	s_wait_alu 0xfffd
	v_add_co_ci_u32_e64 v9, null, v69, v35, vcc_lo
	v_add_co_u32 v24, vcc_lo, v70, v34
	s_wait_alu 0xfffd
	v_add_co_ci_u32_e64 v25, null, v71, v35, vcc_lo
	global_load_b64 v[8:9], v[8:9], off
	global_load_b64 v[24:25], v[24:25], off
	s_wait_alu 0xfffe
	s_or_b32 exec_lo, exec_lo, s3
	s_and_saveexec_b32 s3, s2
	s_cbranch_execz .LBB132_37
.LBB132_44:                             ;   in Loop: Header=BB132_5 Depth=1
	v_add_co_u32 v10, vcc_lo, v64, v34
	s_wait_alu 0xfffd
	v_add_co_ci_u32_e64 v11, null, v65, v35, vcc_lo
	v_add_co_u32 v26, vcc_lo, v66, v34
	s_wait_alu 0xfffd
	v_add_co_ci_u32_e64 v27, null, v67, v35, vcc_lo
	global_load_b64 v[10:11], v[10:11], off
	global_load_b64 v[26:27], v[26:27], off
	s_wait_alu 0xfffe
	s_or_b32 exec_lo, exec_lo, s3
	s_and_saveexec_b32 s3, s2
	s_cbranch_execz .LBB132_38
.LBB132_45:                             ;   in Loop: Header=BB132_5 Depth=1
	v_add_co_u32 v12, vcc_lo, v60, v34
	s_wait_alu 0xfffd
	v_add_co_ci_u32_e64 v13, null, v61, v35, vcc_lo
	v_add_co_u32 v28, vcc_lo, v62, v34
	s_wait_alu 0xfffd
	v_add_co_ci_u32_e64 v29, null, v63, v35, vcc_lo
	global_load_b64 v[12:13], v[12:13], off
	global_load_b64 v[28:29], v[28:29], off
	s_wait_alu 0xfffe
	s_or_b32 exec_lo, exec_lo, s3
	s_and_saveexec_b32 s3, s2
	s_cbranch_execz .LBB132_39
.LBB132_46:                             ;   in Loop: Header=BB132_5 Depth=1
	v_add_co_u32 v14, vcc_lo, v56, v34
	s_wait_alu 0xfffd
	v_add_co_ci_u32_e64 v15, null, v57, v35, vcc_lo
	v_add_co_u32 v30, vcc_lo, v58, v34
	s_wait_alu 0xfffd
	v_add_co_ci_u32_e64 v31, null, v59, v35, vcc_lo
	global_load_b64 v[14:15], v[14:15], off
	global_load_b64 v[30:31], v[30:31], off
	s_wait_alu 0xfffe
	s_or_b32 exec_lo, exec_lo, s3
	s_and_saveexec_b32 s3, s2
	s_cbranch_execz .LBB132_3
.LBB132_47:                             ;   in Loop: Header=BB132_5 Depth=1
	v_add_co_u32 v16, vcc_lo, v52, v34
	s_wait_alu 0xfffd
	v_add_co_ci_u32_e64 v17, null, v53, v35, vcc_lo
	v_add_co_u32 v32, vcc_lo, v54, v34
	s_wait_alu 0xfffd
	v_add_co_ci_u32_e64 v33, null, v55, v35, vcc_lo
	global_load_b64 v[16:17], v[16:17], off
	global_load_b64 v[32:33], v[32:33], off
	s_branch .LBB132_3
.LBB132_48:
                                        ; implicit-def: $vgpr36_vgpr37
	s_load_b64 s[16:17], s[0:1], 0x30
	s_branch .LBB132_50
.LBB132_49:
	s_load_b64 s[16:17], s[0:1], 0x30
	s_cbranch_execnz .LBB132_82
.LBB132_50:
	v_mov_b32_e32 v36, 0
	v_mov_b32_e32 v37, 0
	s_and_not1_b32 vcc_lo, exec_lo, s29
	s_wait_alu 0xfffe
	s_cbranch_vccnz .LBB132_82
; %bb.51:
	v_bfe_u32 v70, v0, 10, 10
	v_dual_mov_b32 v1, 0 :: v_dual_and_b32 v72, 0x3ff, v0
	s_lshl_b64 s[22:23], s[14:15], 3
	s_mov_b32 s3, 0
	s_delay_alu instid0(VALU_DEP_2) | instskip(NEXT) | instid1(VALU_DEP_2)
	v_dual_mov_b32 v66, 0 :: v_dual_lshlrev_b32 v71, 3, v70
	v_dual_mov_b32 v73, v1 :: v_dual_lshlrev_b32 v8, 6, v70
	v_dual_mov_b32 v5, v1 :: v_dual_add_nc_u32 v4, s28, v72
	s_delay_alu instid0(VALU_DEP_3) | instskip(SKIP_2) | instid1(VALU_DEP_3)
	v_add_co_u32 v10, s2, v71, s14
	s_wait_alu 0xf1ff
	v_add_co_ci_u32_e64 v11, null, 0, 0, s2
	v_lshlrev_b64_e32 v[34:35], 3, v[4:5]
	s_delay_alu instid0(VALU_DEP_3) | instskip(SKIP_1) | instid1(VALU_DEP_4)
	v_mul_lo_u32 v6, s7, v10
	v_mad_co_u64_u32 v[2:3], null, s6, v10, 0
	v_mul_lo_u32 v7, s6, v11
	s_load_b32 s2, s[0:1], 0x44
	s_mov_b32 s21, s3
	v_mov_b32_e32 v67, 0
	s_add_nc_u64 s[18:19], s[0:1], 64
	s_delay_alu instid0(VALU_DEP_2) | instskip(SKIP_3) | instid1(VALU_DEP_3)
	v_add3_u32 v3, v3, v7, v6
	v_add_co_u32 v6, s20, v8, s22
	s_wait_alu 0xf1ff
	v_add_co_ci_u32_e64 v7, null, 0, s23, s20
	v_lshlrev_b64_e32 v[4:5], 3, v[2:3]
	s_delay_alu instid0(VALU_DEP_3) | instskip(SKIP_1) | instid1(VALU_DEP_3)
	v_add_co_u32 v8, vcc_lo, v6, 8
	s_wait_alu 0xfffd
	v_add_co_ci_u32_e64 v9, null, 0, v7, vcc_lo
	s_delay_alu instid0(VALU_DEP_3)
	v_add_co_u32 v74, vcc_lo, s8, v4
	s_wait_alu 0xfffd
	v_add_co_ci_u32_e64 v75, null, s9, v5, vcc_lo
	v_add_co_u32 v76, vcc_lo, s10, v4
	s_wait_alu 0xfffd
	v_add_co_ci_u32_e64 v77, null, s11, v5, vcc_lo
	;; [unrolled: 3-line block ×5, first 2 shown]
	v_add_co_u32 v19, vcc_lo, v6, 40
	v_mad_co_u64_u32 v[40:41], null, s6, v4, s[8:9]
	v_mul_lo_u32 v5, s6, v5
	v_mul_lo_u32 v15, s7, v4
	v_mad_co_u64_u32 v[54:55], null, s6, v4, s[10:11]
	s_wait_alu 0xfffd
	v_add_co_ci_u32_e64 v20, null, 0, v7, vcc_lo
	v_add_co_u32 v22, vcc_lo, v6, 48
	s_wait_alu 0xfffd
	v_add_co_ci_u32_e64 v24, null, 0, v7, vcc_lo
	v_add_co_u32 v6, vcc_lo, v6, 56
	v_mad_co_u64_u32 v[38:39], null, s6, v8, s[8:9]
	v_mul_lo_u32 v9, s6, v9
	v_mul_lo_u32 v12, s7, v8
	v_mad_co_u64_u32 v[52:53], null, s6, v8, s[10:11]
	s_wait_alu 0xfffd
	v_add_co_ci_u32_e64 v7, null, 0, v7, vcc_lo
	v_add_co_u32 v4, vcc_lo, v10, 7
	v_add3_u32 v41, v15, v41, v5
	v_add3_u32 v55, v15, v55, v5
	s_wait_alu 0xfffd
	v_add_co_ci_u32_e64 v5, null, 0, v11, vcc_lo
	v_mul_lo_u32 v26, s6, v7
	v_add_co_u32 v7, vcc_lo, v10, 6
	v_add3_u32 v39, v12, v39, v9
	v_add3_u32 v53, v12, v53, v9
	s_wait_alu 0xfffd
	v_add_co_ci_u32_e64 v12, null, 0, v11, vcc_lo
	v_mul_lo_u32 v8, s7, v4
	v_mul_lo_u32 v9, s6, v5
	v_mad_co_u64_u32 v[4:5], null, s6, v4, 0
	v_mad_co_u64_u32 v[42:43], null, s6, v13, s[8:9]
	v_mul_lo_u32 v17, s7, v13
	v_mad_co_u64_u32 v[50:51], null, s6, v6, s[8:9]
	v_mul_lo_u32 v27, s7, v6
	v_mad_co_u64_u32 v[56:57], null, s6, v13, s[10:11]
	v_mad_co_u64_u32 v[64:65], null, s6, v6, s[10:11]
	v_mul_lo_u32 v13, s7, v7
	v_mul_lo_u32 v12, s6, v12
	v_mad_co_u64_u32 v[6:7], null, s6, v7, 0
	v_add3_u32 v5, v5, v9, v8
	v_add_co_u32 v8, vcc_lo, v10, 5
	s_wait_alu 0xfffd
	v_add_co_ci_u32_e64 v9, null, 0, v11, vcc_lo
	s_delay_alu instid0(VALU_DEP_3) | instskip(SKIP_2) | instid1(VALU_DEP_4)
	v_lshlrev_b64_e32 v[4:5], 3, v[4:5]
	v_add3_u32 v7, v7, v12, v13
	v_mul_lo_u32 v12, s7, v8
	v_mul_lo_u32 v13, s6, v9
	v_mad_co_u64_u32 v[8:9], null, s6, v8, 0
	s_delay_alu instid0(VALU_DEP_4)
	v_lshlrev_b64_e32 v[6:7], 3, v[6:7]
	v_add_co_u32 v78, vcc_lo, s8, v4
	s_wait_alu 0xfffd
	v_add_co_ci_u32_e64 v79, null, s9, v5, vcc_lo
	v_add_co_u32 v80, vcc_lo, s10, v4
	s_wait_alu 0xfffd
	v_add_co_ci_u32_e64 v81, null, s11, v5, vcc_lo
	v_add_co_u32 v82, vcc_lo, s8, v6
	v_mul_lo_u32 v14, s6, v14
	v_add3_u32 v9, v9, v13, v12
	s_wait_alu 0xfffd
	v_add_co_ci_u32_e64 v83, null, s9, v7, vcc_lo
	v_add_co_u32 v12, vcc_lo, v10, 4
	s_wait_kmcnt 0x0
	s_lshl_b32 s20, s2, 3
	v_add_co_u32 v84, s2, s10, v6
	s_wait_alu 0xfffd
	v_add_co_ci_u32_e64 v6, null, 0, v11, vcc_lo
	v_lshlrev_b64_e32 v[4:5], 3, v[8:9]
	v_add_co_u32 v8, vcc_lo, v10, 3
	s_wait_alu 0xfffd
	v_add_co_ci_u32_e64 v9, null, 0, v11, vcc_lo
	v_add3_u32 v43, v17, v43, v14
	v_add3_u32 v57, v17, v57, v14
	s_wait_alu 0xf1ff
	v_add_co_ci_u32_e64 v85, null, s11, v7, s2
	v_mul_lo_u32 v13, s7, v12
	v_mul_lo_u32 v14, s6, v6
	v_mad_co_u64_u32 v[6:7], null, s6, v12, 0
	v_mul_lo_u32 v12, s7, v8
	v_mul_lo_u32 v15, s6, v9
	v_mad_co_u64_u32 v[8:9], null, s6, v8, 0
	v_add_co_u32 v86, vcc_lo, s8, v4
	s_wait_alu 0xfffd
	v_add_co_ci_u32_e64 v87, null, s9, v5, vcc_lo
	v_add3_u32 v7, v7, v14, v13
	v_add_co_u32 v88, vcc_lo, s10, v4
	s_wait_alu 0xfffd
	v_add_co_ci_u32_e64 v89, null, s11, v5, vcc_lo
	v_add_co_u32 v10, vcc_lo, v10, 2
	v_add3_u32 v9, v9, v15, v12
	s_wait_alu 0xfffd
	v_add_co_ci_u32_e64 v11, null, 0, v11, vcc_lo
	v_lshlrev_b64_e32 v[4:5], 3, v[6:7]
	v_mul_lo_u32 v12, s7, v10
	v_lshlrev_b64_e32 v[6:7], 3, v[8:9]
	s_delay_alu instid0(VALU_DEP_4)
	v_mul_lo_u32 v11, s6, v11
	v_mad_co_u64_u32 v[8:9], null, s6, v10, 0
	v_add_co_u32 v90, vcc_lo, s8, v4
	s_wait_alu 0xfffd
	v_add_co_ci_u32_e64 v91, null, s9, v5, vcc_lo
	v_add_co_u32 v92, vcc_lo, s10, v4
	s_wait_alu 0xfffd
	v_add_co_ci_u32_e64 v93, null, s11, v5, vcc_lo
	;; [unrolled: 3-line block ×3, first 2 shown]
	v_add3_u32 v9, v9, v11, v12
	v_add_co_u32 v96, vcc_lo, s10, v6
	s_wait_alu 0xfffd
	v_add_co_ci_u32_e64 v97, null, s11, v7, vcc_lo
	v_add_co_u32 v2, vcc_lo, v2, s6
	s_wait_alu 0xfffd
	v_add_co_ci_u32_e64 v3, null, s7, v3, vcc_lo
	v_lshlrev_b64_e32 v[4:5], 3, v[8:9]
	v_mad_co_u64_u32 v[44:45], null, s6, v16, s[8:9]
	s_delay_alu instid0(VALU_DEP_3)
	v_lshlrev_b64_e32 v[2:3], 3, v[2:3]
	v_mul_lo_u32 v18, s6, v18
	v_mul_lo_u32 v21, s7, v16
	v_mad_co_u64_u32 v[46:47], null, s6, v19, s[8:9]
	v_mul_lo_u32 v20, s6, v20
	v_mul_lo_u32 v23, s7, v19
	v_mad_co_u64_u32 v[48:49], null, s6, v22, s[8:9]
	;; [unrolled: 3-line block ×3, first 2 shown]
	v_mad_co_u64_u32 v[60:61], null, s6, v19, s[10:11]
	v_mad_co_u64_u32 v[62:63], null, s6, v22, s[10:11]
	v_add_co_u32 v98, vcc_lo, s8, v4
	s_wait_alu 0xfffd
	v_add_co_ci_u32_e64 v99, null, s9, v5, vcc_lo
	v_add_co_u32 v100, vcc_lo, s10, v4
	s_wait_alu 0xfffd
	v_add_co_ci_u32_e64 v101, null, s11, v5, vcc_lo
	;; [unrolled: 3-line block ×3, first 2 shown]
	v_add_co_u32 v104, vcc_lo, s10, v2
	v_add3_u32 v45, v21, v45, v18
	v_add3_u32 v47, v23, v47, v20
	;; [unrolled: 1-line block ×8, first 2 shown]
	s_wait_alu 0xfffd
	v_add_co_ci_u32_e64 v105, null, s11, v3, vcc_lo
	s_wait_alu 0xfffe
	s_mul_u64 s[22:23], s[6:7], s[20:21]
	s_mov_b64 s[10:11], 7
	s_wait_alu 0xfffe
	s_lshl_b64 s[8:9], s[22:23], 3
	s_mov_b64 s[22:23], s[14:15]
.LBB132_52:                             ; =>This Inner Loop Header: Depth=1
	s_add_nc_u64 s[24:25], s[14:15], s[10:11]
	v_add_co_u32 v68, vcc_lo, s14, v71
	s_wait_alu 0xfffe
	v_cmp_ge_i64_e64 s2, s[24:25], s[4:5]
	s_wait_alu 0xfffd
	v_add_co_ci_u32_e64 v69, null, 0, v73, vcc_lo
                                        ; implicit-def: $vgpr36_vgpr37
	s_and_b32 vcc_lo, exec_lo, s2
	s_mov_b32 s2, -1
	s_wait_alu 0xfffe
	s_cbranch_vccz .LBB132_74
; %bb.53:                               ;   in Loop: Header=BB132_52 Depth=1
	s_load_b32 s2, s[18:19], 0xc
	v_mov_b32_e32 v36, 0
	v_mov_b32_e32 v37, 0
	s_wait_kmcnt 0x0
	s_and_b32 s2, s2, 0xffff
	s_wait_alu 0xfffe
	v_mad_u32_u24 v2, v70, s2, v72
	s_mov_b32 s2, exec_lo
	s_delay_alu instid0(VALU_DEP_1) | instskip(NEXT) | instid1(VALU_DEP_1)
	v_and_b32_e32 v2, 31, v2
	v_cmpx_gt_u32_e32 8, v2
	s_cbranch_execz .LBB132_57
; %bb.54:                               ;   in Loop: Header=BB132_52 Depth=1
	v_add_co_u32 v2, vcc_lo, v68, v2
	v_mov_b32_e32 v36, 0
	s_wait_alu 0xfffd
	v_add_co_ci_u32_e64 v3, null, 0, v69, vcc_lo
	v_mov_b32_e32 v37, 0
	s_mov_b32 s24, exec_lo
	s_delay_alu instid0(VALU_DEP_2)
	v_cmpx_gt_i64_e64 s[4:5], v[2:3]
	s_cbranch_execz .LBB132_56
; %bb.55:                               ;   in Loop: Header=BB132_52 Depth=1
	v_lshlrev_b64_e32 v[2:3], 3, v[2:3]
	s_delay_alu instid0(VALU_DEP_1) | instskip(SKIP_1) | instid1(VALU_DEP_2)
	v_add_co_u32 v2, vcc_lo, s12, v2
	s_wait_alu 0xfffd
	v_add_co_ci_u32_e64 v3, null, s13, v3, vcc_lo
	global_load_b64 v[36:37], v[2:3], off
.LBB132_56:                             ;   in Loop: Header=BB132_52 Depth=1
	s_wait_alu 0xfffe
	s_or_b32 exec_lo, exec_lo, s24
.LBB132_57:                             ;   in Loop: Header=BB132_52 Depth=1
	s_wait_alu 0xfffe
	s_or_b32 exec_lo, exec_lo, s2
	v_mov_b32_e32 v16, v1
	v_dual_mov_b32 v2, v1 :: v_dual_mov_b32 v3, v1
	v_dual_mov_b32 v4, v1 :: v_dual_mov_b32 v5, v1
	;; [unrolled: 1-line block ×7, first 2 shown]
	v_mov_b32_e32 v33, v16
	s_delay_alu instid0(VALU_DEP_3) | instskip(NEXT) | instid1(VALU_DEP_3)
	v_dual_mov_b32 v29, v12 :: v_dual_mov_b32 v28, v11
	v_dual_mov_b32 v31, v14 :: v_dual_mov_b32 v30, v13
	s_delay_alu instid0(VALU_DEP_4)
	v_dual_mov_b32 v32, v15 :: v_dual_mov_b32 v27, v10
	v_dual_mov_b32 v26, v9 :: v_dual_mov_b32 v25, v8
	;; [unrolled: 1-line block ×6, first 2 shown]
	v_mov_b32_e32 v16, v15
	v_mov_b32_e32 v15, v14
	v_mov_b32_e32 v14, v13
	v_mov_b32_e32 v13, v12
	v_mov_b32_e32 v12, v11
	v_mov_b32_e32 v11, v10
	v_mov_b32_e32 v10, v9
	v_mov_b32_e32 v9, v8
	v_mov_b32_e32 v8, v7
	v_mov_b32_e32 v7, v6
	v_mov_b32_e32 v6, v5
	v_mov_b32_e32 v5, v4
	v_mov_b32_e32 v4, v3
	v_mov_b32_e32 v3, v2
	v_mov_b32_e32 v2, v1
	s_mov_b32 s2, exec_lo
	v_cmpx_gt_i64_e64 s[4:5], v[68:69]
	s_cbranch_execz .LBB132_59
; %bb.58:                               ;   in Loop: Header=BB132_52 Depth=1
	v_add_co_u32 v2, vcc_lo, v74, v34
	s_wait_alu 0xfffd
	v_add_co_ci_u32_e64 v3, null, v75, v35, vcc_lo
	v_add_co_u32 v4, vcc_lo, v76, v34
	s_wait_alu 0xfffd
	v_add_co_ci_u32_e64 v5, null, v77, v35, vcc_lo
	global_load_b64 v[2:3], v[2:3], off
	global_load_b64 v[18:19], v[4:5], off
	v_dual_mov_b32 v4, v1 :: v_dual_mov_b32 v5, v1
	v_dual_mov_b32 v6, v1 :: v_dual_mov_b32 v7, v1
	;; [unrolled: 1-line block ×14, first 2 shown]
.LBB132_59:                             ;   in Loop: Header=BB132_52 Depth=1
	s_wait_alu 0xfffe
	s_or_b32 exec_lo, exec_lo, s2
	v_add_co_u32 v106, vcc_lo, v68, 1
	s_wait_alu 0xfffd
	v_add_co_ci_u32_e64 v107, null, 0, v69, vcc_lo
	s_mov_b32 s2, exec_lo
	v_cmpx_gt_i64_e64 s[4:5], v[106:107]
	s_cbranch_execz .LBB132_61
; %bb.60:                               ;   in Loop: Header=BB132_52 Depth=1
	v_add_co_u32 v4, vcc_lo, v102, v34
	s_wait_alu 0xfffd
	v_add_co_ci_u32_e64 v5, null, v103, v35, vcc_lo
	v_add_co_u32 v20, vcc_lo, v104, v34
	s_wait_alu 0xfffd
	v_add_co_ci_u32_e64 v21, null, v105, v35, vcc_lo
	global_load_b64 v[4:5], v[4:5], off
	global_load_b64 v[20:21], v[20:21], off
.LBB132_61:                             ;   in Loop: Header=BB132_52 Depth=1
	s_wait_alu 0xfffe
	s_or_b32 exec_lo, exec_lo, s2
	v_add_co_u32 v106, vcc_lo, v68, 2
	s_wait_alu 0xfffd
	v_add_co_ci_u32_e64 v107, null, 0, v69, vcc_lo
	s_mov_b32 s2, exec_lo
	v_cmpx_gt_i64_e64 s[4:5], v[106:107]
	s_cbranch_execz .LBB132_63
; %bb.62:                               ;   in Loop: Header=BB132_52 Depth=1
	v_add_co_u32 v6, vcc_lo, v98, v34
	s_wait_alu 0xfffd
	v_add_co_ci_u32_e64 v7, null, v99, v35, vcc_lo
	v_add_co_u32 v22, vcc_lo, v100, v34
	s_wait_alu 0xfffd
	v_add_co_ci_u32_e64 v23, null, v101, v35, vcc_lo
	global_load_b64 v[6:7], v[6:7], off
	global_load_b64 v[22:23], v[22:23], off
.LBB132_63:                             ;   in Loop: Header=BB132_52 Depth=1
	s_wait_alu 0xfffe
	s_or_b32 exec_lo, exec_lo, s2
	v_add_co_u32 v106, vcc_lo, v68, 3
	s_wait_alu 0xfffd
	v_add_co_ci_u32_e64 v107, null, 0, v69, vcc_lo
	s_mov_b32 s2, exec_lo
	v_cmpx_gt_i64_e64 s[4:5], v[106:107]
	s_cbranch_execz .LBB132_65
; %bb.64:                               ;   in Loop: Header=BB132_52 Depth=1
	v_add_co_u32 v8, vcc_lo, v94, v34
	s_wait_alu 0xfffd
	v_add_co_ci_u32_e64 v9, null, v95, v35, vcc_lo
	v_add_co_u32 v24, vcc_lo, v96, v34
	s_wait_alu 0xfffd
	v_add_co_ci_u32_e64 v25, null, v97, v35, vcc_lo
	global_load_b64 v[8:9], v[8:9], off
	global_load_b64 v[24:25], v[24:25], off
.LBB132_65:                             ;   in Loop: Header=BB132_52 Depth=1
	s_wait_alu 0xfffe
	s_or_b32 exec_lo, exec_lo, s2
	v_add_co_u32 v106, vcc_lo, v68, 4
	s_wait_alu 0xfffd
	v_add_co_ci_u32_e64 v107, null, 0, v69, vcc_lo
	s_mov_b32 s2, exec_lo
	v_cmpx_gt_i64_e64 s[4:5], v[106:107]
	s_cbranch_execz .LBB132_67
; %bb.66:                               ;   in Loop: Header=BB132_52 Depth=1
	v_add_co_u32 v10, vcc_lo, v90, v34
	s_wait_alu 0xfffd
	v_add_co_ci_u32_e64 v11, null, v91, v35, vcc_lo
	v_add_co_u32 v26, vcc_lo, v92, v34
	s_wait_alu 0xfffd
	v_add_co_ci_u32_e64 v27, null, v93, v35, vcc_lo
	global_load_b64 v[10:11], v[10:11], off
	global_load_b64 v[26:27], v[26:27], off
.LBB132_67:                             ;   in Loop: Header=BB132_52 Depth=1
	s_wait_alu 0xfffe
	s_or_b32 exec_lo, exec_lo, s2
	v_add_co_u32 v106, vcc_lo, v68, 5
	s_wait_alu 0xfffd
	v_add_co_ci_u32_e64 v107, null, 0, v69, vcc_lo
	s_mov_b32 s2, exec_lo
	v_cmpx_gt_i64_e64 s[4:5], v[106:107]
	s_cbranch_execz .LBB132_69
; %bb.68:                               ;   in Loop: Header=BB132_52 Depth=1
	v_add_co_u32 v12, vcc_lo, v86, v34
	s_wait_alu 0xfffd
	v_add_co_ci_u32_e64 v13, null, v87, v35, vcc_lo
	v_add_co_u32 v28, vcc_lo, v88, v34
	s_wait_alu 0xfffd
	v_add_co_ci_u32_e64 v29, null, v89, v35, vcc_lo
	global_load_b64 v[12:13], v[12:13], off
	global_load_b64 v[28:29], v[28:29], off
.LBB132_69:                             ;   in Loop: Header=BB132_52 Depth=1
	s_wait_alu 0xfffe
	s_or_b32 exec_lo, exec_lo, s2
	v_add_co_u32 v106, vcc_lo, v68, 6
	s_wait_alu 0xfffd
	v_add_co_ci_u32_e64 v107, null, 0, v69, vcc_lo
	s_mov_b32 s2, exec_lo
	v_cmpx_gt_i64_e64 s[4:5], v[106:107]
	s_cbranch_execz .LBB132_71
; %bb.70:                               ;   in Loop: Header=BB132_52 Depth=1
	v_add_co_u32 v14, vcc_lo, v82, v34
	s_wait_alu 0xfffd
	v_add_co_ci_u32_e64 v15, null, v83, v35, vcc_lo
	v_add_co_u32 v30, vcc_lo, v84, v34
	s_wait_alu 0xfffd
	v_add_co_ci_u32_e64 v31, null, v85, v35, vcc_lo
	global_load_b64 v[14:15], v[14:15], off
	global_load_b64 v[30:31], v[30:31], off
.LBB132_71:                             ;   in Loop: Header=BB132_52 Depth=1
	s_wait_alu 0xfffe
	s_or_b32 exec_lo, exec_lo, s2
	v_add_co_u32 v106, vcc_lo, v68, 7
	s_wait_alu 0xfffd
	v_add_co_ci_u32_e64 v107, null, 0, v69, vcc_lo
	s_mov_b32 s2, exec_lo
	v_cmpx_gt_i64_e64 s[4:5], v[106:107]
	s_cbranch_execz .LBB132_73
; %bb.72:                               ;   in Loop: Header=BB132_52 Depth=1
	v_add_co_u32 v16, vcc_lo, v78, v34
	s_wait_alu 0xfffd
	v_add_co_ci_u32_e64 v17, null, v79, v35, vcc_lo
	v_add_co_u32 v32, vcc_lo, v80, v34
	s_wait_alu 0xfffd
	v_add_co_ci_u32_e64 v33, null, v81, v35, vcc_lo
	global_load_b64 v[16:17], v[16:17], off
	global_load_b64 v[32:33], v[32:33], off
.LBB132_73:                             ;   in Loop: Header=BB132_52 Depth=1
	s_wait_alu 0xfffe
	s_or_b32 exec_lo, exec_lo, s2
	s_wait_loadcnt 0x0
	v_mul_f64_e32 v[2:3], v[18:19], v[2:3]
	ds_bpermute_b32 v18, v1, v36
	ds_bpermute_b32 v19, v1, v37
	v_mul_f64_e32 v[4:5], v[20:21], v[4:5]
	v_mul_f64_e32 v[6:7], v[22:23], v[6:7]
	;; [unrolled: 1-line block ×3, first 2 shown]
	s_mov_b32 s2, 0
	s_wait_dscnt 0x0
	v_fma_f64 v[2:3], v[2:3], v[18:19], v[66:67]
	ds_bpermute_b32 v18, v1, v36 offset:4
	ds_bpermute_b32 v19, v1, v37 offset:4
	s_wait_dscnt 0x0
	v_fma_f64 v[2:3], v[4:5], v[18:19], v[2:3]
	ds_bpermute_b32 v4, v1, v36 offset:8
	ds_bpermute_b32 v5, v1, v37 offset:8
	;; [unrolled: 4-line block ×3, first 2 shown]
	v_mul_f64_e32 v[6:7], v[26:27], v[10:11]
	s_wait_dscnt 0x0
	v_fma_f64 v[2:3], v[8:9], v[4:5], v[2:3]
	ds_bpermute_b32 v4, v1, v36 offset:16
	ds_bpermute_b32 v5, v1, v37 offset:16
	v_mul_f64_e32 v[8:9], v[28:29], v[12:13]
	s_wait_dscnt 0x0
	v_fma_f64 v[2:3], v[6:7], v[4:5], v[2:3]
	ds_bpermute_b32 v4, v1, v36 offset:20
	ds_bpermute_b32 v5, v1, v37 offset:20
	;; [unrolled: 5-line block ×3, first 2 shown]
	s_wait_dscnt 0x0
	v_fma_f64 v[2:3], v[6:7], v[4:5], v[2:3]
	v_mul_f64_e32 v[4:5], v[32:33], v[16:17]
	ds_bpermute_b32 v6, v1, v36 offset:28
	ds_bpermute_b32 v7, v1, v37 offset:28
	s_wait_dscnt 0x0
	v_fma_f64 v[36:37], v[4:5], v[6:7], v[2:3]
.LBB132_74:                             ;   in Loop: Header=BB132_52 Depth=1
	s_wait_alu 0xfffe
	s_and_b32 vcc_lo, exec_lo, s2
	s_wait_alu 0xfffe
	s_cbranch_vccz .LBB132_80
; %bb.75:                               ;   in Loop: Header=BB132_52 Depth=1
	s_load_b32 s2, s[18:19], 0x0
	s_wait_kmcnt 0x0
	s_cmp_lt_u32 ttmp9, s2
	s_cselect_b32 s2, 12, 18
	s_wait_alu 0xfffe
	s_add_nc_u64 s[24:25], s[18:19], s[2:3]
	s_load_u16 s2, s[24:25], 0x0
	s_wait_kmcnt 0x0
	v_mad_u32_u24 v2, v70, s2, v72
	s_mov_b32 s2, exec_lo
	s_delay_alu instid0(VALU_DEP_1) | instskip(SKIP_2) | instid1(VALU_DEP_3)
	v_and_b32_e32 v4, 31, v2
	v_mov_b32_e32 v2, 0
	v_mov_b32_e32 v3, 0
	v_cmpx_gt_u32_e32 8, v4
	s_cbranch_execz .LBB132_79
; %bb.76:                               ;   in Loop: Header=BB132_52 Depth=1
	v_add_co_u32 v4, vcc_lo, v68, v4
	v_mov_b32_e32 v2, 0
	s_wait_alu 0xfffd
	v_add_co_ci_u32_e64 v5, null, 0, v69, vcc_lo
	v_mov_b32_e32 v3, 0
	s_mov_b32 s24, exec_lo
	s_delay_alu instid0(VALU_DEP_2)
	v_cmpx_gt_i64_e64 s[4:5], v[4:5]
	s_cbranch_execz .LBB132_78
; %bb.77:                               ;   in Loop: Header=BB132_52 Depth=1
	v_lshlrev_b64_e32 v[2:3], 3, v[4:5]
	s_delay_alu instid0(VALU_DEP_1) | instskip(SKIP_1) | instid1(VALU_DEP_2)
	v_add_co_u32 v2, vcc_lo, s12, v2
	s_wait_alu 0xfffd
	v_add_co_ci_u32_e64 v3, null, s13, v3, vcc_lo
	global_load_b64 v[2:3], v[2:3], off
.LBB132_78:                             ;   in Loop: Header=BB132_52 Depth=1
	s_wait_alu 0xfffe
	s_or_b32 exec_lo, exec_lo, s24
.LBB132_79:                             ;   in Loop: Header=BB132_52 Depth=1
	s_wait_alu 0xfffe
	s_or_b32 exec_lo, exec_lo, s2
	v_add_co_u32 v4, vcc_lo, v74, v34
	s_wait_alu 0xfffd
	v_add_co_ci_u32_e64 v5, null, v75, v35, vcc_lo
	v_add_co_u32 v6, vcc_lo, v76, v34
	s_wait_alu 0xfffd
	v_add_co_ci_u32_e64 v7, null, v77, v35, vcc_lo
	global_load_b64 v[4:5], v[4:5], off
	global_load_b64 v[6:7], v[6:7], off
	v_add_co_u32 v8, vcc_lo, v38, v34
	s_wait_alu 0xfffd
	v_add_co_ci_u32_e64 v9, null, v39, v35, vcc_lo
	v_add_co_u32 v10, vcc_lo, v52, v34
	s_wait_alu 0xfffd
	v_add_co_ci_u32_e64 v11, null, v53, v35, vcc_lo
	global_load_b64 v[8:9], v[8:9], off
	global_load_b64 v[10:11], v[10:11], off
	;; [unrolled: 8-line block ×8, first 2 shown]
	s_wait_loadcnt 0xe
	v_mul_f64_e32 v[4:5], v[4:5], v[6:7]
	ds_bpermute_b32 v6, v1, v2
	ds_bpermute_b32 v7, v1, v3
	s_wait_loadcnt 0xc
	v_mul_f64_e32 v[8:9], v[8:9], v[10:11]
	s_wait_loadcnt 0xa
	v_mul_f64_e32 v[10:11], v[12:13], v[14:15]
	s_wait_dscnt 0x0
	v_fma_f64 v[4:5], v[4:5], v[6:7], v[66:67]
	ds_bpermute_b32 v6, v1, v2 offset:4
	ds_bpermute_b32 v7, v1, v3 offset:4
	s_wait_dscnt 0x0
	v_fma_f64 v[4:5], v[8:9], v[6:7], v[4:5]
	ds_bpermute_b32 v6, v1, v2 offset:8
	ds_bpermute_b32 v7, v1, v3 offset:8
	s_wait_loadcnt 0x8
	v_mul_f64_e32 v[8:9], v[16:17], v[18:19]
	s_wait_dscnt 0x0
	v_fma_f64 v[4:5], v[10:11], v[6:7], v[4:5]
	ds_bpermute_b32 v6, v1, v2 offset:12
	ds_bpermute_b32 v7, v1, v3 offset:12
	s_wait_loadcnt 0x6
	v_mul_f64_e32 v[10:11], v[20:21], v[22:23]
	;; [unrolled: 6-line block ×4, first 2 shown]
	s_wait_dscnt 0x0
	v_fma_f64 v[4:5], v[8:9], v[6:7], v[4:5]
	ds_bpermute_b32 v6, v1, v2 offset:24
	ds_bpermute_b32 v7, v1, v3 offset:24
	ds_bpermute_b32 v2, v1, v2 offset:28
	ds_bpermute_b32 v3, v1, v3 offset:28
	s_wait_dscnt 0x2
	v_fma_f64 v[4:5], v[10:11], v[6:7], v[4:5]
	s_wait_loadcnt 0x0
	v_mul_f64_e32 v[6:7], v[32:33], v[36:37]
	s_wait_dscnt 0x0
	s_delay_alu instid0(VALU_DEP_1)
	v_fma_f64 v[36:37], v[6:7], v[2:3], v[4:5]
.LBB132_80:                             ;   in Loop: Header=BB132_52 Depth=1
	v_add_co_u32 v74, vcc_lo, v74, s8
	s_wait_alu 0xfffd
	v_add_co_ci_u32_e64 v75, null, s9, v75, vcc_lo
	v_add_co_u32 v76, vcc_lo, v76, s8
	s_wait_alu 0xfffd
	v_add_co_ci_u32_e64 v77, null, s9, v77, vcc_lo
	;; [unrolled: 3-line block ×28, first 2 shown]
	v_add_co_u32 v100, vcc_lo, v100, s8
	s_add_nc_u64 s[22:23], s[22:23], s[20:21]
	s_wait_alu 0xfffd
	v_add_co_ci_u32_e64 v101, null, s9, v101, vcc_lo
	v_add_co_u32 v102, vcc_lo, v102, s8
	s_wait_alu 0xfffe
	v_cmp_ge_i64_e64 s2, s[22:23], s[4:5]
	s_wait_alu 0xfffd
	v_add_co_ci_u32_e64 v103, null, s9, v103, vcc_lo
	v_add_co_u32 v104, vcc_lo, v104, s8
	s_wait_alu 0xfffd
	v_add_co_ci_u32_e64 v105, null, s9, v105, vcc_lo
	s_and_b32 vcc_lo, exec_lo, s2
	s_add_nc_u64 s[10:11], s[10:11], s[20:21]
	s_wait_alu 0xfffe
	s_cbranch_vccnz .LBB132_82
; %bb.81:                               ;   in Loop: Header=BB132_52 Depth=1
	v_dual_mov_b32 v67, v37 :: v_dual_mov_b32 v66, v36
	s_branch .LBB132_52
.LBB132_82:
	s_mov_b32 s2, ttmp9
	s_mov_b32 s3, 0
	s_wait_alu 0xfffe
	s_lshl_b64 s[2:3], s[2:3], 5
	s_wait_kmcnt 0x0
	s_cmp_lg_u64 s[16:17], 0
	s_wait_alu 0xfffe
	v_and_or_b32 v1, 0x3ff, v0, s2
	v_mov_b32_e32 v2, s3
	s_cselect_b32 s2, -1, 0
	s_delay_alu instid0(VALU_DEP_1)
	v_cmp_gt_i64_e32 vcc_lo, s[6:7], v[1:2]
	s_wait_alu 0xfffe
	s_and_b32 s2, vcc_lo, s2
	s_wait_alu 0xfffe
	s_and_saveexec_b32 s3, s2
	s_cbranch_execz .LBB132_84
; %bb.83:
	s_load_u16 s0, s[0:1], 0x4e
	v_bfe_u32 v3, v0, 10, 10
	v_mov_b32_e32 v4, 0
	s_wait_kmcnt 0x0
	s_delay_alu instid0(VALU_DEP_1) | instskip(NEXT) | instid1(VALU_DEP_1)
	v_mad_co_u64_u32 v[3:4], null, s0, ttmp7, v[3:4]
	v_mul_lo_u32 v0, v4, s6
	s_delay_alu instid0(VALU_DEP_2) | instskip(SKIP_1) | instid1(VALU_DEP_1)
	v_mul_lo_u32 v5, v3, s7
	v_mad_co_u64_u32 v[3:4], null, v3, s6, 0
	v_add3_u32 v4, v4, v5, v0
	v_lshlrev_b64_e32 v[0:1], 3, v[1:2]
	s_delay_alu instid0(VALU_DEP_2) | instskip(NEXT) | instid1(VALU_DEP_1)
	v_lshlrev_b64_e32 v[3:4], 3, v[3:4]
	v_add_co_u32 v2, vcc_lo, s16, v3
	s_wait_alu 0xfffd
	s_delay_alu instid0(VALU_DEP_2) | instskip(NEXT) | instid1(VALU_DEP_2)
	v_add_co_ci_u32_e64 v3, null, s17, v4, vcc_lo
	v_add_co_u32 v0, vcc_lo, v2, v0
	s_wait_alu 0xfffd
	s_delay_alu instid0(VALU_DEP_2)
	v_add_co_ci_u32_e64 v1, null, v3, v1, vcc_lo
	global_store_b64 v[0:1], v[36:37], off
.LBB132_84:
	s_nop 0
	s_sendmsg sendmsg(MSG_DEALLOC_VGPRS)
	s_endpgm
	.section	.rodata,"a",@progbits
	.p2align	6, 0x0
	.amdhsa_kernel _ZN2at6native12_GLOBAL__N_135GammaBetaBackwardCUDAKernelTemplateIddLj32ELj1ELj8ELb1ELb0ELb1EEEvllPKT_S5_PKT0_S8_PS3_S9_
		.amdhsa_group_segment_fixed_size 0
		.amdhsa_private_segment_fixed_size 0
		.amdhsa_kernarg_size 320
		.amdhsa_user_sgpr_count 2
		.amdhsa_user_sgpr_dispatch_ptr 0
		.amdhsa_user_sgpr_queue_ptr 0
		.amdhsa_user_sgpr_kernarg_segment_ptr 1
		.amdhsa_user_sgpr_dispatch_id 0
		.amdhsa_user_sgpr_private_segment_size 0
		.amdhsa_wavefront_size32 1
		.amdhsa_uses_dynamic_stack 0
		.amdhsa_enable_private_segment 0
		.amdhsa_system_sgpr_workgroup_id_x 1
		.amdhsa_system_sgpr_workgroup_id_y 1
		.amdhsa_system_sgpr_workgroup_id_z 0
		.amdhsa_system_sgpr_workgroup_info 0
		.amdhsa_system_vgpr_workitem_id 1
		.amdhsa_next_free_vgpr 108
		.amdhsa_next_free_sgpr 32
		.amdhsa_reserve_vcc 1
		.amdhsa_float_round_mode_32 0
		.amdhsa_float_round_mode_16_64 0
		.amdhsa_float_denorm_mode_32 3
		.amdhsa_float_denorm_mode_16_64 3
		.amdhsa_fp16_overflow 0
		.amdhsa_workgroup_processor_mode 1
		.amdhsa_memory_ordered 1
		.amdhsa_forward_progress 1
		.amdhsa_inst_pref_size 74
		.amdhsa_round_robin_scheduling 0
		.amdhsa_exception_fp_ieee_invalid_op 0
		.amdhsa_exception_fp_denorm_src 0
		.amdhsa_exception_fp_ieee_div_zero 0
		.amdhsa_exception_fp_ieee_overflow 0
		.amdhsa_exception_fp_ieee_underflow 0
		.amdhsa_exception_fp_ieee_inexact 0
		.amdhsa_exception_int_div_zero 0
	.end_amdhsa_kernel
	.section	.text._ZN2at6native12_GLOBAL__N_135GammaBetaBackwardCUDAKernelTemplateIddLj32ELj1ELj8ELb1ELb0ELb1EEEvllPKT_S5_PKT0_S8_PS3_S9_,"axG",@progbits,_ZN2at6native12_GLOBAL__N_135GammaBetaBackwardCUDAKernelTemplateIddLj32ELj1ELj8ELb1ELb0ELb1EEEvllPKT_S5_PKT0_S8_PS3_S9_,comdat
.Lfunc_end132:
	.size	_ZN2at6native12_GLOBAL__N_135GammaBetaBackwardCUDAKernelTemplateIddLj32ELj1ELj8ELb1ELb0ELb1EEEvllPKT_S5_PKT0_S8_PS3_S9_, .Lfunc_end132-_ZN2at6native12_GLOBAL__N_135GammaBetaBackwardCUDAKernelTemplateIddLj32ELj1ELj8ELb1ELb0ELb1EEEvllPKT_S5_PKT0_S8_PS3_S9_
                                        ; -- End function
	.set _ZN2at6native12_GLOBAL__N_135GammaBetaBackwardCUDAKernelTemplateIddLj32ELj1ELj8ELb1ELb0ELb1EEEvllPKT_S5_PKT0_S8_PS3_S9_.num_vgpr, 108
	.set _ZN2at6native12_GLOBAL__N_135GammaBetaBackwardCUDAKernelTemplateIddLj32ELj1ELj8ELb1ELb0ELb1EEEvllPKT_S5_PKT0_S8_PS3_S9_.num_agpr, 0
	.set _ZN2at6native12_GLOBAL__N_135GammaBetaBackwardCUDAKernelTemplateIddLj32ELj1ELj8ELb1ELb0ELb1EEEvllPKT_S5_PKT0_S8_PS3_S9_.numbered_sgpr, 32
	.set _ZN2at6native12_GLOBAL__N_135GammaBetaBackwardCUDAKernelTemplateIddLj32ELj1ELj8ELb1ELb0ELb1EEEvllPKT_S5_PKT0_S8_PS3_S9_.num_named_barrier, 0
	.set _ZN2at6native12_GLOBAL__N_135GammaBetaBackwardCUDAKernelTemplateIddLj32ELj1ELj8ELb1ELb0ELb1EEEvllPKT_S5_PKT0_S8_PS3_S9_.private_seg_size, 0
	.set _ZN2at6native12_GLOBAL__N_135GammaBetaBackwardCUDAKernelTemplateIddLj32ELj1ELj8ELb1ELb0ELb1EEEvllPKT_S5_PKT0_S8_PS3_S9_.uses_vcc, 1
	.set _ZN2at6native12_GLOBAL__N_135GammaBetaBackwardCUDAKernelTemplateIddLj32ELj1ELj8ELb1ELb0ELb1EEEvllPKT_S5_PKT0_S8_PS3_S9_.uses_flat_scratch, 0
	.set _ZN2at6native12_GLOBAL__N_135GammaBetaBackwardCUDAKernelTemplateIddLj32ELj1ELj8ELb1ELb0ELb1EEEvllPKT_S5_PKT0_S8_PS3_S9_.has_dyn_sized_stack, 0
	.set _ZN2at6native12_GLOBAL__N_135GammaBetaBackwardCUDAKernelTemplateIddLj32ELj1ELj8ELb1ELb0ELb1EEEvllPKT_S5_PKT0_S8_PS3_S9_.has_recursion, 0
	.set _ZN2at6native12_GLOBAL__N_135GammaBetaBackwardCUDAKernelTemplateIddLj32ELj1ELj8ELb1ELb0ELb1EEEvllPKT_S5_PKT0_S8_PS3_S9_.has_indirect_call, 0
	.section	.AMDGPU.csdata,"",@progbits
; Kernel info:
; codeLenInByte = 9472
; TotalNumSgprs: 34
; NumVgprs: 108
; ScratchSize: 0
; MemoryBound: 1
; FloatMode: 240
; IeeeMode: 1
; LDSByteSize: 0 bytes/workgroup (compile time only)
; SGPRBlocks: 0
; VGPRBlocks: 13
; NumSGPRsForWavesPerEU: 34
; NumVGPRsForWavesPerEU: 108
; Occupancy: 12
; WaveLimiterHint : 0
; COMPUTE_PGM_RSRC2:SCRATCH_EN: 0
; COMPUTE_PGM_RSRC2:USER_SGPR: 2
; COMPUTE_PGM_RSRC2:TRAP_HANDLER: 0
; COMPUTE_PGM_RSRC2:TGID_X_EN: 1
; COMPUTE_PGM_RSRC2:TGID_Y_EN: 1
; COMPUTE_PGM_RSRC2:TGID_Z_EN: 0
; COMPUTE_PGM_RSRC2:TIDIG_COMP_CNT: 1
	.section	.text._ZN2at6native12_GLOBAL__N_135GammaBetaBackwardCUDAKernelTemplateIddLj32ELj8ELj64ELb0ELb1ELb1EEEvllPKT_S5_PKT0_S8_PS3_S9_,"axG",@progbits,_ZN2at6native12_GLOBAL__N_135GammaBetaBackwardCUDAKernelTemplateIddLj32ELj8ELj64ELb0ELb1ELb1EEEvllPKT_S5_PKT0_S8_PS3_S9_,comdat
	.globl	_ZN2at6native12_GLOBAL__N_135GammaBetaBackwardCUDAKernelTemplateIddLj32ELj8ELj64ELb0ELb1ELb1EEEvllPKT_S5_PKT0_S8_PS3_S9_ ; -- Begin function _ZN2at6native12_GLOBAL__N_135GammaBetaBackwardCUDAKernelTemplateIddLj32ELj8ELj64ELb0ELb1ELb1EEEvllPKT_S5_PKT0_S8_PS3_S9_
	.p2align	8
	.type	_ZN2at6native12_GLOBAL__N_135GammaBetaBackwardCUDAKernelTemplateIddLj32ELj8ELj64ELb0ELb1ELb1EEEvllPKT_S5_PKT0_S8_PS3_S9_,@function
_ZN2at6native12_GLOBAL__N_135GammaBetaBackwardCUDAKernelTemplateIddLj32ELj8ELj64ELb0ELb1ELb1EEEvllPKT_S5_PKT0_S8_PS3_S9_: ; @_ZN2at6native12_GLOBAL__N_135GammaBetaBackwardCUDAKernelTemplateIddLj32ELj8ELj64ELb0ELb1ELb1EEEvllPKT_S5_PKT0_S8_PS3_S9_
; %bb.0:
	s_load_b128 s[4:7], s[0:1], 0x0
	s_lshl_b32 s12, ttmp7, 6
	s_mov_b32 s13, 0
	v_bfe_u32 v11, v0, 10, 10
	s_wait_kmcnt 0x0
	v_cmp_gt_i64_e64 s2, s[4:5], s[12:13]
	s_and_b32 vcc_lo, exec_lo, s2
	s_cbranch_vccnz .LBB133_2
; %bb.1:
	v_bfe_u32 v1, v0, 10, 10
	s_mov_b32 s2, s13
	s_branch .LBB133_3
.LBB133_2:
	s_mov_b32 s2, -1
                                        ; implicit-def: $vgpr1
.LBB133_3:
	v_mov_b32_e32 v6, 0
	v_dual_mov_b32 v7, 0 :: v_dual_and_b32 v10, 0x3ff, v0
	s_and_not1_b32 vcc_lo, exec_lo, s2
	s_cbranch_vccnz .LBB133_11
; %bb.4:
	s_load_b32 s2, s[0:1], 0x4c
	v_dual_mov_b32 v1, 0 :: v_dual_lshlrev_b32 v0, 3, v11
	s_clause 0x2
	s_load_b32 s3, s[0:1], 0x44
	s_load_b128 s[8:11], s[0:1], 0x10
	s_load_b64 s[16:17], s[0:1], 0x28
	s_mov_b32 s15, 0
	v_dual_mov_b32 v12, 8 :: v_dual_mov_b32 v13, 4
	v_add_co_u32 v2, s14, v0, s12
	s_delay_alu instid0(VALU_DEP_1) | instskip(SKIP_1) | instid1(VALU_DEP_3)
	v_add_co_ci_u32_e64 v3, null, 0, 0, s14
	v_lshl_add_u32 v0, ttmp9, 5, v10
	v_mul_lo_u32 v8, s7, v2
	v_mad_co_u64_u32 v[4:5], null, s6, v2, 0
	s_delay_alu instid0(VALU_DEP_4)
	v_mul_lo_u32 v9, s6, v3
	v_dual_mov_b32 v14, 12 :: v_dual_mov_b32 v15, 16
	v_dual_mov_b32 v16, 20 :: v_dual_mov_b32 v17, 28
	s_wait_kmcnt 0x0
	s_and_b32 s2, s2, 0xffff
	s_lshl_b32 s14, s3, 6
	v_mad_u32_u24 v6, v11, s2, v10
	s_delay_alu instid0(VALU_DEP_4)
	v_add3_u32 v5, v5, v9, v8
	s_wait_alu 0xfffe
	s_mul_u64 s[18:19], s[6:7], s[14:15]
	s_lshl_b64 s[6:7], s[6:7], 3
	s_lshl_b64 s[18:19], s[18:19], 3
	v_and_b32_e32 v20, 31, v6
	v_lshlrev_b64_e32 v[6:7], 3, v[0:1]
	v_lshlrev_b64_e32 v[4:5], 3, v[4:5]
	v_mov_b32_e32 v0, 24
	s_delay_alu instid0(VALU_DEP_4) | instskip(NEXT) | instid1(VALU_DEP_1)
	v_add_co_u32 v2, vcc_lo, v2, v20
	v_add_co_ci_u32_e64 v3, null, 0, v3, vcc_lo
	s_delay_alu instid0(VALU_DEP_4) | instskip(SKIP_2) | instid1(VALU_DEP_3)
	v_add_co_u32 v18, vcc_lo, v4, v6
	s_wait_alu 0xfffd
	v_add_co_ci_u32_e64 v19, null, v5, v7, vcc_lo
	v_lshlrev_b64_e32 v[8:9], 3, v[2:3]
	v_mov_b32_e32 v6, 0
	v_cmp_gt_u32_e64 s2, 8, v20
	v_mov_b32_e32 v7, 0
	s_delay_alu instid0(VALU_DEP_4)
	v_add_co_u32 v4, vcc_lo, s16, v8
	s_wait_alu 0xfffd
	v_add_co_ci_u32_e64 v5, null, s17, v9, vcc_lo
	s_lshl_b64 s[16:17], s[14:15], 3
	s_branch .LBB133_7
.LBB133_5:                              ;   in Loop: Header=BB133_7 Depth=1
	s_or_b32 exec_lo, exec_lo, s20
.LBB133_6:                              ;   in Loop: Header=BB133_7 Depth=1
	s_wait_alu 0xfffe
	s_or_b32 exec_lo, exec_lo, s3
	v_add_co_u32 v20, vcc_lo, s8, v18
	s_wait_alu 0xfffd
	v_add_co_ci_u32_e64 v21, null, s9, v19, vcc_lo
	v_add_co_u32 v22, vcc_lo, s10, v18
	s_wait_alu 0xfffd
	v_add_co_ci_u32_e64 v23, null, s11, v19, vcc_lo
	global_load_b64 v[24:25], v[20:21], off
	global_load_b64 v[26:27], v[22:23], off
	v_add_co_u32 v20, vcc_lo, v20, s6
	s_wait_alu 0xfffd
	v_add_co_ci_u32_e64 v21, null, s7, v21, vcc_lo
	v_add_co_u32 v22, vcc_lo, v22, s6
	s_wait_alu 0xfffd
	v_add_co_ci_u32_e64 v23, null, s7, v23, vcc_lo
	global_load_b64 v[28:29], v[20:21], off
	global_load_b64 v[30:31], v[22:23], off
	;; [unrolled: 8-line block ×8, first 2 shown]
	v_add_co_u32 v4, vcc_lo, v4, s16
	s_add_nc_u64 s[12:13], s[12:13], s[14:15]
	s_wait_alu 0xfffd
	v_add_co_ci_u32_e64 v5, null, s17, v5, vcc_lo
	v_add_co_u32 v2, vcc_lo, v2, s14
	s_wait_alu 0xfffe
	v_cmp_lt_i64_e64 s3, s[12:13], s[4:5]
	s_wait_alu 0xfffd
	v_add_co_ci_u32_e64 v3, null, 0, v3, vcc_lo
	v_add_co_u32 v18, vcc_lo, v18, s18
	s_wait_alu 0xfffd
	v_add_co_ci_u32_e64 v19, null, s19, v19, vcc_lo
	s_and_b32 vcc_lo, exec_lo, s3
	s_wait_loadcnt 0xe
	v_mul_f64_e32 v[24:25], v[24:25], v[26:27]
	ds_bpermute_b32 v26, v1, v8
	ds_bpermute_b32 v27, v1, v9
	s_wait_loadcnt 0xc
	v_mul_f64_e32 v[28:29], v[28:29], v[30:31]
	s_wait_dscnt 0x0
	v_fma_f64 v[6:7], v[24:25], v[26:27], v[6:7]
	ds_bpermute_b32 v24, v13, v8
	ds_bpermute_b32 v25, v13, v9
	s_wait_loadcnt 0xa
	v_mul_f64_e32 v[26:27], v[32:33], v[34:35]
	s_wait_dscnt 0x0
	v_fma_f64 v[6:7], v[28:29], v[24:25], v[6:7]
	ds_bpermute_b32 v24, v12, v8
	ds_bpermute_b32 v25, v12, v9
	s_wait_loadcnt 0x8
	v_mul_f64_e32 v[28:29], v[36:37], v[38:39]
	s_wait_loadcnt 0x0
	v_mul_f64_e32 v[20:21], v[20:21], v[22:23]
	s_wait_dscnt 0x0
	v_fma_f64 v[6:7], v[26:27], v[24:25], v[6:7]
	ds_bpermute_b32 v24, v14, v8
	ds_bpermute_b32 v25, v14, v9
	v_mul_f64_e32 v[26:27], v[40:41], v[42:43]
	s_wait_dscnt 0x0
	v_fma_f64 v[6:7], v[28:29], v[24:25], v[6:7]
	ds_bpermute_b32 v24, v15, v8
	ds_bpermute_b32 v25, v15, v9
	;; [unrolled: 5-line block ×4, first 2 shown]
	ds_bpermute_b32 v8, v17, v8
	ds_bpermute_b32 v9, v17, v9
	s_wait_dscnt 0x2
	v_fma_f64 v[6:7], v[26:27], v[24:25], v[6:7]
	s_wait_dscnt 0x0
	s_delay_alu instid0(VALU_DEP_1)
	v_fma_f64 v[6:7], v[20:21], v[8:9], v[6:7]
	s_wait_alu 0xfffe
	s_cbranch_vccz .LBB133_10
.LBB133_7:                              ; =>This Inner Loop Header: Depth=1
	v_mov_b32_e32 v8, 0
	v_mov_b32_e32 v9, 0
	s_and_saveexec_b32 s3, s2
	s_cbranch_execz .LBB133_6
; %bb.8:                                ;   in Loop: Header=BB133_7 Depth=1
	v_mov_b32_e32 v8, 0
	v_mov_b32_e32 v9, 0
	s_mov_b32 s20, exec_lo
	v_cmpx_gt_i64_e64 s[4:5], v[2:3]
	s_cbranch_execz .LBB133_5
; %bb.9:                                ;   in Loop: Header=BB133_7 Depth=1
	global_load_b64 v[8:9], v[4:5], off
	s_branch .LBB133_5
.LBB133_10:
	v_mov_b32_e32 v1, v11
.LBB133_11:
	s_load_b64 s[2:3], s[0:1], 0x30
	s_delay_alu instid0(VALU_DEP_1) | instskip(SKIP_3) | instid1(VALU_DEP_3)
	v_mad_u32_u24 v0, v1, 33, v10
	v_mov_b32_e32 v2, 0
	v_lshrrev_b32_e32 v4, 5, v10
	s_mov_b32 s0, exec_lo
	v_lshl_add_u32 v5, v0, 3, 0
	s_delay_alu instid0(VALU_DEP_2)
	v_dual_mov_b32 v3, v2 :: v_dual_add_nc_u32 v0, v4, v1
	ds_store_b64 v5, v[6:7]
	ds_store_b64 v5, v[2:3] offset:2112
	s_wait_dscnt 0x0
	s_barrier_signal -1
	s_barrier_wait -1
	global_inv scope:SCOPE_SE
	v_cmpx_gt_u32_e32 32, v0
	s_cbranch_execz .LBB133_31
; %bb.12:
	v_and_b32_e32 v1, 31, v10
	s_delay_alu instid0(VALU_DEP_1)
	v_cmp_gt_u32_e32 vcc_lo, 8, v1
	v_mul_u32_u24_e32 v4, 33, v1
                                        ; implicit-def: $vgpr1_vgpr2
	s_and_saveexec_b32 s0, vcc_lo
	s_cbranch_execz .LBB133_14
; %bb.13:
	v_lshlrev_b32_e32 v1, 3, v0
	s_delay_alu instid0(VALU_DEP_2) | instskip(NEXT) | instid1(VALU_DEP_1)
	v_lshlrev_b32_e32 v2, 3, v4
	v_add3_u32 v1, 0, v1, v2
	ds_load_b64 v[1:2], v1
.LBB133_14:
	s_wait_alu 0xfffe
	s_or_b32 exec_lo, exec_lo, s0
	v_mbcnt_lo_u32_b32 v3, -1, 0
	s_mov_b32 s4, ttmp9
	s_wait_kmcnt 0x0
	s_cmp_lg_u64 s[2:3], 0
	s_mov_b32 s5, 0
	s_cselect_b32 s1, -1, 0
	v_xor_b32_e32 v5, 4, v3
	s_wait_alu 0xfffe
	s_lshl_b64 s[4:5], s[4:5], 8
	s_wait_alu 0xfffe
	s_add_nc_u64 s[2:3], s[2:3], s[4:5]
	v_cmp_gt_i32_e64 s0, 32, v5
	s_wait_alu 0xf1ff
	s_delay_alu instid0(VALU_DEP_1) | instskip(NEXT) | instid1(VALU_DEP_1)
	v_cndmask_b32_e64 v5, v3, v5, s0
	v_lshlrev_b32_e32 v5, 2, v5
	s_wait_dscnt 0x0
	ds_bpermute_b32 v6, v5, v1
	ds_bpermute_b32 v7, v5, v2
	s_wait_dscnt 0x0
	v_add_f64_e32 v[1:2], v[1:2], v[6:7]
	v_xor_b32_e32 v6, 2, v3
	s_delay_alu instid0(VALU_DEP_1) | instskip(SKIP_1) | instid1(VALU_DEP_1)
	v_cmp_gt_i32_e64 s0, 32, v6
	s_wait_alu 0xf1ff
	v_cndmask_b32_e64 v6, v3, v6, s0
	s_delay_alu instid0(VALU_DEP_1)
	v_lshlrev_b32_e32 v6, 2, v6
	ds_bpermute_b32 v7, v6, v1
	ds_bpermute_b32 v8, v6, v2
	s_wait_dscnt 0x0
	v_add_f64_e32 v[1:2], v[1:2], v[7:8]
	v_xor_b32_e32 v7, 1, v3
	s_delay_alu instid0(VALU_DEP_1) | instskip(SKIP_1) | instid1(VALU_DEP_1)
	v_cmp_gt_i32_e64 s0, 32, v7
	s_wait_alu 0xf1ff
	v_cndmask_b32_e64 v3, v3, v7, s0
	v_cmp_eq_u32_e64 s0, 0, v10
	s_delay_alu instid0(VALU_DEP_2)
	v_lshlrev_b32_e32 v7, 2, v3
	s_and_b32 s1, s0, s1
	ds_bpermute_b32 v8, v7, v1
	ds_bpermute_b32 v9, v7, v2
	s_wait_dscnt 0x0
	v_add_f64_e32 v[2:3], v[1:2], v[8:9]
	s_wait_alu 0xfffe
	s_and_saveexec_b32 s4, s1
	s_cbranch_execz .LBB133_16
; %bb.15:
	v_mov_b32_e32 v1, 0
	s_delay_alu instid0(VALU_DEP_1) | instskip(NEXT) | instid1(VALU_DEP_1)
	v_lshlrev_b64_e32 v[8:9], 3, v[0:1]
	v_add_co_u32 v8, s0, s2, v8
	s_wait_alu 0xf1ff
	s_delay_alu instid0(VALU_DEP_2)
	v_add_co_ci_u32_e64 v9, null, s3, v9, s0
	global_store_b64 v[8:9], v[2:3], off
.LBB133_16:
	s_wait_alu 0xfffe
	s_or_b32 exec_lo, exec_lo, s4
	v_cmp_gt_u32_e64 s0, 24, v0
	s_and_b32 exec_lo, exec_lo, s0
	s_cbranch_execz .LBB133_31
; %bb.17:
	s_and_saveexec_b32 s0, vcc_lo
	s_cbranch_execz .LBB133_19
; %bb.18:
	v_lshlrev_b32_e32 v1, 3, v0
	v_lshlrev_b32_e32 v2, 3, v4
	s_delay_alu instid0(VALU_DEP_1)
	v_add3_u32 v1, 0, v1, v2
	ds_load_b64 v[2:3], v1 offset:64
.LBB133_19:
	s_wait_alu 0xfffe
	s_or_b32 exec_lo, exec_lo, s0
	s_wait_dscnt 0x0
	ds_bpermute_b32 v8, v5, v2
	ds_bpermute_b32 v9, v5, v3
	s_wait_dscnt 0x0
	v_add_f64_e32 v[1:2], v[2:3], v[8:9]
	ds_bpermute_b32 v8, v6, v1
	ds_bpermute_b32 v9, v6, v2
	s_wait_dscnt 0x0
	v_add_f64_e32 v[1:2], v[1:2], v[8:9]
	;; [unrolled: 4-line block ×3, first 2 shown]
	s_and_saveexec_b32 s4, s1
	s_cbranch_execz .LBB133_21
; %bb.20:
	v_mov_b32_e32 v1, 0
	s_delay_alu instid0(VALU_DEP_1) | instskip(NEXT) | instid1(VALU_DEP_1)
	v_lshlrev_b64_e32 v[8:9], 3, v[0:1]
	v_add_co_u32 v8, s0, s2, v8
	s_wait_alu 0xf1ff
	s_delay_alu instid0(VALU_DEP_2)
	v_add_co_ci_u32_e64 v9, null, s3, v9, s0
	global_store_b64 v[8:9], v[2:3], off offset:64
.LBB133_21:
	s_wait_alu 0xfffe
	s_or_b32 exec_lo, exec_lo, s4
	v_cmp_gt_u32_e64 s0, 16, v0
	s_and_b32 exec_lo, exec_lo, s0
	s_cbranch_execz .LBB133_31
; %bb.22:
	s_and_saveexec_b32 s0, vcc_lo
	s_cbranch_execz .LBB133_24
; %bb.23:
	v_lshlrev_b32_e32 v1, 3, v0
	v_lshlrev_b32_e32 v2, 3, v4
	s_delay_alu instid0(VALU_DEP_1)
	v_add3_u32 v1, 0, v1, v2
	ds_load_b64 v[2:3], v1 offset:128
.LBB133_24:
	s_wait_alu 0xfffe
	s_or_b32 exec_lo, exec_lo, s0
	s_wait_dscnt 0x0
	ds_bpermute_b32 v8, v5, v2
	ds_bpermute_b32 v9, v5, v3
	s_wait_dscnt 0x0
	v_add_f64_e32 v[1:2], v[2:3], v[8:9]
	ds_bpermute_b32 v8, v6, v1
	ds_bpermute_b32 v9, v6, v2
	s_wait_dscnt 0x0
	v_add_f64_e32 v[1:2], v[1:2], v[8:9]
	;; [unrolled: 4-line block ×3, first 2 shown]
	s_and_saveexec_b32 s4, s1
	s_cbranch_execz .LBB133_26
; %bb.25:
	v_mov_b32_e32 v1, 0
	s_delay_alu instid0(VALU_DEP_1) | instskip(NEXT) | instid1(VALU_DEP_1)
	v_lshlrev_b64_e32 v[8:9], 3, v[0:1]
	v_add_co_u32 v8, s0, s2, v8
	s_wait_alu 0xf1ff
	s_delay_alu instid0(VALU_DEP_2)
	v_add_co_ci_u32_e64 v9, null, s3, v9, s0
	global_store_b64 v[8:9], v[2:3], off offset:128
.LBB133_26:
	s_wait_alu 0xfffe
	s_or_b32 exec_lo, exec_lo, s4
	v_cmp_gt_u32_e64 s0, 8, v0
	s_and_b32 exec_lo, exec_lo, s0
	s_cbranch_execz .LBB133_31
; %bb.27:
	s_and_saveexec_b32 s0, vcc_lo
	s_cbranch_execz .LBB133_29
; %bb.28:
	v_lshlrev_b32_e32 v1, 3, v0
	v_lshlrev_b32_e32 v2, 3, v4
	s_delay_alu instid0(VALU_DEP_1)
	v_add3_u32 v1, 0, v1, v2
	ds_load_b64 v[2:3], v1 offset:192
.LBB133_29:
	s_wait_alu 0xfffe
	s_or_b32 exec_lo, exec_lo, s0
	s_wait_dscnt 0x0
	ds_bpermute_b32 v4, v5, v2
	ds_bpermute_b32 v5, v5, v3
	s_wait_dscnt 0x0
	v_add_f64_e32 v[1:2], v[2:3], v[4:5]
	ds_bpermute_b32 v3, v6, v1
	ds_bpermute_b32 v4, v6, v2
	s_wait_dscnt 0x0
	v_add_f64_e32 v[1:2], v[1:2], v[3:4]
	ds_bpermute_b32 v3, v7, v1
	ds_bpermute_b32 v4, v7, v2
	s_and_saveexec_b32 s0, s1
	s_wait_alu 0xfffe
	s_xor_b32 s0, exec_lo, s0
	s_cbranch_execz .LBB133_31
; %bb.30:
	s_wait_dscnt 0x0
	v_add_f64_e32 v[2:3], v[1:2], v[3:4]
	v_mov_b32_e32 v1, 0
	s_delay_alu instid0(VALU_DEP_1) | instskip(NEXT) | instid1(VALU_DEP_1)
	v_lshlrev_b64_e32 v[0:1], 3, v[0:1]
	v_add_co_u32 v0, vcc_lo, s2, v0
	s_wait_alu 0xfffd
	s_delay_alu instid0(VALU_DEP_2)
	v_add_co_ci_u32_e64 v1, null, s3, v1, vcc_lo
	global_store_b64 v[0:1], v[2:3], off offset:192
.LBB133_31:
	s_endpgm
	.section	.rodata,"a",@progbits
	.p2align	6, 0x0
	.amdhsa_kernel _ZN2at6native12_GLOBAL__N_135GammaBetaBackwardCUDAKernelTemplateIddLj32ELj8ELj64ELb0ELb1ELb1EEEvllPKT_S5_PKT0_S8_PS3_S9_
		.amdhsa_group_segment_fixed_size 0
		.amdhsa_private_segment_fixed_size 0
		.amdhsa_kernarg_size 320
		.amdhsa_user_sgpr_count 2
		.amdhsa_user_sgpr_dispatch_ptr 0
		.amdhsa_user_sgpr_queue_ptr 0
		.amdhsa_user_sgpr_kernarg_segment_ptr 1
		.amdhsa_user_sgpr_dispatch_id 0
		.amdhsa_user_sgpr_private_segment_size 0
		.amdhsa_wavefront_size32 1
		.amdhsa_uses_dynamic_stack 0
		.amdhsa_enable_private_segment 0
		.amdhsa_system_sgpr_workgroup_id_x 1
		.amdhsa_system_sgpr_workgroup_id_y 1
		.amdhsa_system_sgpr_workgroup_id_z 0
		.amdhsa_system_sgpr_workgroup_info 0
		.amdhsa_system_vgpr_workitem_id 1
		.amdhsa_next_free_vgpr 52
		.amdhsa_next_free_sgpr 21
		.amdhsa_reserve_vcc 1
		.amdhsa_float_round_mode_32 0
		.amdhsa_float_round_mode_16_64 0
		.amdhsa_float_denorm_mode_32 3
		.amdhsa_float_denorm_mode_16_64 3
		.amdhsa_fp16_overflow 0
		.amdhsa_workgroup_processor_mode 1
		.amdhsa_memory_ordered 1
		.amdhsa_forward_progress 1
		.amdhsa_inst_pref_size 19
		.amdhsa_round_robin_scheduling 0
		.amdhsa_exception_fp_ieee_invalid_op 0
		.amdhsa_exception_fp_denorm_src 0
		.amdhsa_exception_fp_ieee_div_zero 0
		.amdhsa_exception_fp_ieee_overflow 0
		.amdhsa_exception_fp_ieee_underflow 0
		.amdhsa_exception_fp_ieee_inexact 0
		.amdhsa_exception_int_div_zero 0
	.end_amdhsa_kernel
	.section	.text._ZN2at6native12_GLOBAL__N_135GammaBetaBackwardCUDAKernelTemplateIddLj32ELj8ELj64ELb0ELb1ELb1EEEvllPKT_S5_PKT0_S8_PS3_S9_,"axG",@progbits,_ZN2at6native12_GLOBAL__N_135GammaBetaBackwardCUDAKernelTemplateIddLj32ELj8ELj64ELb0ELb1ELb1EEEvllPKT_S5_PKT0_S8_PS3_S9_,comdat
.Lfunc_end133:
	.size	_ZN2at6native12_GLOBAL__N_135GammaBetaBackwardCUDAKernelTemplateIddLj32ELj8ELj64ELb0ELb1ELb1EEEvllPKT_S5_PKT0_S8_PS3_S9_, .Lfunc_end133-_ZN2at6native12_GLOBAL__N_135GammaBetaBackwardCUDAKernelTemplateIddLj32ELj8ELj64ELb0ELb1ELb1EEEvllPKT_S5_PKT0_S8_PS3_S9_
                                        ; -- End function
	.set _ZN2at6native12_GLOBAL__N_135GammaBetaBackwardCUDAKernelTemplateIddLj32ELj8ELj64ELb0ELb1ELb1EEEvllPKT_S5_PKT0_S8_PS3_S9_.num_vgpr, 52
	.set _ZN2at6native12_GLOBAL__N_135GammaBetaBackwardCUDAKernelTemplateIddLj32ELj8ELj64ELb0ELb1ELb1EEEvllPKT_S5_PKT0_S8_PS3_S9_.num_agpr, 0
	.set _ZN2at6native12_GLOBAL__N_135GammaBetaBackwardCUDAKernelTemplateIddLj32ELj8ELj64ELb0ELb1ELb1EEEvllPKT_S5_PKT0_S8_PS3_S9_.numbered_sgpr, 21
	.set _ZN2at6native12_GLOBAL__N_135GammaBetaBackwardCUDAKernelTemplateIddLj32ELj8ELj64ELb0ELb1ELb1EEEvllPKT_S5_PKT0_S8_PS3_S9_.num_named_barrier, 0
	.set _ZN2at6native12_GLOBAL__N_135GammaBetaBackwardCUDAKernelTemplateIddLj32ELj8ELj64ELb0ELb1ELb1EEEvllPKT_S5_PKT0_S8_PS3_S9_.private_seg_size, 0
	.set _ZN2at6native12_GLOBAL__N_135GammaBetaBackwardCUDAKernelTemplateIddLj32ELj8ELj64ELb0ELb1ELb1EEEvllPKT_S5_PKT0_S8_PS3_S9_.uses_vcc, 1
	.set _ZN2at6native12_GLOBAL__N_135GammaBetaBackwardCUDAKernelTemplateIddLj32ELj8ELj64ELb0ELb1ELb1EEEvllPKT_S5_PKT0_S8_PS3_S9_.uses_flat_scratch, 0
	.set _ZN2at6native12_GLOBAL__N_135GammaBetaBackwardCUDAKernelTemplateIddLj32ELj8ELj64ELb0ELb1ELb1EEEvllPKT_S5_PKT0_S8_PS3_S9_.has_dyn_sized_stack, 0
	.set _ZN2at6native12_GLOBAL__N_135GammaBetaBackwardCUDAKernelTemplateIddLj32ELj8ELj64ELb0ELb1ELb1EEEvllPKT_S5_PKT0_S8_PS3_S9_.has_recursion, 0
	.set _ZN2at6native12_GLOBAL__N_135GammaBetaBackwardCUDAKernelTemplateIddLj32ELj8ELj64ELb0ELb1ELb1EEEvllPKT_S5_PKT0_S8_PS3_S9_.has_indirect_call, 0
	.section	.AMDGPU.csdata,"",@progbits
; Kernel info:
; codeLenInByte = 2400
; TotalNumSgprs: 23
; NumVgprs: 52
; ScratchSize: 0
; MemoryBound: 0
; FloatMode: 240
; IeeeMode: 1
; LDSByteSize: 0 bytes/workgroup (compile time only)
; SGPRBlocks: 0
; VGPRBlocks: 6
; NumSGPRsForWavesPerEU: 23
; NumVGPRsForWavesPerEU: 52
; Occupancy: 16
; WaveLimiterHint : 0
; COMPUTE_PGM_RSRC2:SCRATCH_EN: 0
; COMPUTE_PGM_RSRC2:USER_SGPR: 2
; COMPUTE_PGM_RSRC2:TRAP_HANDLER: 0
; COMPUTE_PGM_RSRC2:TGID_X_EN: 1
; COMPUTE_PGM_RSRC2:TGID_Y_EN: 1
; COMPUTE_PGM_RSRC2:TGID_Z_EN: 0
; COMPUTE_PGM_RSRC2:TIDIG_COMP_CNT: 1
	.section	.text._ZN2at6native12_GLOBAL__N_135GammaBetaBackwardCUDAKernelTemplateIddLj32ELj8ELj64ELb0ELb0ELb1EEEvllPKT_S5_PKT0_S8_PS3_S9_,"axG",@progbits,_ZN2at6native12_GLOBAL__N_135GammaBetaBackwardCUDAKernelTemplateIddLj32ELj8ELj64ELb0ELb0ELb1EEEvllPKT_S5_PKT0_S8_PS3_S9_,comdat
	.globl	_ZN2at6native12_GLOBAL__N_135GammaBetaBackwardCUDAKernelTemplateIddLj32ELj8ELj64ELb0ELb0ELb1EEEvllPKT_S5_PKT0_S8_PS3_S9_ ; -- Begin function _ZN2at6native12_GLOBAL__N_135GammaBetaBackwardCUDAKernelTemplateIddLj32ELj8ELj64ELb0ELb0ELb1EEEvllPKT_S5_PKT0_S8_PS3_S9_
	.p2align	8
	.type	_ZN2at6native12_GLOBAL__N_135GammaBetaBackwardCUDAKernelTemplateIddLj32ELj8ELj64ELb0ELb0ELb1EEEvllPKT_S5_PKT0_S8_PS3_S9_,@function
_ZN2at6native12_GLOBAL__N_135GammaBetaBackwardCUDAKernelTemplateIddLj32ELj8ELj64ELb0ELb0ELb1EEEvllPKT_S5_PKT0_S8_PS3_S9_: ; @_ZN2at6native12_GLOBAL__N_135GammaBetaBackwardCUDAKernelTemplateIddLj32ELj8ELj64ELb0ELb0ELb1EEEvllPKT_S5_PKT0_S8_PS3_S9_
; %bb.0:
	s_clause 0x1
	s_load_b256 s[4:11], s[0:1], 0x0
	s_load_b64 s[12:13], s[0:1], 0x28
	s_lshl_b32 s28, ttmp9, 5
	s_mov_b32 s15, 0
	s_or_b32 s14, s28, 31
	s_wait_kmcnt 0x0
	v_cmp_le_i64_e64 s2, s[6:7], s[14:15]
	s_lshl_b32 s14, ttmp7, 6
	s_wait_alu 0xfffe
	v_cmp_gt_i64_e64 s29, s[4:5], s[14:15]
	s_and_b32 vcc_lo, exec_lo, s2
	v_cndmask_b32_e64 v1, 0, 1, s29
	s_delay_alu instid0(VALU_DEP_1)
	v_cmp_ne_u32_e64 s2, 1, v1
	s_cbranch_vccz .LBB134_48
; %bb.1:
	v_mov_b32_e32 v36, 0
	v_mov_b32_e32 v37, 0
	s_and_b32 vcc_lo, exec_lo, s2
	s_cbranch_vccnz .LBB134_49
; %bb.2:
	v_bfe_u32 v42, v0, 10, 10
	v_dual_mov_b32 v1, 0 :: v_dual_and_b32 v44, 0x3ff, v0
	s_load_b32 s3, s[0:1], 0x44
	s_mov_b32 s17, 0
	s_delay_alu instid0(VALU_DEP_2) | instskip(NEXT) | instid1(VALU_DEP_2)
	v_dual_mov_b32 v36, 0 :: v_dual_lshlrev_b32 v43, 3, v42
	v_dual_mov_b32 v3, v1 :: v_dual_add_nc_u32 v2, s28, v44
	s_mov_b32 s21, s17
	s_delay_alu instid0(VALU_DEP_2) | instskip(NEXT) | instid1(VALU_DEP_1)
	v_add_co_u32 v10, s2, v43, s14
	v_add_co_ci_u32_e64 v11, null, 0, 0, s2
	s_delay_alu instid0(VALU_DEP_3) | instskip(NEXT) | instid1(VALU_DEP_3)
	v_cmp_gt_i64_e64 s2, s[6:7], v[2:3]
	v_mul_lo_u32 v6, s7, v10
	v_mad_co_u64_u32 v[4:5], null, s6, v10, 0
	s_delay_alu instid0(VALU_DEP_4) | instskip(SKIP_1) | instid1(VALU_DEP_1)
	v_mul_lo_u32 v7, s6, v11
	v_add_co_u32 v8, vcc_lo, v10, 7
	v_add_co_ci_u32_e64 v9, null, 0, v11, vcc_lo
	v_lshlrev_b64_e32 v[34:35], 3, v[2:3]
	s_delay_alu instid0(VALU_DEP_3)
	v_mul_lo_u32 v12, s7, v8
	s_wait_kmcnt 0x0
	s_lshl_b32 s20, s3, 6
	v_add3_u32 v5, v5, v7, v6
	v_mad_co_u64_u32 v[6:7], null, s6, v8, 0
	v_add_co_u32 v8, vcc_lo, v10, 6
	v_mul_lo_u32 v13, s6, v9
	s_wait_alu 0xfffd
	v_add_co_ci_u32_e64 v9, null, 0, v11, vcc_lo
	v_lshlrev_b64_e32 v[2:3], 3, v[4:5]
	v_mul_lo_u32 v14, s7, v8
	v_mov_b32_e32 v37, 0
	s_delay_alu instid0(VALU_DEP_4)
	v_mul_lo_u32 v15, s6, v9
	v_mad_co_u64_u32 v[8:9], null, s6, v8, 0
	v_add_co_u32 v45, vcc_lo, s8, v2
	s_wait_alu 0xfffd
	v_add_co_ci_u32_e64 v46, null, s9, v3, vcc_lo
	v_add_co_u32 v47, vcc_lo, s10, v2
	v_add3_u32 v7, v7, v13, v12
	s_wait_alu 0xfffd
	v_add_co_ci_u32_e64 v48, null, s11, v3, vcc_lo
	v_add_co_u32 v12, vcc_lo, v10, 5
	v_add3_u32 v9, v9, v15, v14
	s_wait_alu 0xfffd
	v_add_co_ci_u32_e64 v13, null, 0, v11, vcc_lo
	v_lshlrev_b64_e32 v[2:3], 3, v[6:7]
	v_mul_lo_u32 v14, s7, v12
	v_lshlrev_b64_e32 v[6:7], 3, v[8:9]
	s_delay_alu instid0(VALU_DEP_4)
	v_mul_lo_u32 v13, s6, v13
	v_mad_co_u64_u32 v[8:9], null, s6, v12, 0
	v_add_co_u32 v49, vcc_lo, s8, v2
	s_wait_alu 0xfffd
	v_add_co_ci_u32_e64 v50, null, s9, v3, vcc_lo
	v_add_co_u32 v51, vcc_lo, s10, v2
	s_wait_alu 0xfffd
	v_add_co_ci_u32_e64 v52, null, s11, v3, vcc_lo
	v_add_co_u32 v53, vcc_lo, s8, v6
	v_add3_u32 v9, v9, v13, v14
	s_wait_alu 0xfffd
	v_add_co_ci_u32_e64 v54, null, s9, v7, vcc_lo
	v_add_co_u32 v12, vcc_lo, v10, 4
	v_add_co_u32 v55, s3, s10, v6
	s_wait_alu 0xfffd
	v_add_co_ci_u32_e64 v6, null, 0, v11, vcc_lo
	v_lshlrev_b64_e32 v[2:3], 3, v[8:9]
	v_add_co_u32 v8, vcc_lo, v10, 3
	s_wait_alu 0xfffd
	v_add_co_ci_u32_e64 v9, null, 0, v11, vcc_lo
	s_wait_alu 0xf1ff
	v_add_co_ci_u32_e64 v56, null, s11, v7, s3
	v_mul_lo_u32 v13, s7, v12
	v_mul_lo_u32 v14, s6, v6
	v_mad_co_u64_u32 v[6:7], null, s6, v12, 0
	v_mul_lo_u32 v12, s7, v8
	v_mul_lo_u32 v15, s6, v9
	v_mad_co_u64_u32 v[8:9], null, s6, v8, 0
	v_add_co_u32 v57, vcc_lo, s8, v2
	s_wait_alu 0xfffd
	v_add_co_ci_u32_e64 v58, null, s9, v3, vcc_lo
	v_add3_u32 v7, v7, v14, v13
	v_add_co_u32 v59, vcc_lo, s10, v2
	s_wait_alu 0xfffd
	v_add_co_ci_u32_e64 v60, null, s11, v3, vcc_lo
	v_add_co_u32 v10, vcc_lo, v10, 2
	v_add3_u32 v9, v9, v15, v12
	s_wait_alu 0xfffd
	v_add_co_ci_u32_e64 v11, null, 0, v11, vcc_lo
	v_lshlrev_b64_e32 v[2:3], 3, v[6:7]
	v_mul_lo_u32 v12, s7, v10
	v_lshlrev_b64_e32 v[6:7], 3, v[8:9]
	s_delay_alu instid0(VALU_DEP_4)
	v_mul_lo_u32 v11, s6, v11
	v_mad_co_u64_u32 v[8:9], null, s6, v10, 0
	v_add_co_u32 v61, vcc_lo, s8, v2
	s_wait_alu 0xfffd
	v_add_co_ci_u32_e64 v62, null, s9, v3, vcc_lo
	v_add_co_u32 v63, vcc_lo, s10, v2
	s_wait_alu 0xfffd
	v_add_co_ci_u32_e64 v64, null, s11, v3, vcc_lo
	;; [unrolled: 3-line block ×3, first 2 shown]
	v_add3_u32 v9, v9, v11, v12
	v_add_co_u32 v67, vcc_lo, s10, v6
	s_wait_alu 0xfffd
	v_add_co_ci_u32_e64 v68, null, s11, v7, vcc_lo
	v_add_co_u32 v4, vcc_lo, v4, s6
	s_wait_alu 0xfffd
	v_add_co_ci_u32_e64 v5, null, s7, v5, vcc_lo
	v_lshlrev_b64_e32 v[2:3], 3, v[8:9]
	s_mul_u64 s[22:23], s[6:7], s[20:21]
	s_add_nc_u64 s[18:19], s[0:1], 64
	s_delay_alu instid0(VALU_DEP_2)
	v_lshlrev_b64_e32 v[4:5], 3, v[4:5]
	s_lshl_b64 s[22:23], s[22:23], 3
	s_add_nc_u64 s[24:25], s[14:15], 63
	v_add_co_u32 v69, vcc_lo, s8, v2
	s_wait_alu 0xfffd
	v_add_co_ci_u32_e64 v70, null, s9, v3, vcc_lo
	v_add_co_u32 v71, vcc_lo, s10, v2
	s_wait_alu 0xfffd
	v_add_co_ci_u32_e64 v72, null, s11, v3, vcc_lo
	;; [unrolled: 3-line block ×4, first 2 shown]
	s_mov_b64 s[26:27], s[14:15]
	s_branch .LBB134_5
.LBB134_3:                              ;   in Loop: Header=BB134_5 Depth=1
	s_wait_alu 0xfffe
	s_or_b32 exec_lo, exec_lo, s3
	s_wait_loadcnt 0x0
	v_mul_f64_e32 v[2:3], v[18:19], v[2:3]
	ds_bpermute_b32 v18, v1, v38
	ds_bpermute_b32 v19, v1, v39
	v_mul_f64_e32 v[4:5], v[20:21], v[4:5]
	v_mul_f64_e32 v[6:7], v[22:23], v[6:7]
	;; [unrolled: 1-line block ×3, first 2 shown]
	s_wait_dscnt 0x0
	v_fma_f64 v[2:3], v[2:3], v[18:19], v[36:37]
	ds_bpermute_b32 v18, v1, v38 offset:4
	ds_bpermute_b32 v19, v1, v39 offset:4
	s_wait_dscnt 0x0
	v_fma_f64 v[2:3], v[4:5], v[18:19], v[2:3]
	ds_bpermute_b32 v4, v1, v38 offset:8
	ds_bpermute_b32 v5, v1, v39 offset:8
	;; [unrolled: 4-line block ×3, first 2 shown]
	v_mul_f64_e32 v[6:7], v[26:27], v[10:11]
	s_wait_dscnt 0x0
	v_fma_f64 v[2:3], v[8:9], v[4:5], v[2:3]
	ds_bpermute_b32 v4, v1, v38 offset:16
	ds_bpermute_b32 v5, v1, v39 offset:16
	v_mul_f64_e32 v[8:9], v[28:29], v[12:13]
	s_wait_dscnt 0x0
	v_fma_f64 v[2:3], v[6:7], v[4:5], v[2:3]
	ds_bpermute_b32 v4, v1, v38 offset:20
	ds_bpermute_b32 v5, v1, v39 offset:20
	;; [unrolled: 1-line block ×4, first 2 shown]
	s_wait_dscnt 0x2
	v_fma_f64 v[2:3], v[8:9], v[4:5], v[2:3]
	v_mul_f64_e32 v[4:5], v[30:31], v[14:15]
	s_wait_dscnt 0x0
	s_delay_alu instid0(VALU_DEP_1)
	v_fma_f64 v[40:41], v[4:5], v[6:7], v[2:3]
	ds_bpermute_b32 v2, v1, v38 offset:28
	ds_bpermute_b32 v3, v1, v39 offset:28
.LBB134_4:                              ;   in Loop: Header=BB134_5 Depth=1
	v_mul_f64_e32 v[4:5], v[16:17], v[32:33]
	v_add_co_u32 v45, vcc_lo, v45, s22
	s_wait_alu 0xfffd
	v_add_co_ci_u32_e64 v46, null, s23, v46, vcc_lo
	v_add_co_u32 v47, vcc_lo, v47, s22
	s_wait_alu 0xfffd
	v_add_co_ci_u32_e64 v48, null, s23, v48, vcc_lo
	;; [unrolled: 3-line block ×9, first 2 shown]
	v_add_co_u32 v63, vcc_lo, v63, s22
	s_wait_dscnt 0x0
	v_fma_f64 v[36:37], v[4:5], v[2:3], v[40:41]
	s_wait_alu 0xfffd
	v_add_co_ci_u32_e64 v64, null, s23, v64, vcc_lo
	v_add_co_u32 v65, vcc_lo, v65, s22
	s_wait_alu 0xfffd
	v_add_co_ci_u32_e64 v66, null, s23, v66, vcc_lo
	v_add_co_u32 v67, vcc_lo, v67, s22
	;; [unrolled: 3-line block ×4, first 2 shown]
	s_add_nc_u64 s[26:27], s[26:27], s[20:21]
	s_wait_alu 0xfffd
	v_add_co_ci_u32_e64 v72, null, s23, v72, vcc_lo
	v_add_co_u32 v73, vcc_lo, v73, s22
	s_wait_alu 0xfffe
	v_cmp_lt_i64_e64 s3, s[26:27], s[4:5]
	s_wait_alu 0xfffd
	v_add_co_ci_u32_e64 v74, null, s23, v74, vcc_lo
	v_add_co_u32 v75, vcc_lo, v75, s22
	s_wait_alu 0xfffd
	v_add_co_ci_u32_e64 v76, null, s23, v76, vcc_lo
	s_and_b32 vcc_lo, exec_lo, s3
	s_add_nc_u64 s[24:25], s[24:25], s[20:21]
	s_wait_alu 0xfffe
	s_cbranch_vccz .LBB134_49
.LBB134_5:                              ; =>This Inner Loop Header: Depth=1
	v_cmp_ge_i64_e64 s3, s[24:25], s[4:5]
	v_add_co_u32 v77, s16, v43, s24
	s_wait_alu 0xf1ff
	v_add_co_ci_u32_e64 v78, null, 0, s25, s16
                                        ; implicit-def: $vgpr2_vgpr3_vgpr4_vgpr5_vgpr6_vgpr7_vgpr8_vgpr9_vgpr10_vgpr11_vgpr12_vgpr13_vgpr14_vgpr15_vgpr16_vgpr17
                                        ; implicit-def: $vgpr40_vgpr41
                                        ; implicit-def: $vgpr18_vgpr19_vgpr20_vgpr21_vgpr22_vgpr23_vgpr24_vgpr25_vgpr26_vgpr27_vgpr28_vgpr29_vgpr30_vgpr31_vgpr32_vgpr33
                                        ; implicit-def: $vgpr2
	s_and_b32 vcc_lo, exec_lo, s3
	s_mov_b32 s3, -1
	s_wait_alu 0xfffe
	s_cbranch_vccz .LBB134_27
; %bb.6:                                ;   in Loop: Header=BB134_5 Depth=1
	s_load_b32 s3, s[18:19], 0xc
	v_mov_b32_e32 v38, 0
	v_mov_b32_e32 v39, 0
	s_wait_kmcnt 0x0
	s_and_b32 s3, s3, 0xffff
	s_wait_alu 0xfffe
	v_mad_u32_u24 v2, v42, s3, v44
	s_mov_b32 s3, exec_lo
	s_delay_alu instid0(VALU_DEP_1) | instskip(NEXT) | instid1(VALU_DEP_1)
	v_and_b32_e32 v2, 31, v2
	v_cmpx_gt_u32_e32 8, v2
	s_cbranch_execz .LBB134_10
; %bb.7:                                ;   in Loop: Header=BB134_5 Depth=1
	v_add_co_u32 v2, vcc_lo, v77, v2
	s_wait_alu 0xfffd
	v_add_co_ci_u32_e64 v3, null, 0, v78, vcc_lo
	v_mov_b32_e32 v38, 0
	s_delay_alu instid0(VALU_DEP_3) | instskip(SKIP_1) | instid1(VALU_DEP_3)
	v_add_co_u32 v2, vcc_lo, 0xffffffc1, v2
	s_wait_alu 0xfffd
	v_add_co_ci_u32_e64 v3, null, -1, v3, vcc_lo
	v_mov_b32_e32 v39, 0
	s_mov_b32 s16, exec_lo
	s_delay_alu instid0(VALU_DEP_2)
	v_cmpx_gt_i64_e64 s[4:5], v[2:3]
	s_cbranch_execz .LBB134_9
; %bb.8:                                ;   in Loop: Header=BB134_5 Depth=1
	v_lshlrev_b64_e32 v[2:3], 3, v[2:3]
	s_delay_alu instid0(VALU_DEP_1) | instskip(SKIP_1) | instid1(VALU_DEP_2)
	v_add_co_u32 v2, vcc_lo, s12, v2
	s_wait_alu 0xfffd
	v_add_co_ci_u32_e64 v3, null, s13, v3, vcc_lo
	global_load_b64 v[38:39], v[2:3], off
.LBB134_9:                              ;   in Loop: Header=BB134_5 Depth=1
	s_wait_alu 0xfffe
	s_or_b32 exec_lo, exec_lo, s16
.LBB134_10:                             ;   in Loop: Header=BB134_5 Depth=1
	s_wait_alu 0xfffe
	s_or_b32 exec_lo, exec_lo, s3
	v_add_co_u32 v17, vcc_lo, 0xffffffc1, v77
	s_wait_alu 0xfffd
	v_add_co_ci_u32_e64 v18, null, -1, v78, vcc_lo
	v_mov_b32_e32 v16, v1
	v_dual_mov_b32 v2, v1 :: v_dual_mov_b32 v3, v1
	v_dual_mov_b32 v4, v1 :: v_dual_mov_b32 v5, v1
	v_dual_mov_b32 v6, v1 :: v_dual_mov_b32 v7, v1
	v_dual_mov_b32 v8, v1 :: v_dual_mov_b32 v9, v1
	v_dual_mov_b32 v10, v1 :: v_dual_mov_b32 v11, v1
	v_dual_mov_b32 v12, v1 :: v_dual_mov_b32 v13, v1
	v_dual_mov_b32 v14, v1 :: v_dual_mov_b32 v15, v1
	v_cmp_gt_i64_e32 vcc_lo, s[4:5], v[17:18]
	s_delay_alu instid0(VALU_DEP_3) | instskip(NEXT) | instid1(VALU_DEP_3)
	v_dual_mov_b32 v33, v16 :: v_dual_mov_b32 v30, v13
	v_dual_mov_b32 v31, v14 :: v_dual_mov_b32 v32, v15
	;; [unrolled: 1-line block ×8, first 2 shown]
	v_mov_b32_e32 v17, v16
	v_mov_b32_e32 v16, v15
	;; [unrolled: 1-line block ×16, first 2 shown]
	s_and_b32 s16, s2, vcc_lo
	s_wait_alu 0xfffe
	s_and_saveexec_b32 s3, s16
	s_cbranch_execz .LBB134_12
; %bb.11:                               ;   in Loop: Header=BB134_5 Depth=1
	v_add_co_u32 v2, vcc_lo, v45, v34
	s_wait_alu 0xfffd
	v_add_co_ci_u32_e64 v3, null, v46, v35, vcc_lo
	v_add_co_u32 v4, vcc_lo, v47, v34
	s_wait_alu 0xfffd
	v_add_co_ci_u32_e64 v5, null, v48, v35, vcc_lo
	global_load_b64 v[2:3], v[2:3], off
	global_load_b64 v[18:19], v[4:5], off
	v_dual_mov_b32 v4, v1 :: v_dual_mov_b32 v5, v1
	v_dual_mov_b32 v6, v1 :: v_dual_mov_b32 v7, v1
	;; [unrolled: 1-line block ×14, first 2 shown]
.LBB134_12:                             ;   in Loop: Header=BB134_5 Depth=1
	s_wait_alu 0xfffe
	s_or_b32 exec_lo, exec_lo, s3
	v_add_co_u32 v40, vcc_lo, 0xffffffc2, v77
	s_wait_alu 0xfffd
	v_add_co_ci_u32_e64 v41, null, -1, v78, vcc_lo
	s_delay_alu instid0(VALU_DEP_1)
	v_cmp_gt_i64_e32 vcc_lo, s[4:5], v[40:41]
	s_and_b32 s16, s2, vcc_lo
	s_wait_alu 0xfffe
	s_and_saveexec_b32 s3, s16
	s_cbranch_execz .LBB134_14
; %bb.13:                               ;   in Loop: Header=BB134_5 Depth=1
	v_add_co_u32 v4, vcc_lo, v73, v34
	s_wait_alu 0xfffd
	v_add_co_ci_u32_e64 v5, null, v74, v35, vcc_lo
	v_add_co_u32 v20, vcc_lo, v75, v34
	s_wait_alu 0xfffd
	v_add_co_ci_u32_e64 v21, null, v76, v35, vcc_lo
	global_load_b64 v[4:5], v[4:5], off
	global_load_b64 v[20:21], v[20:21], off
.LBB134_14:                             ;   in Loop: Header=BB134_5 Depth=1
	s_wait_alu 0xfffe
	s_or_b32 exec_lo, exec_lo, s3
	v_add_co_u32 v40, vcc_lo, 0xffffffc3, v77
	s_wait_alu 0xfffd
	v_add_co_ci_u32_e64 v41, null, -1, v78, vcc_lo
	s_delay_alu instid0(VALU_DEP_1)
	v_cmp_gt_i64_e32 vcc_lo, s[4:5], v[40:41]
	s_and_b32 s16, s2, vcc_lo
	s_wait_alu 0xfffe
	s_and_saveexec_b32 s3, s16
	s_cbranch_execz .LBB134_16
; %bb.15:                               ;   in Loop: Header=BB134_5 Depth=1
	v_add_co_u32 v6, vcc_lo, v69, v34
	s_wait_alu 0xfffd
	v_add_co_ci_u32_e64 v7, null, v70, v35, vcc_lo
	v_add_co_u32 v22, vcc_lo, v71, v34
	s_wait_alu 0xfffd
	v_add_co_ci_u32_e64 v23, null, v72, v35, vcc_lo
	global_load_b64 v[6:7], v[6:7], off
	global_load_b64 v[22:23], v[22:23], off
.LBB134_16:                             ;   in Loop: Header=BB134_5 Depth=1
	;; [unrolled: 21-line block ×7, first 2 shown]
	s_wait_alu 0xfffe
	s_or_b32 exec_lo, exec_lo, s3
	s_wait_loadcnt 0x0
	v_mul_f64_e32 v[2:3], v[18:19], v[2:3]
	ds_bpermute_b32 v18, v1, v38
	ds_bpermute_b32 v19, v1, v39
	v_mul_f64_e32 v[4:5], v[20:21], v[4:5]
	v_mul_f64_e32 v[6:7], v[22:23], v[6:7]
	;; [unrolled: 1-line block ×3, first 2 shown]
	s_mov_b32 s3, 0
	s_wait_dscnt 0x0
	v_fma_f64 v[2:3], v[2:3], v[18:19], v[36:37]
	ds_bpermute_b32 v18, v1, v38 offset:4
	ds_bpermute_b32 v19, v1, v39 offset:4
	s_wait_dscnt 0x0
	v_fma_f64 v[2:3], v[4:5], v[18:19], v[2:3]
	ds_bpermute_b32 v4, v1, v38 offset:8
	ds_bpermute_b32 v5, v1, v39 offset:8
	;; [unrolled: 4-line block ×3, first 2 shown]
	v_mul_f64_e32 v[6:7], v[26:27], v[10:11]
	s_wait_dscnt 0x0
	v_fma_f64 v[2:3], v[8:9], v[4:5], v[2:3]
	ds_bpermute_b32 v4, v1, v38 offset:16
	ds_bpermute_b32 v5, v1, v39 offset:16
	v_mul_f64_e32 v[8:9], v[28:29], v[12:13]
	s_wait_dscnt 0x0
	v_fma_f64 v[2:3], v[6:7], v[4:5], v[2:3]
	ds_bpermute_b32 v4, v1, v38 offset:20
	ds_bpermute_b32 v5, v1, v39 offset:20
	;; [unrolled: 1-line block ×4, first 2 shown]
	s_wait_dscnt 0x2
	v_fma_f64 v[2:3], v[8:9], v[4:5], v[2:3]
	v_mul_f64_e32 v[4:5], v[30:31], v[14:15]
	s_wait_dscnt 0x0
	s_delay_alu instid0(VALU_DEP_1)
	v_fma_f64 v[40:41], v[4:5], v[6:7], v[2:3]
	ds_bpermute_b32 v2, v1, v38 offset:28
	ds_bpermute_b32 v3, v1, v39 offset:28
.LBB134_27:                             ;   in Loop: Header=BB134_5 Depth=1
	s_wait_alu 0xfffe
	s_and_b32 vcc_lo, exec_lo, s3
	s_wait_alu 0xfffe
	s_cbranch_vccz .LBB134_4
; %bb.28:                               ;   in Loop: Header=BB134_5 Depth=1
	s_load_b32 s3, s[18:19], 0x0
	v_mov_b32_e32 v38, 0
	v_mov_b32_e32 v39, 0
	s_wait_kmcnt 0x0
	s_cmp_lt_u32 ttmp9, s3
	s_cselect_b32 s16, 12, 18
	s_wait_alu 0xfffe
	s_add_nc_u64 s[30:31], s[18:19], s[16:17]
	s_load_u16 s3, s[30:31], 0x0
	s_wait_dscnt 0x1
	s_wait_kmcnt 0x0
	v_mad_u32_u24 v2, v42, s3, v44
	s_mov_b32 s3, exec_lo
	s_delay_alu instid0(VALU_DEP_1) | instskip(NEXT) | instid1(VALU_DEP_1)
	v_and_b32_e32 v2, 31, v2
	v_cmpx_gt_u32_e32 8, v2
	s_cbranch_execz .LBB134_32
; %bb.29:                               ;   in Loop: Header=BB134_5 Depth=1
	v_add_co_u32 v2, vcc_lo, v77, v2
	s_wait_dscnt 0x0
	s_wait_alu 0xfffd
	v_add_co_ci_u32_e64 v3, null, 0, v78, vcc_lo
	v_mov_b32_e32 v38, 0
	v_add_co_u32 v2, vcc_lo, 0xffffffc1, v2
	s_wait_alu 0xfffd
	s_delay_alu instid0(VALU_DEP_3) | instskip(SKIP_2) | instid1(VALU_DEP_2)
	v_add_co_ci_u32_e64 v3, null, -1, v3, vcc_lo
	v_mov_b32_e32 v39, 0
	s_mov_b32 s16, exec_lo
	v_cmpx_gt_i64_e64 s[4:5], v[2:3]
	s_cbranch_execz .LBB134_31
; %bb.30:                               ;   in Loop: Header=BB134_5 Depth=1
	v_lshlrev_b64_e32 v[2:3], 3, v[2:3]
	s_delay_alu instid0(VALU_DEP_1) | instskip(SKIP_1) | instid1(VALU_DEP_2)
	v_add_co_u32 v2, vcc_lo, s12, v2
	s_wait_alu 0xfffd
	v_add_co_ci_u32_e64 v3, null, s13, v3, vcc_lo
	global_load_b64 v[38:39], v[2:3], off
.LBB134_31:                             ;   in Loop: Header=BB134_5 Depth=1
	s_wait_alu 0xfffe
	s_or_b32 exec_lo, exec_lo, s16
.LBB134_32:                             ;   in Loop: Header=BB134_5 Depth=1
	s_wait_alu 0xfffe
	s_or_b32 exec_lo, exec_lo, s3
	v_mov_b32_e32 v16, v1
	s_wait_dscnt 0x0
	v_dual_mov_b32 v2, v1 :: v_dual_mov_b32 v3, v1
	v_dual_mov_b32 v4, v1 :: v_dual_mov_b32 v5, v1
	;; [unrolled: 1-line block ×7, first 2 shown]
	v_mov_b32_e32 v33, v16
	s_delay_alu instid0(VALU_DEP_3) | instskip(NEXT) | instid1(VALU_DEP_3)
	v_dual_mov_b32 v29, v12 :: v_dual_mov_b32 v28, v11
	v_dual_mov_b32 v31, v14 :: v_dual_mov_b32 v30, v13
	s_delay_alu instid0(VALU_DEP_4)
	v_dual_mov_b32 v32, v15 :: v_dual_mov_b32 v27, v10
	v_dual_mov_b32 v26, v9 :: v_dual_mov_b32 v25, v8
	v_dual_mov_b32 v24, v7 :: v_dual_mov_b32 v23, v6
	v_dual_mov_b32 v22, v5 :: v_dual_mov_b32 v21, v4
	v_dual_mov_b32 v20, v3 :: v_dual_mov_b32 v19, v2
	v_dual_mov_b32 v18, v1 :: v_dual_mov_b32 v17, v16
	v_mov_b32_e32 v16, v15
	v_mov_b32_e32 v15, v14
	;; [unrolled: 1-line block ×15, first 2 shown]
	s_and_saveexec_b32 s3, s2
	s_cbranch_execnz .LBB134_40
; %bb.33:                               ;   in Loop: Header=BB134_5 Depth=1
	s_wait_alu 0xfffe
	s_or_b32 exec_lo, exec_lo, s3
	s_and_saveexec_b32 s3, s2
	s_cbranch_execnz .LBB134_41
.LBB134_34:                             ;   in Loop: Header=BB134_5 Depth=1
	s_wait_alu 0xfffe
	s_or_b32 exec_lo, exec_lo, s3
	s_and_saveexec_b32 s3, s2
	s_cbranch_execnz .LBB134_42
.LBB134_35:                             ;   in Loop: Header=BB134_5 Depth=1
	s_wait_alu 0xfffe
	s_or_b32 exec_lo, exec_lo, s3
	s_and_saveexec_b32 s3, s2
	s_cbranch_execnz .LBB134_43
.LBB134_36:                             ;   in Loop: Header=BB134_5 Depth=1
	s_wait_alu 0xfffe
	s_or_b32 exec_lo, exec_lo, s3
	s_and_saveexec_b32 s3, s2
	s_cbranch_execnz .LBB134_44
.LBB134_37:                             ;   in Loop: Header=BB134_5 Depth=1
	s_wait_alu 0xfffe
	s_or_b32 exec_lo, exec_lo, s3
	s_and_saveexec_b32 s3, s2
	s_cbranch_execnz .LBB134_45
.LBB134_38:                             ;   in Loop: Header=BB134_5 Depth=1
	s_wait_alu 0xfffe
	s_or_b32 exec_lo, exec_lo, s3
	s_and_saveexec_b32 s3, s2
	s_cbranch_execnz .LBB134_46
.LBB134_39:                             ;   in Loop: Header=BB134_5 Depth=1
	s_wait_alu 0xfffe
	s_or_b32 exec_lo, exec_lo, s3
	s_and_saveexec_b32 s3, s2
	s_cbranch_execz .LBB134_3
	s_branch .LBB134_47
.LBB134_40:                             ;   in Loop: Header=BB134_5 Depth=1
	v_add_co_u32 v2, vcc_lo, v45, v34
	s_wait_alu 0xfffd
	v_add_co_ci_u32_e64 v3, null, v46, v35, vcc_lo
	v_add_co_u32 v4, vcc_lo, v47, v34
	s_wait_alu 0xfffd
	v_add_co_ci_u32_e64 v5, null, v48, v35, vcc_lo
	global_load_b64 v[2:3], v[2:3], off
	global_load_b64 v[18:19], v[4:5], off
	v_dual_mov_b32 v4, v1 :: v_dual_mov_b32 v5, v1
	v_dual_mov_b32 v6, v1 :: v_dual_mov_b32 v7, v1
	;; [unrolled: 1-line block ×14, first 2 shown]
	s_wait_alu 0xfffe
	s_or_b32 exec_lo, exec_lo, s3
	s_and_saveexec_b32 s3, s2
	s_cbranch_execz .LBB134_34
.LBB134_41:                             ;   in Loop: Header=BB134_5 Depth=1
	v_add_co_u32 v4, vcc_lo, v73, v34
	s_wait_alu 0xfffd
	v_add_co_ci_u32_e64 v5, null, v74, v35, vcc_lo
	v_add_co_u32 v20, vcc_lo, v75, v34
	s_wait_alu 0xfffd
	v_add_co_ci_u32_e64 v21, null, v76, v35, vcc_lo
	global_load_b64 v[4:5], v[4:5], off
	global_load_b64 v[20:21], v[20:21], off
	s_wait_alu 0xfffe
	s_or_b32 exec_lo, exec_lo, s3
	s_and_saveexec_b32 s3, s2
	s_cbranch_execz .LBB134_35
.LBB134_42:                             ;   in Loop: Header=BB134_5 Depth=1
	v_add_co_u32 v6, vcc_lo, v69, v34
	s_wait_alu 0xfffd
	v_add_co_ci_u32_e64 v7, null, v70, v35, vcc_lo
	v_add_co_u32 v22, vcc_lo, v71, v34
	s_wait_alu 0xfffd
	v_add_co_ci_u32_e64 v23, null, v72, v35, vcc_lo
	global_load_b64 v[6:7], v[6:7], off
	global_load_b64 v[22:23], v[22:23], off
	s_wait_alu 0xfffe
	s_or_b32 exec_lo, exec_lo, s3
	s_and_saveexec_b32 s3, s2
	s_cbranch_execz .LBB134_36
.LBB134_43:                             ;   in Loop: Header=BB134_5 Depth=1
	v_add_co_u32 v8, vcc_lo, v65, v34
	s_wait_alu 0xfffd
	v_add_co_ci_u32_e64 v9, null, v66, v35, vcc_lo
	v_add_co_u32 v24, vcc_lo, v67, v34
	s_wait_alu 0xfffd
	v_add_co_ci_u32_e64 v25, null, v68, v35, vcc_lo
	global_load_b64 v[8:9], v[8:9], off
	global_load_b64 v[24:25], v[24:25], off
	s_wait_alu 0xfffe
	s_or_b32 exec_lo, exec_lo, s3
	s_and_saveexec_b32 s3, s2
	s_cbranch_execz .LBB134_37
.LBB134_44:                             ;   in Loop: Header=BB134_5 Depth=1
	v_add_co_u32 v10, vcc_lo, v61, v34
	s_wait_alu 0xfffd
	v_add_co_ci_u32_e64 v11, null, v62, v35, vcc_lo
	v_add_co_u32 v26, vcc_lo, v63, v34
	s_wait_alu 0xfffd
	v_add_co_ci_u32_e64 v27, null, v64, v35, vcc_lo
	global_load_b64 v[10:11], v[10:11], off
	global_load_b64 v[26:27], v[26:27], off
	s_wait_alu 0xfffe
	s_or_b32 exec_lo, exec_lo, s3
	s_and_saveexec_b32 s3, s2
	s_cbranch_execz .LBB134_38
.LBB134_45:                             ;   in Loop: Header=BB134_5 Depth=1
	v_add_co_u32 v12, vcc_lo, v57, v34
	s_wait_alu 0xfffd
	v_add_co_ci_u32_e64 v13, null, v58, v35, vcc_lo
	v_add_co_u32 v28, vcc_lo, v59, v34
	s_wait_alu 0xfffd
	v_add_co_ci_u32_e64 v29, null, v60, v35, vcc_lo
	global_load_b64 v[12:13], v[12:13], off
	global_load_b64 v[28:29], v[28:29], off
	s_wait_alu 0xfffe
	s_or_b32 exec_lo, exec_lo, s3
	s_and_saveexec_b32 s3, s2
	s_cbranch_execz .LBB134_39
.LBB134_46:                             ;   in Loop: Header=BB134_5 Depth=1
	v_add_co_u32 v14, vcc_lo, v53, v34
	s_wait_alu 0xfffd
	v_add_co_ci_u32_e64 v15, null, v54, v35, vcc_lo
	v_add_co_u32 v30, vcc_lo, v55, v34
	s_wait_alu 0xfffd
	v_add_co_ci_u32_e64 v31, null, v56, v35, vcc_lo
	global_load_b64 v[14:15], v[14:15], off
	global_load_b64 v[30:31], v[30:31], off
	s_wait_alu 0xfffe
	s_or_b32 exec_lo, exec_lo, s3
	s_and_saveexec_b32 s3, s2
	s_cbranch_execz .LBB134_3
.LBB134_47:                             ;   in Loop: Header=BB134_5 Depth=1
	v_add_co_u32 v16, vcc_lo, v49, v34
	s_wait_alu 0xfffd
	v_add_co_ci_u32_e64 v17, null, v50, v35, vcc_lo
	v_add_co_u32 v32, vcc_lo, v51, v34
	s_wait_alu 0xfffd
	v_add_co_ci_u32_e64 v33, null, v52, v35, vcc_lo
	global_load_b64 v[16:17], v[16:17], off
	global_load_b64 v[32:33], v[32:33], off
	s_branch .LBB134_3
.LBB134_48:
                                        ; implicit-def: $vgpr36_vgpr37
	s_branch .LBB134_50
.LBB134_49:
	s_cbranch_execnz .LBB134_82
.LBB134_50:
	v_mov_b32_e32 v36, 0
	v_mov_b32_e32 v37, 0
	s_and_not1_b32 vcc_lo, exec_lo, s29
	s_wait_alu 0xfffe
	s_cbranch_vccnz .LBB134_82
; %bb.51:
	v_bfe_u32 v68, v0, 10, 10
	v_dual_mov_b32 v1, 0 :: v_dual_and_b32 v70, 0x3ff, v0
	s_lshl_b64 s[18:19], s[14:15], 3
	s_mov_b32 s3, 0
	s_delay_alu instid0(VALU_DEP_2) | instskip(SKIP_2) | instid1(VALU_DEP_3)
	v_dual_mov_b32 v66, 0 :: v_dual_lshlrev_b32 v69, 3, v68
	v_dual_mov_b32 v67, 0 :: v_dual_lshlrev_b32 v8, 6, v68
	v_dual_mov_b32 v5, v1 :: v_dual_add_nc_u32 v4, s28, v70
	v_add_co_u32 v10, s2, v69, s14
	s_wait_alu 0xf1ff
	v_add_co_ci_u32_e64 v11, null, 0, 0, s2
	s_delay_alu instid0(VALU_DEP_3) | instskip(NEXT) | instid1(VALU_DEP_3)
	v_lshlrev_b64_e32 v[34:35], 3, v[4:5]
	v_mul_lo_u32 v6, s7, v10
	v_mad_co_u64_u32 v[2:3], null, s6, v10, 0
	s_delay_alu instid0(VALU_DEP_4) | instskip(SKIP_2) | instid1(VALU_DEP_1)
	v_mul_lo_u32 v7, s6, v11
	s_load_b32 s2, s[0:1], 0x44
	s_mov_b32 s17, s3
	v_add3_u32 v3, v3, v7, v6
	v_add_co_u32 v6, s16, v8, s18
	s_wait_alu 0xf1ff
	v_add_co_ci_u32_e64 v7, null, 0, s19, s16
	s_delay_alu instid0(VALU_DEP_3) | instskip(NEXT) | instid1(VALU_DEP_3)
	v_lshlrev_b64_e32 v[4:5], 3, v[2:3]
	v_add_co_u32 v8, vcc_lo, v6, 8
	s_wait_alu 0xfffd
	s_delay_alu instid0(VALU_DEP_3) | instskip(NEXT) | instid1(VALU_DEP_3)
	v_add_co_ci_u32_e64 v9, null, 0, v7, vcc_lo
	v_add_co_u32 v71, vcc_lo, s8, v4
	s_wait_alu 0xfffd
	v_add_co_ci_u32_e64 v72, null, s9, v5, vcc_lo
	v_add_co_u32 v73, vcc_lo, s10, v4
	s_wait_alu 0xfffd
	;; [unrolled: 3-line block ×5, first 2 shown]
	v_add_co_ci_u32_e64 v18, null, 0, v7, vcc_lo
	v_add_co_u32 v19, vcc_lo, v6, 40
	v_mad_co_u64_u32 v[40:41], null, s6, v4, s[8:9]
	v_mul_lo_u32 v5, s6, v5
	v_mul_lo_u32 v15, s7, v4
	v_mad_co_u64_u32 v[54:55], null, s6, v4, s[10:11]
	s_wait_alu 0xfffd
	v_add_co_ci_u32_e64 v20, null, 0, v7, vcc_lo
	v_add_co_u32 v22, vcc_lo, v6, 48
	s_wait_alu 0xfffd
	v_add_co_ci_u32_e64 v24, null, 0, v7, vcc_lo
	v_add_co_u32 v6, vcc_lo, v6, 56
	v_mad_co_u64_u32 v[38:39], null, s6, v8, s[8:9]
	v_mul_lo_u32 v9, s6, v9
	v_mul_lo_u32 v12, s7, v8
	v_mad_co_u64_u32 v[52:53], null, s6, v8, s[10:11]
	s_wait_alu 0xfffd
	v_add_co_ci_u32_e64 v7, null, 0, v7, vcc_lo
	v_add_co_u32 v4, vcc_lo, v10, 7
	v_add3_u32 v41, v15, v41, v5
	v_add3_u32 v55, v15, v55, v5
	s_wait_alu 0xfffd
	v_add_co_ci_u32_e64 v5, null, 0, v11, vcc_lo
	v_mul_lo_u32 v26, s6, v7
	v_add_co_u32 v7, vcc_lo, v10, 6
	v_add3_u32 v39, v12, v39, v9
	v_add3_u32 v53, v12, v53, v9
	s_wait_alu 0xfffd
	v_add_co_ci_u32_e64 v12, null, 0, v11, vcc_lo
	v_mul_lo_u32 v8, s7, v4
	v_mul_lo_u32 v9, s6, v5
	v_mad_co_u64_u32 v[4:5], null, s6, v4, 0
	v_mad_co_u64_u32 v[42:43], null, s6, v13, s[8:9]
	v_mul_lo_u32 v17, s7, v13
	v_mad_co_u64_u32 v[50:51], null, s6, v6, s[8:9]
	v_mul_lo_u32 v27, s7, v6
	v_mad_co_u64_u32 v[56:57], null, s6, v13, s[10:11]
	v_mad_co_u64_u32 v[64:65], null, s6, v6, s[10:11]
	v_mul_lo_u32 v13, s7, v7
	v_mul_lo_u32 v12, s6, v12
	v_mad_co_u64_u32 v[6:7], null, s6, v7, 0
	v_add3_u32 v5, v5, v9, v8
	v_add_co_u32 v8, vcc_lo, v10, 5
	s_wait_alu 0xfffd
	v_add_co_ci_u32_e64 v9, null, 0, v11, vcc_lo
	s_delay_alu instid0(VALU_DEP_3) | instskip(SKIP_2) | instid1(VALU_DEP_4)
	v_lshlrev_b64_e32 v[4:5], 3, v[4:5]
	v_add3_u32 v7, v7, v12, v13
	v_mul_lo_u32 v12, s7, v8
	v_mul_lo_u32 v13, s6, v9
	v_mad_co_u64_u32 v[8:9], null, s6, v8, 0
	s_delay_alu instid0(VALU_DEP_4)
	v_lshlrev_b64_e32 v[6:7], 3, v[6:7]
	v_add_co_u32 v75, vcc_lo, s8, v4
	s_wait_alu 0xfffd
	v_add_co_ci_u32_e64 v76, null, s9, v5, vcc_lo
	v_add_co_u32 v77, vcc_lo, s10, v4
	s_wait_alu 0xfffd
	v_add_co_ci_u32_e64 v78, null, s11, v5, vcc_lo
	v_add_co_u32 v79, vcc_lo, s8, v6
	v_mul_lo_u32 v14, s6, v14
	v_add3_u32 v9, v9, v13, v12
	s_wait_alu 0xfffd
	v_add_co_ci_u32_e64 v80, null, s9, v7, vcc_lo
	v_add_co_u32 v12, vcc_lo, v10, 4
	s_wait_kmcnt 0x0
	s_lshl_b32 s16, s2, 6
	v_add_co_u32 v81, s2, s10, v6
	s_wait_alu 0xfffd
	v_add_co_ci_u32_e64 v6, null, 0, v11, vcc_lo
	v_lshlrev_b64_e32 v[4:5], 3, v[8:9]
	v_add_co_u32 v8, vcc_lo, v10, 3
	s_wait_alu 0xfffd
	v_add_co_ci_u32_e64 v9, null, 0, v11, vcc_lo
	v_add3_u32 v43, v17, v43, v14
	v_add3_u32 v57, v17, v57, v14
	s_wait_alu 0xf1ff
	v_add_co_ci_u32_e64 v82, null, s11, v7, s2
	v_mul_lo_u32 v13, s7, v12
	v_mul_lo_u32 v14, s6, v6
	v_mad_co_u64_u32 v[6:7], null, s6, v12, 0
	v_mul_lo_u32 v12, s7, v8
	v_mul_lo_u32 v15, s6, v9
	v_mad_co_u64_u32 v[8:9], null, s6, v8, 0
	v_add_co_u32 v83, vcc_lo, s8, v4
	s_wait_alu 0xfffd
	v_add_co_ci_u32_e64 v84, null, s9, v5, vcc_lo
	v_add3_u32 v7, v7, v14, v13
	v_add_co_u32 v85, vcc_lo, s10, v4
	s_wait_alu 0xfffd
	v_add_co_ci_u32_e64 v86, null, s11, v5, vcc_lo
	v_add_co_u32 v10, vcc_lo, v10, 2
	v_add3_u32 v9, v9, v15, v12
	s_wait_alu 0xfffd
	v_add_co_ci_u32_e64 v11, null, 0, v11, vcc_lo
	v_lshlrev_b64_e32 v[4:5], 3, v[6:7]
	v_mul_lo_u32 v12, s7, v10
	v_lshlrev_b64_e32 v[6:7], 3, v[8:9]
	s_delay_alu instid0(VALU_DEP_4)
	v_mul_lo_u32 v11, s6, v11
	v_mad_co_u64_u32 v[8:9], null, s6, v10, 0
	v_add_co_u32 v87, vcc_lo, s8, v4
	s_wait_alu 0xfffd
	v_add_co_ci_u32_e64 v88, null, s9, v5, vcc_lo
	v_add_co_u32 v89, vcc_lo, s10, v4
	s_wait_alu 0xfffd
	v_add_co_ci_u32_e64 v90, null, s11, v5, vcc_lo
	;; [unrolled: 3-line block ×3, first 2 shown]
	v_add3_u32 v9, v9, v11, v12
	v_add_co_u32 v93, vcc_lo, s10, v6
	s_wait_alu 0xfffd
	v_add_co_ci_u32_e64 v94, null, s11, v7, vcc_lo
	v_add_co_u32 v2, vcc_lo, v2, s6
	s_wait_alu 0xfffd
	v_add_co_ci_u32_e64 v3, null, s7, v3, vcc_lo
	v_lshlrev_b64_e32 v[4:5], 3, v[8:9]
	v_mad_co_u64_u32 v[44:45], null, s6, v16, s[8:9]
	s_delay_alu instid0(VALU_DEP_3)
	v_lshlrev_b64_e32 v[2:3], 3, v[2:3]
	v_mul_lo_u32 v18, s6, v18
	v_mul_lo_u32 v21, s7, v16
	v_mad_co_u64_u32 v[46:47], null, s6, v19, s[8:9]
	v_mul_lo_u32 v20, s6, v20
	v_mul_lo_u32 v23, s7, v19
	v_mad_co_u64_u32 v[48:49], null, s6, v22, s[8:9]
	;; [unrolled: 3-line block ×3, first 2 shown]
	v_mad_co_u64_u32 v[60:61], null, s6, v19, s[10:11]
	v_mad_co_u64_u32 v[62:63], null, s6, v22, s[10:11]
	v_add_co_u32 v95, vcc_lo, s8, v4
	s_wait_alu 0xfffd
	v_add_co_ci_u32_e64 v96, null, s9, v5, vcc_lo
	v_add_co_u32 v97, vcc_lo, s10, v4
	s_wait_alu 0xfffd
	v_add_co_ci_u32_e64 v98, null, s11, v5, vcc_lo
	;; [unrolled: 3-line block ×3, first 2 shown]
	v_add_co_u32 v101, vcc_lo, s10, v2
	v_add3_u32 v45, v21, v45, v18
	v_add3_u32 v47, v23, v47, v20
	;; [unrolled: 1-line block ×8, first 2 shown]
	s_wait_alu 0xfffd
	v_add_co_ci_u32_e64 v102, null, s11, v3, vcc_lo
	s_wait_alu 0xfffe
	s_mul_u64 s[18:19], s[6:7], s[16:17]
	s_add_nc_u64 s[8:9], s[0:1], 64
	s_wait_alu 0xfffe
	s_lshl_b64 s[10:11], s[18:19], 3
	s_add_nc_u64 s[18:19], s[14:15], 63
.LBB134_52:                             ; =>This Inner Loop Header: Depth=1
	s_wait_alu 0xfffe
	v_cmp_ge_i64_e64 s2, s[18:19], s[4:5]
	v_add_co_u32 v103, s20, v69, s18
	s_wait_alu 0xf1ff
	v_add_co_ci_u32_e64 v104, null, 0, s19, s20
                                        ; implicit-def: $vgpr36_vgpr37
	s_and_b32 vcc_lo, exec_lo, s2
	s_mov_b32 s2, -1
	s_wait_alu 0xfffe
	s_cbranch_vccz .LBB134_74
; %bb.53:                               ;   in Loop: Header=BB134_52 Depth=1
	s_load_b32 s2, s[8:9], 0xc
	v_mov_b32_e32 v36, 0
	v_mov_b32_e32 v37, 0
	s_wait_kmcnt 0x0
	s_and_b32 s2, s2, 0xffff
	s_wait_alu 0xfffe
	v_mad_u32_u24 v2, v68, s2, v70
	s_mov_b32 s2, exec_lo
	s_delay_alu instid0(VALU_DEP_1) | instskip(NEXT) | instid1(VALU_DEP_1)
	v_and_b32_e32 v2, 31, v2
	v_cmpx_gt_u32_e32 8, v2
	s_cbranch_execz .LBB134_57
; %bb.54:                               ;   in Loop: Header=BB134_52 Depth=1
	v_add_co_u32 v2, vcc_lo, v103, v2
	s_wait_alu 0xfffd
	v_add_co_ci_u32_e64 v3, null, 0, v104, vcc_lo
	v_mov_b32_e32 v36, 0
	s_delay_alu instid0(VALU_DEP_3) | instskip(SKIP_1) | instid1(VALU_DEP_3)
	v_add_co_u32 v2, vcc_lo, 0xffffffc1, v2
	s_wait_alu 0xfffd
	v_add_co_ci_u32_e64 v3, null, -1, v3, vcc_lo
	v_mov_b32_e32 v37, 0
	s_mov_b32 s20, exec_lo
	s_delay_alu instid0(VALU_DEP_2)
	v_cmpx_gt_i64_e64 s[4:5], v[2:3]
	s_cbranch_execz .LBB134_56
; %bb.55:                               ;   in Loop: Header=BB134_52 Depth=1
	v_lshlrev_b64_e32 v[2:3], 3, v[2:3]
	s_delay_alu instid0(VALU_DEP_1) | instskip(SKIP_1) | instid1(VALU_DEP_2)
	v_add_co_u32 v2, vcc_lo, s12, v2
	s_wait_alu 0xfffd
	v_add_co_ci_u32_e64 v3, null, s13, v3, vcc_lo
	global_load_b64 v[36:37], v[2:3], off
.LBB134_56:                             ;   in Loop: Header=BB134_52 Depth=1
	s_wait_alu 0xfffe
	s_or_b32 exec_lo, exec_lo, s20
.LBB134_57:                             ;   in Loop: Header=BB134_52 Depth=1
	s_wait_alu 0xfffe
	s_or_b32 exec_lo, exec_lo, s2
	v_add_co_u32 v17, vcc_lo, 0xffffffc1, v103
	s_wait_alu 0xfffd
	v_add_co_ci_u32_e64 v18, null, -1, v104, vcc_lo
	v_mov_b32_e32 v16, v1
	v_dual_mov_b32 v2, v1 :: v_dual_mov_b32 v3, v1
	v_dual_mov_b32 v4, v1 :: v_dual_mov_b32 v5, v1
	v_dual_mov_b32 v6, v1 :: v_dual_mov_b32 v7, v1
	v_dual_mov_b32 v8, v1 :: v_dual_mov_b32 v9, v1
	v_dual_mov_b32 v10, v1 :: v_dual_mov_b32 v11, v1
	v_dual_mov_b32 v12, v1 :: v_dual_mov_b32 v13, v1
	v_dual_mov_b32 v14, v1 :: v_dual_mov_b32 v15, v1
	v_cmp_gt_i64_e32 vcc_lo, s[4:5], v[17:18]
	s_delay_alu instid0(VALU_DEP_3) | instskip(NEXT) | instid1(VALU_DEP_3)
	v_dual_mov_b32 v33, v16 :: v_dual_mov_b32 v30, v13
	v_dual_mov_b32 v31, v14 :: v_dual_mov_b32 v32, v15
	;; [unrolled: 1-line block ×8, first 2 shown]
	v_mov_b32_e32 v17, v16
	v_mov_b32_e32 v16, v15
	;; [unrolled: 1-line block ×16, first 2 shown]
	s_and_saveexec_b32 s2, vcc_lo
	s_cbranch_execz .LBB134_59
; %bb.58:                               ;   in Loop: Header=BB134_52 Depth=1
	v_add_co_u32 v2, vcc_lo, v71, v34
	s_wait_alu 0xfffd
	v_add_co_ci_u32_e64 v3, null, v72, v35, vcc_lo
	v_add_co_u32 v4, vcc_lo, v73, v34
	s_wait_alu 0xfffd
	v_add_co_ci_u32_e64 v5, null, v74, v35, vcc_lo
	global_load_b64 v[2:3], v[2:3], off
	global_load_b64 v[18:19], v[4:5], off
	v_dual_mov_b32 v4, v1 :: v_dual_mov_b32 v5, v1
	v_dual_mov_b32 v6, v1 :: v_dual_mov_b32 v7, v1
	;; [unrolled: 1-line block ×14, first 2 shown]
.LBB134_59:                             ;   in Loop: Header=BB134_52 Depth=1
	s_wait_alu 0xfffe
	s_or_b32 exec_lo, exec_lo, s2
	v_add_co_u32 v105, vcc_lo, 0xffffffc2, v103
	s_wait_alu 0xfffd
	v_add_co_ci_u32_e64 v106, null, -1, v104, vcc_lo
	s_mov_b32 s2, exec_lo
	v_cmpx_gt_i64_e64 s[4:5], v[105:106]
	s_cbranch_execz .LBB134_61
; %bb.60:                               ;   in Loop: Header=BB134_52 Depth=1
	v_add_co_u32 v4, vcc_lo, v99, v34
	s_wait_alu 0xfffd
	v_add_co_ci_u32_e64 v5, null, v100, v35, vcc_lo
	v_add_co_u32 v20, vcc_lo, v101, v34
	s_wait_alu 0xfffd
	v_add_co_ci_u32_e64 v21, null, v102, v35, vcc_lo
	global_load_b64 v[4:5], v[4:5], off
	global_load_b64 v[20:21], v[20:21], off
.LBB134_61:                             ;   in Loop: Header=BB134_52 Depth=1
	s_wait_alu 0xfffe
	s_or_b32 exec_lo, exec_lo, s2
	v_add_co_u32 v105, vcc_lo, 0xffffffc3, v103
	s_wait_alu 0xfffd
	v_add_co_ci_u32_e64 v106, null, -1, v104, vcc_lo
	s_mov_b32 s2, exec_lo
	v_cmpx_gt_i64_e64 s[4:5], v[105:106]
	s_cbranch_execz .LBB134_63
; %bb.62:                               ;   in Loop: Header=BB134_52 Depth=1
	v_add_co_u32 v6, vcc_lo, v95, v34
	s_wait_alu 0xfffd
	v_add_co_ci_u32_e64 v7, null, v96, v35, vcc_lo
	v_add_co_u32 v22, vcc_lo, v97, v34
	s_wait_alu 0xfffd
	v_add_co_ci_u32_e64 v23, null, v98, v35, vcc_lo
	global_load_b64 v[6:7], v[6:7], off
	global_load_b64 v[22:23], v[22:23], off
.LBB134_63:                             ;   in Loop: Header=BB134_52 Depth=1
	;; [unrolled: 18-line block ×7, first 2 shown]
	s_wait_alu 0xfffe
	s_or_b32 exec_lo, exec_lo, s2
	s_wait_loadcnt 0x0
	v_mul_f64_e32 v[2:3], v[18:19], v[2:3]
	ds_bpermute_b32 v18, v1, v36
	ds_bpermute_b32 v19, v1, v37
	v_mul_f64_e32 v[4:5], v[20:21], v[4:5]
	v_mul_f64_e32 v[6:7], v[22:23], v[6:7]
	;; [unrolled: 1-line block ×3, first 2 shown]
	s_mov_b32 s2, 0
	s_wait_dscnt 0x0
	v_fma_f64 v[2:3], v[2:3], v[18:19], v[66:67]
	ds_bpermute_b32 v18, v1, v36 offset:4
	ds_bpermute_b32 v19, v1, v37 offset:4
	s_wait_dscnt 0x0
	v_fma_f64 v[2:3], v[4:5], v[18:19], v[2:3]
	ds_bpermute_b32 v4, v1, v36 offset:8
	ds_bpermute_b32 v5, v1, v37 offset:8
	;; [unrolled: 4-line block ×3, first 2 shown]
	v_mul_f64_e32 v[6:7], v[26:27], v[10:11]
	s_wait_dscnt 0x0
	v_fma_f64 v[2:3], v[8:9], v[4:5], v[2:3]
	ds_bpermute_b32 v4, v1, v36 offset:16
	ds_bpermute_b32 v5, v1, v37 offset:16
	v_mul_f64_e32 v[8:9], v[28:29], v[12:13]
	s_wait_dscnt 0x0
	v_fma_f64 v[2:3], v[6:7], v[4:5], v[2:3]
	ds_bpermute_b32 v4, v1, v36 offset:20
	ds_bpermute_b32 v5, v1, v37 offset:20
	;; [unrolled: 5-line block ×3, first 2 shown]
	s_wait_dscnt 0x0
	v_fma_f64 v[2:3], v[6:7], v[4:5], v[2:3]
	v_mul_f64_e32 v[4:5], v[32:33], v[16:17]
	ds_bpermute_b32 v6, v1, v36 offset:28
	ds_bpermute_b32 v7, v1, v37 offset:28
	s_wait_dscnt 0x0
	v_fma_f64 v[36:37], v[4:5], v[6:7], v[2:3]
.LBB134_74:                             ;   in Loop: Header=BB134_52 Depth=1
	s_wait_alu 0xfffe
	s_and_b32 vcc_lo, exec_lo, s2
	s_wait_alu 0xfffe
	s_cbranch_vccz .LBB134_80
; %bb.75:                               ;   in Loop: Header=BB134_52 Depth=1
	s_load_b32 s2, s[8:9], 0x0
	s_wait_kmcnt 0x0
	s_cmp_lt_u32 ttmp9, s2
	s_cselect_b32 s2, 12, 18
	s_wait_alu 0xfffe
	s_add_nc_u64 s[20:21], s[8:9], s[2:3]
	s_load_u16 s2, s[20:21], 0x0
	s_wait_kmcnt 0x0
	v_mad_u32_u24 v2, v68, s2, v70
	s_mov_b32 s2, exec_lo
	s_delay_alu instid0(VALU_DEP_1) | instskip(SKIP_2) | instid1(VALU_DEP_3)
	v_and_b32_e32 v4, 31, v2
	v_mov_b32_e32 v2, 0
	v_mov_b32_e32 v3, 0
	v_cmpx_gt_u32_e32 8, v4
	s_cbranch_execz .LBB134_79
; %bb.76:                               ;   in Loop: Header=BB134_52 Depth=1
	v_add_co_u32 v2, vcc_lo, v103, v4
	s_wait_alu 0xfffd
	v_add_co_ci_u32_e64 v3, null, 0, v104, vcc_lo
	s_mov_b32 s20, exec_lo
	v_add_co_u32 v4, vcc_lo, 0xffffffc1, v2
	s_wait_alu 0xfffd
	v_add_co_ci_u32_e64 v5, null, -1, v3, vcc_lo
	v_mov_b32_e32 v2, 0
	v_mov_b32_e32 v3, 0
	s_delay_alu instid0(VALU_DEP_3)
	v_cmpx_gt_i64_e64 s[4:5], v[4:5]
	s_cbranch_execz .LBB134_78
; %bb.77:                               ;   in Loop: Header=BB134_52 Depth=1
	v_lshlrev_b64_e32 v[2:3], 3, v[4:5]
	s_delay_alu instid0(VALU_DEP_1) | instskip(SKIP_1) | instid1(VALU_DEP_2)
	v_add_co_u32 v2, vcc_lo, s12, v2
	s_wait_alu 0xfffd
	v_add_co_ci_u32_e64 v3, null, s13, v3, vcc_lo
	global_load_b64 v[2:3], v[2:3], off
.LBB134_78:                             ;   in Loop: Header=BB134_52 Depth=1
	s_wait_alu 0xfffe
	s_or_b32 exec_lo, exec_lo, s20
.LBB134_79:                             ;   in Loop: Header=BB134_52 Depth=1
	s_wait_alu 0xfffe
	s_or_b32 exec_lo, exec_lo, s2
	v_add_co_u32 v4, vcc_lo, v71, v34
	s_wait_alu 0xfffd
	v_add_co_ci_u32_e64 v5, null, v72, v35, vcc_lo
	v_add_co_u32 v6, vcc_lo, v73, v34
	s_wait_alu 0xfffd
	v_add_co_ci_u32_e64 v7, null, v74, v35, vcc_lo
	global_load_b64 v[4:5], v[4:5], off
	global_load_b64 v[6:7], v[6:7], off
	v_add_co_u32 v8, vcc_lo, v38, v34
	s_wait_alu 0xfffd
	v_add_co_ci_u32_e64 v9, null, v39, v35, vcc_lo
	v_add_co_u32 v10, vcc_lo, v52, v34
	s_wait_alu 0xfffd
	v_add_co_ci_u32_e64 v11, null, v53, v35, vcc_lo
	global_load_b64 v[8:9], v[8:9], off
	global_load_b64 v[10:11], v[10:11], off
	;; [unrolled: 8-line block ×8, first 2 shown]
	s_wait_loadcnt 0xe
	v_mul_f64_e32 v[4:5], v[4:5], v[6:7]
	ds_bpermute_b32 v6, v1, v2
	ds_bpermute_b32 v7, v1, v3
	s_wait_loadcnt 0xc
	v_mul_f64_e32 v[8:9], v[8:9], v[10:11]
	s_wait_loadcnt 0xa
	v_mul_f64_e32 v[10:11], v[12:13], v[14:15]
	s_wait_dscnt 0x0
	v_fma_f64 v[4:5], v[4:5], v[6:7], v[66:67]
	ds_bpermute_b32 v6, v1, v2 offset:4
	ds_bpermute_b32 v7, v1, v3 offset:4
	s_wait_dscnt 0x0
	v_fma_f64 v[4:5], v[8:9], v[6:7], v[4:5]
	ds_bpermute_b32 v6, v1, v2 offset:8
	ds_bpermute_b32 v7, v1, v3 offset:8
	s_wait_loadcnt 0x8
	v_mul_f64_e32 v[8:9], v[16:17], v[18:19]
	s_wait_dscnt 0x0
	v_fma_f64 v[4:5], v[10:11], v[6:7], v[4:5]
	ds_bpermute_b32 v6, v1, v2 offset:12
	ds_bpermute_b32 v7, v1, v3 offset:12
	s_wait_loadcnt 0x6
	v_mul_f64_e32 v[10:11], v[20:21], v[22:23]
	;; [unrolled: 6-line block ×4, first 2 shown]
	s_wait_dscnt 0x0
	v_fma_f64 v[4:5], v[8:9], v[6:7], v[4:5]
	ds_bpermute_b32 v6, v1, v2 offset:24
	ds_bpermute_b32 v7, v1, v3 offset:24
	;; [unrolled: 1-line block ×4, first 2 shown]
	s_wait_dscnt 0x2
	v_fma_f64 v[4:5], v[10:11], v[6:7], v[4:5]
	s_wait_loadcnt 0x0
	v_mul_f64_e32 v[6:7], v[32:33], v[36:37]
	s_wait_dscnt 0x0
	s_delay_alu instid0(VALU_DEP_1)
	v_fma_f64 v[36:37], v[6:7], v[2:3], v[4:5]
.LBB134_80:                             ;   in Loop: Header=BB134_52 Depth=1
	v_add_co_u32 v71, vcc_lo, v71, s10
	s_wait_alu 0xfffd
	v_add_co_ci_u32_e64 v72, null, s11, v72, vcc_lo
	v_add_co_u32 v73, vcc_lo, v73, s10
	s_wait_alu 0xfffd
	v_add_co_ci_u32_e64 v74, null, s11, v74, vcc_lo
	;; [unrolled: 3-line block ×27, first 2 shown]
	v_add_co_u32 v97, vcc_lo, v97, s10
	s_add_nc_u64 s[14:15], s[14:15], s[16:17]
	s_wait_alu 0xfffd
	v_add_co_ci_u32_e64 v98, null, s11, v98, vcc_lo
	v_add_co_u32 v99, vcc_lo, v99, s10
	s_wait_alu 0xfffe
	v_cmp_ge_i64_e64 s2, s[14:15], s[4:5]
	s_wait_alu 0xfffd
	v_add_co_ci_u32_e64 v100, null, s11, v100, vcc_lo
	v_add_co_u32 v101, vcc_lo, v101, s10
	s_wait_alu 0xfffd
	v_add_co_ci_u32_e64 v102, null, s11, v102, vcc_lo
	s_and_b32 vcc_lo, exec_lo, s2
	s_add_nc_u64 s[18:19], s[18:19], s[16:17]
	s_wait_alu 0xfffe
	s_cbranch_vccnz .LBB134_82
; %bb.81:                               ;   in Loop: Header=BB134_52 Depth=1
	v_dual_mov_b32 v67, v37 :: v_dual_mov_b32 v66, v36
	s_branch .LBB134_52
.LBB134_82:
	v_and_b32_e32 v9, 0x3ff, v0
	v_bfe_u32 v1, v0, 10, 10
	v_bfe_u32 v2, v0, 5, 5
	v_mov_b32_e32 v0, 0
	s_mov_b32 s2, exec_lo
	s_delay_alu instid0(VALU_DEP_3) | instskip(NEXT) | instid1(VALU_DEP_2)
	v_mad_u32_u24 v3, v1, 33, v9
	v_dual_mov_b32 v1, v0 :: v_dual_add_nc_u32 v4, v2, v1
	s_delay_alu instid0(VALU_DEP_2)
	v_lshl_add_u32 v2, v3, 3, 0
	ds_store_b64 v2, v[36:37]
	ds_store_b64 v2, v[0:1] offset:2112
	s_wait_dscnt 0x0
	s_barrier_signal -1
	s_barrier_wait -1
	global_inv scope:SCOPE_SE
	v_cmpx_gt_u32_e32 32, v4
	s_cbranch_execz .LBB134_102
; %bb.83:
	s_load_b64 s[2:3], s[0:1], 0x30
	v_and_b32_e32 v0, 31, v9
	s_delay_alu instid0(VALU_DEP_1)
	v_cmp_gt_u32_e32 vcc_lo, 8, v0
	v_mul_u32_u24_e32 v5, 33, v0
                                        ; implicit-def: $vgpr0_vgpr1
	s_and_saveexec_b32 s0, vcc_lo
	s_cbranch_execz .LBB134_85
; %bb.84:
	v_lshlrev_b32_e32 v0, 3, v4
	s_delay_alu instid0(VALU_DEP_2) | instskip(NEXT) | instid1(VALU_DEP_1)
	v_lshlrev_b32_e32 v1, 3, v5
	v_add3_u32 v0, 0, v0, v1
	ds_load_b64 v[0:1], v0
.LBB134_85:
	s_or_b32 exec_lo, exec_lo, s0
	v_mbcnt_lo_u32_b32 v8, -1, 0
	s_mov_b32 s4, ttmp9
	s_mov_b32 s5, 0
	s_wait_alu 0xfffe
	s_lshl_b64 s[4:5], s[4:5], 5
	v_xor_b32_e32 v2, 4, v8
	s_wait_kmcnt 0x0
	s_cmp_eq_u64 s[2:3], 0
	s_cselect_b32 s8, -1, 0
	s_delay_alu instid0(VALU_DEP_1) | instskip(NEXT) | instid1(VALU_DEP_1)
	v_cmp_gt_i32_e64 s0, 32, v2
	v_cndmask_b32_e64 v2, v8, v2, s0
	s_delay_alu instid0(VALU_DEP_1)
	v_lshlrev_b32_e32 v6, 2, v2
	s_wait_dscnt 0x0
	ds_bpermute_b32 v2, v6, v0
	ds_bpermute_b32 v3, v6, v1
	s_wait_dscnt 0x0
	v_add_f64_e32 v[0:1], v[0:1], v[2:3]
	v_xor_b32_e32 v2, 2, v8
	s_delay_alu instid0(VALU_DEP_1) | instskip(SKIP_1) | instid1(VALU_DEP_1)
	v_cmp_gt_i32_e64 s0, 32, v2
	s_wait_alu 0xf1ff
	v_cndmask_b32_e64 v2, v8, v2, s0
	s_delay_alu instid0(VALU_DEP_1)
	v_lshlrev_b32_e32 v7, 2, v2
	ds_bpermute_b32 v2, v7, v0
	ds_bpermute_b32 v3, v7, v1
	s_wait_dscnt 0x0
	v_add_f64_e32 v[0:1], v[0:1], v[2:3]
	v_xor_b32_e32 v2, 1, v8
	s_delay_alu instid0(VALU_DEP_1) | instskip(SKIP_1) | instid1(VALU_DEP_1)
	v_cmp_gt_i32_e64 s0, 32, v2
	s_wait_alu 0xf1ff
	v_cndmask_b32_e64 v2, v8, v2, s0
	v_cmp_ne_u32_e64 s0, 0, v9
	s_delay_alu instid0(VALU_DEP_2)
	v_lshlrev_b32_e32 v8, 2, v2
	ds_bpermute_b32 v2, v8, v0
	ds_bpermute_b32 v3, v8, v1
	s_wait_dscnt 0x0
	v_add_f64_e32 v[0:1], v[0:1], v[2:3]
	s_wait_alu 0xfffe
	v_or_b32_e32 v2, s4, v4
	v_mov_b32_e32 v3, s5
	s_delay_alu instid0(VALU_DEP_1)
	v_cmp_le_i64_e64 s1, s[6:7], v[2:3]
	s_or_b32 s1, s0, s1
	s_wait_alu 0xfffe
	s_nor_b32 s1, s8, s1
	s_wait_alu 0xfffe
	s_and_saveexec_b32 s9, s1
	s_cbranch_execz .LBB134_87
; %bb.86:
	v_lshlrev_b64_e32 v[2:3], 3, v[2:3]
	s_delay_alu instid0(VALU_DEP_1) | instskip(SKIP_1) | instid1(VALU_DEP_2)
	v_add_co_u32 v2, s1, s2, v2
	s_wait_alu 0xf1ff
	v_add_co_ci_u32_e64 v3, null, s3, v3, s1
	global_store_b64 v[2:3], v[0:1], off
.LBB134_87:
	s_wait_alu 0xfffe
	s_or_b32 exec_lo, exec_lo, s9
	v_cmp_gt_u32_e64 s1, 24, v4
	s_and_b32 exec_lo, exec_lo, s1
	s_cbranch_execz .LBB134_102
; %bb.88:
	s_and_saveexec_b32 s1, vcc_lo
	s_cbranch_execz .LBB134_90
; %bb.89:
	v_lshlrev_b32_e32 v0, 3, v4
	v_lshlrev_b32_e32 v1, 3, v5
	s_delay_alu instid0(VALU_DEP_1)
	v_add3_u32 v0, 0, v0, v1
	ds_load_b64 v[0:1], v0 offset:64
.LBB134_90:
	s_wait_alu 0xfffe
	s_or_b32 exec_lo, exec_lo, s1
	s_wait_dscnt 0x0
	ds_bpermute_b32 v2, v6, v0
	ds_bpermute_b32 v3, v6, v1
	s_wait_dscnt 0x0
	v_add_f64_e32 v[0:1], v[0:1], v[2:3]
	ds_bpermute_b32 v2, v7, v0
	ds_bpermute_b32 v3, v7, v1
	s_wait_dscnt 0x0
	v_add_f64_e32 v[0:1], v[0:1], v[2:3]
	;; [unrolled: 4-line block ×3, first 2 shown]
	v_add_nc_u32_e32 v2, 8, v4
	s_delay_alu instid0(VALU_DEP_1) | instskip(SKIP_2) | instid1(VALU_DEP_1)
	v_add_co_u32 v2, s1, s4, v2
	s_wait_alu 0xf1ff
	v_add_co_ci_u32_e64 v3, null, s5, 0, s1
	v_cmp_le_i64_e64 s1, s[6:7], v[2:3]
	s_or_b32 s1, s0, s1
	s_wait_alu 0xfffe
	s_nor_b32 s1, s8, s1
	s_wait_alu 0xfffe
	s_and_saveexec_b32 s9, s1
	s_cbranch_execz .LBB134_92
; %bb.91:
	v_add_co_u32 v2, s1, s4, v4
	s_wait_alu 0xf1ff
	v_add_co_ci_u32_e64 v3, null, s5, 0, s1
	s_delay_alu instid0(VALU_DEP_1) | instskip(NEXT) | instid1(VALU_DEP_1)
	v_lshlrev_b64_e32 v[2:3], 3, v[2:3]
	v_add_co_u32 v2, s1, s2, v2
	s_wait_alu 0xf1ff
	s_delay_alu instid0(VALU_DEP_2)
	v_add_co_ci_u32_e64 v3, null, s3, v3, s1
	global_store_b64 v[2:3], v[0:1], off offset:64
.LBB134_92:
	s_wait_alu 0xfffe
	s_or_b32 exec_lo, exec_lo, s9
	v_cmp_gt_u32_e64 s1, 16, v4
	s_and_b32 exec_lo, exec_lo, s1
	s_cbranch_execz .LBB134_102
; %bb.93:
	s_and_saveexec_b32 s1, vcc_lo
	s_cbranch_execz .LBB134_95
; %bb.94:
	v_lshlrev_b32_e32 v0, 3, v4
	v_lshlrev_b32_e32 v1, 3, v5
	s_delay_alu instid0(VALU_DEP_1)
	v_add3_u32 v0, 0, v0, v1
	ds_load_b64 v[0:1], v0 offset:128
.LBB134_95:
	s_wait_alu 0xfffe
	s_or_b32 exec_lo, exec_lo, s1
	s_wait_dscnt 0x0
	ds_bpermute_b32 v2, v6, v0
	ds_bpermute_b32 v3, v6, v1
	s_wait_dscnt 0x0
	v_add_f64_e32 v[0:1], v[0:1], v[2:3]
	ds_bpermute_b32 v2, v7, v0
	ds_bpermute_b32 v3, v7, v1
	s_wait_dscnt 0x0
	v_add_f64_e32 v[0:1], v[0:1], v[2:3]
	;; [unrolled: 4-line block ×3, first 2 shown]
	v_dual_mov_b32 v3, s5 :: v_dual_add_nc_u32 v2, 16, v4
	s_delay_alu instid0(VALU_DEP_1) | instskip(NEXT) | instid1(VALU_DEP_1)
	v_or_b32_e32 v2, s4, v2
	v_cmp_le_i64_e64 s1, s[6:7], v[2:3]
	s_or_b32 s1, s0, s1
	s_wait_alu 0xfffe
	s_nor_b32 s1, s8, s1
	s_wait_alu 0xfffe
	s_and_saveexec_b32 s9, s1
	s_cbranch_execz .LBB134_97
; %bb.96:
	v_add_co_u32 v2, s1, s4, v4
	s_wait_alu 0xf1ff
	v_add_co_ci_u32_e64 v3, null, s5, 0, s1
	s_delay_alu instid0(VALU_DEP_1) | instskip(NEXT) | instid1(VALU_DEP_1)
	v_lshlrev_b64_e32 v[2:3], 3, v[2:3]
	v_add_co_u32 v2, s1, s2, v2
	s_wait_alu 0xf1ff
	s_delay_alu instid0(VALU_DEP_2)
	v_add_co_ci_u32_e64 v3, null, s3, v3, s1
	global_store_b64 v[2:3], v[0:1], off offset:128
.LBB134_97:
	s_wait_alu 0xfffe
	s_or_b32 exec_lo, exec_lo, s9
	v_cmp_gt_u32_e64 s1, 8, v4
	s_and_b32 exec_lo, exec_lo, s1
	s_cbranch_execz .LBB134_102
; %bb.98:
	s_and_saveexec_b32 s1, vcc_lo
	s_cbranch_execz .LBB134_100
; %bb.99:
	v_lshlrev_b32_e32 v0, 3, v4
	v_lshlrev_b32_e32 v1, 3, v5
	s_delay_alu instid0(VALU_DEP_1)
	v_add3_u32 v0, 0, v0, v1
	ds_load_b64 v[0:1], v0 offset:192
.LBB134_100:
	s_wait_alu 0xfffe
	s_or_b32 exec_lo, exec_lo, s1
	s_wait_dscnt 0x0
	ds_bpermute_b32 v2, v6, v0
	ds_bpermute_b32 v3, v6, v1
	v_dual_mov_b32 v6, s5 :: v_dual_add_nc_u32 v5, 24, v4
	s_delay_alu instid0(VALU_DEP_1) | instskip(NEXT) | instid1(VALU_DEP_1)
	v_or_b32_e32 v5, s4, v5
	v_cmp_le_i64_e32 vcc_lo, s[6:7], v[5:6]
	s_or_b32 s0, s0, vcc_lo
	s_wait_alu 0xfffe
	s_nor_b32 s0, s8, s0
	s_wait_dscnt 0x0
	v_add_f64_e32 v[0:1], v[0:1], v[2:3]
	ds_bpermute_b32 v2, v7, v0
	ds_bpermute_b32 v3, v7, v1
	s_wait_dscnt 0x0
	v_add_f64_e32 v[0:1], v[0:1], v[2:3]
	ds_bpermute_b32 v2, v8, v0
	ds_bpermute_b32 v3, v8, v1
	s_wait_alu 0xfffe
	s_and_saveexec_b32 s1, s0
	s_wait_alu 0xfffe
	s_xor_b32 s1, exec_lo, s1
	s_cbranch_execz .LBB134_102
; %bb.101:
	s_wait_dscnt 0x0
	v_add_f64_e32 v[0:1], v[0:1], v[2:3]
	v_add_co_u32 v2, s0, s4, v4
	s_wait_alu 0xf1ff
	v_add_co_ci_u32_e64 v3, null, s5, 0, s0
	s_delay_alu instid0(VALU_DEP_1) | instskip(NEXT) | instid1(VALU_DEP_1)
	v_lshlrev_b64_e32 v[2:3], 3, v[2:3]
	v_add_co_u32 v2, vcc_lo, s2, v2
	s_wait_alu 0xfffd
	s_delay_alu instid0(VALU_DEP_2)
	v_add_co_ci_u32_e64 v3, null, s3, v3, vcc_lo
	global_store_b64 v[2:3], v[0:1], off offset:192
.LBB134_102:
	s_nop 0
	s_sendmsg sendmsg(MSG_DEALLOC_VGPRS)
	s_endpgm
	.section	.rodata,"a",@progbits
	.p2align	6, 0x0
	.amdhsa_kernel _ZN2at6native12_GLOBAL__N_135GammaBetaBackwardCUDAKernelTemplateIddLj32ELj8ELj64ELb0ELb0ELb1EEEvllPKT_S5_PKT0_S8_PS3_S9_
		.amdhsa_group_segment_fixed_size 0
		.amdhsa_private_segment_fixed_size 0
		.amdhsa_kernarg_size 320
		.amdhsa_user_sgpr_count 2
		.amdhsa_user_sgpr_dispatch_ptr 0
		.amdhsa_user_sgpr_queue_ptr 0
		.amdhsa_user_sgpr_kernarg_segment_ptr 1
		.amdhsa_user_sgpr_dispatch_id 0
		.amdhsa_user_sgpr_private_segment_size 0
		.amdhsa_wavefront_size32 1
		.amdhsa_uses_dynamic_stack 0
		.amdhsa_enable_private_segment 0
		.amdhsa_system_sgpr_workgroup_id_x 1
		.amdhsa_system_sgpr_workgroup_id_y 1
		.amdhsa_system_sgpr_workgroup_id_z 0
		.amdhsa_system_sgpr_workgroup_info 0
		.amdhsa_system_vgpr_workitem_id 1
		.amdhsa_next_free_vgpr 107
		.amdhsa_next_free_sgpr 32
		.amdhsa_reserve_vcc 1
		.amdhsa_float_round_mode_32 0
		.amdhsa_float_round_mode_16_64 0
		.amdhsa_float_denorm_mode_32 3
		.amdhsa_float_denorm_mode_16_64 3
		.amdhsa_fp16_overflow 0
		.amdhsa_workgroup_processor_mode 1
		.amdhsa_memory_ordered 1
		.amdhsa_forward_progress 1
		.amdhsa_inst_pref_size 84
		.amdhsa_round_robin_scheduling 0
		.amdhsa_exception_fp_ieee_invalid_op 0
		.amdhsa_exception_fp_denorm_src 0
		.amdhsa_exception_fp_ieee_div_zero 0
		.amdhsa_exception_fp_ieee_overflow 0
		.amdhsa_exception_fp_ieee_underflow 0
		.amdhsa_exception_fp_ieee_inexact 0
		.amdhsa_exception_int_div_zero 0
	.end_amdhsa_kernel
	.section	.text._ZN2at6native12_GLOBAL__N_135GammaBetaBackwardCUDAKernelTemplateIddLj32ELj8ELj64ELb0ELb0ELb1EEEvllPKT_S5_PKT0_S8_PS3_S9_,"axG",@progbits,_ZN2at6native12_GLOBAL__N_135GammaBetaBackwardCUDAKernelTemplateIddLj32ELj8ELj64ELb0ELb0ELb1EEEvllPKT_S5_PKT0_S8_PS3_S9_,comdat
.Lfunc_end134:
	.size	_ZN2at6native12_GLOBAL__N_135GammaBetaBackwardCUDAKernelTemplateIddLj32ELj8ELj64ELb0ELb0ELb1EEEvllPKT_S5_PKT0_S8_PS3_S9_, .Lfunc_end134-_ZN2at6native12_GLOBAL__N_135GammaBetaBackwardCUDAKernelTemplateIddLj32ELj8ELj64ELb0ELb0ELb1EEEvllPKT_S5_PKT0_S8_PS3_S9_
                                        ; -- End function
	.set _ZN2at6native12_GLOBAL__N_135GammaBetaBackwardCUDAKernelTemplateIddLj32ELj8ELj64ELb0ELb0ELb1EEEvllPKT_S5_PKT0_S8_PS3_S9_.num_vgpr, 107
	.set _ZN2at6native12_GLOBAL__N_135GammaBetaBackwardCUDAKernelTemplateIddLj32ELj8ELj64ELb0ELb0ELb1EEEvllPKT_S5_PKT0_S8_PS3_S9_.num_agpr, 0
	.set _ZN2at6native12_GLOBAL__N_135GammaBetaBackwardCUDAKernelTemplateIddLj32ELj8ELj64ELb0ELb0ELb1EEEvllPKT_S5_PKT0_S8_PS3_S9_.numbered_sgpr, 32
	.set _ZN2at6native12_GLOBAL__N_135GammaBetaBackwardCUDAKernelTemplateIddLj32ELj8ELj64ELb0ELb0ELb1EEEvllPKT_S5_PKT0_S8_PS3_S9_.num_named_barrier, 0
	.set _ZN2at6native12_GLOBAL__N_135GammaBetaBackwardCUDAKernelTemplateIddLj32ELj8ELj64ELb0ELb0ELb1EEEvllPKT_S5_PKT0_S8_PS3_S9_.private_seg_size, 0
	.set _ZN2at6native12_GLOBAL__N_135GammaBetaBackwardCUDAKernelTemplateIddLj32ELj8ELj64ELb0ELb0ELb1EEEvllPKT_S5_PKT0_S8_PS3_S9_.uses_vcc, 1
	.set _ZN2at6native12_GLOBAL__N_135GammaBetaBackwardCUDAKernelTemplateIddLj32ELj8ELj64ELb0ELb0ELb1EEEvllPKT_S5_PKT0_S8_PS3_S9_.uses_flat_scratch, 0
	.set _ZN2at6native12_GLOBAL__N_135GammaBetaBackwardCUDAKernelTemplateIddLj32ELj8ELj64ELb0ELb0ELb1EEEvllPKT_S5_PKT0_S8_PS3_S9_.has_dyn_sized_stack, 0
	.set _ZN2at6native12_GLOBAL__N_135GammaBetaBackwardCUDAKernelTemplateIddLj32ELj8ELj64ELb0ELb0ELb1EEEvllPKT_S5_PKT0_S8_PS3_S9_.has_recursion, 0
	.set _ZN2at6native12_GLOBAL__N_135GammaBetaBackwardCUDAKernelTemplateIddLj32ELj8ELj64ELb0ELb0ELb1EEEvllPKT_S5_PKT0_S8_PS3_S9_.has_indirect_call, 0
	.section	.AMDGPU.csdata,"",@progbits
; Kernel info:
; codeLenInByte = 10680
; TotalNumSgprs: 34
; NumVgprs: 107
; ScratchSize: 0
; MemoryBound: 1
; FloatMode: 240
; IeeeMode: 1
; LDSByteSize: 0 bytes/workgroup (compile time only)
; SGPRBlocks: 0
; VGPRBlocks: 13
; NumSGPRsForWavesPerEU: 34
; NumVGPRsForWavesPerEU: 107
; Occupancy: 12
; WaveLimiterHint : 0
; COMPUTE_PGM_RSRC2:SCRATCH_EN: 0
; COMPUTE_PGM_RSRC2:USER_SGPR: 2
; COMPUTE_PGM_RSRC2:TRAP_HANDLER: 0
; COMPUTE_PGM_RSRC2:TGID_X_EN: 1
; COMPUTE_PGM_RSRC2:TGID_Y_EN: 1
; COMPUTE_PGM_RSRC2:TGID_Z_EN: 0
; COMPUTE_PGM_RSRC2:TIDIG_COMP_CNT: 1
	.section	.text._ZN2at6native12_GLOBAL__N_135GammaBetaBackwardCUDAKernelTemplateIddLj32ELj16ELj128ELb0ELb1ELb1EEEvllPKT_S5_PKT0_S8_PS3_S9_,"axG",@progbits,_ZN2at6native12_GLOBAL__N_135GammaBetaBackwardCUDAKernelTemplateIddLj32ELj16ELj128ELb0ELb1ELb1EEEvllPKT_S5_PKT0_S8_PS3_S9_,comdat
	.globl	_ZN2at6native12_GLOBAL__N_135GammaBetaBackwardCUDAKernelTemplateIddLj32ELj16ELj128ELb0ELb1ELb1EEEvllPKT_S5_PKT0_S8_PS3_S9_ ; -- Begin function _ZN2at6native12_GLOBAL__N_135GammaBetaBackwardCUDAKernelTemplateIddLj32ELj16ELj128ELb0ELb1ELb1EEEvllPKT_S5_PKT0_S8_PS3_S9_
	.p2align	8
	.type	_ZN2at6native12_GLOBAL__N_135GammaBetaBackwardCUDAKernelTemplateIddLj32ELj16ELj128ELb0ELb1ELb1EEEvllPKT_S5_PKT0_S8_PS3_S9_,@function
_ZN2at6native12_GLOBAL__N_135GammaBetaBackwardCUDAKernelTemplateIddLj32ELj16ELj128ELb0ELb1ELb1EEEvllPKT_S5_PKT0_S8_PS3_S9_: ; @_ZN2at6native12_GLOBAL__N_135GammaBetaBackwardCUDAKernelTemplateIddLj32ELj16ELj128ELb0ELb1ELb1EEEvllPKT_S5_PKT0_S8_PS3_S9_
; %bb.0:
	s_load_b128 s[4:7], s[0:1], 0x0
	s_lshl_b32 s12, ttmp7, 7
	s_mov_b32 s13, 0
	v_bfe_u32 v11, v0, 10, 10
	s_wait_kmcnt 0x0
	v_cmp_gt_i64_e64 s2, s[4:5], s[12:13]
	s_and_b32 vcc_lo, exec_lo, s2
	s_cbranch_vccnz .LBB135_2
; %bb.1:
	v_bfe_u32 v1, v0, 10, 10
	s_mov_b32 s2, s13
	s_branch .LBB135_3
.LBB135_2:
	s_mov_b32 s2, -1
                                        ; implicit-def: $vgpr1
.LBB135_3:
	v_mov_b32_e32 v6, 0
	v_dual_mov_b32 v7, 0 :: v_dual_and_b32 v10, 0x3ff, v0
	s_and_not1_b32 vcc_lo, exec_lo, s2
	s_cbranch_vccnz .LBB135_11
; %bb.4:
	s_load_b32 s2, s[0:1], 0x4c
	v_dual_mov_b32 v1, 0 :: v_dual_lshlrev_b32 v0, 3, v11
	s_clause 0x2
	s_load_b32 s3, s[0:1], 0x44
	s_load_b128 s[8:11], s[0:1], 0x10
	s_load_b64 s[16:17], s[0:1], 0x28
	s_mov_b32 s15, 0
	v_dual_mov_b32 v12, 8 :: v_dual_mov_b32 v13, 4
	v_add_co_u32 v2, s14, v0, s12
	s_delay_alu instid0(VALU_DEP_1) | instskip(SKIP_1) | instid1(VALU_DEP_3)
	v_add_co_ci_u32_e64 v3, null, 0, 0, s14
	v_lshl_add_u32 v0, ttmp9, 5, v10
	v_mul_lo_u32 v8, s7, v2
	v_mad_co_u64_u32 v[4:5], null, s6, v2, 0
	s_delay_alu instid0(VALU_DEP_4)
	v_mul_lo_u32 v9, s6, v3
	v_dual_mov_b32 v14, 12 :: v_dual_mov_b32 v15, 16
	v_dual_mov_b32 v16, 20 :: v_dual_mov_b32 v17, 28
	s_wait_kmcnt 0x0
	s_and_b32 s2, s2, 0xffff
	s_lshl_b32 s14, s3, 7
	v_mad_u32_u24 v6, v11, s2, v10
	s_delay_alu instid0(VALU_DEP_4)
	v_add3_u32 v5, v5, v9, v8
	s_wait_alu 0xfffe
	s_mul_u64 s[18:19], s[6:7], s[14:15]
	s_lshl_b64 s[6:7], s[6:7], 3
	s_lshl_b64 s[18:19], s[18:19], 3
	v_and_b32_e32 v20, 31, v6
	v_lshlrev_b64_e32 v[6:7], 3, v[0:1]
	v_lshlrev_b64_e32 v[4:5], 3, v[4:5]
	v_mov_b32_e32 v0, 24
	s_delay_alu instid0(VALU_DEP_4) | instskip(NEXT) | instid1(VALU_DEP_1)
	v_add_co_u32 v2, vcc_lo, v2, v20
	v_add_co_ci_u32_e64 v3, null, 0, v3, vcc_lo
	s_delay_alu instid0(VALU_DEP_4) | instskip(SKIP_2) | instid1(VALU_DEP_3)
	v_add_co_u32 v18, vcc_lo, v4, v6
	s_wait_alu 0xfffd
	v_add_co_ci_u32_e64 v19, null, v5, v7, vcc_lo
	v_lshlrev_b64_e32 v[8:9], 3, v[2:3]
	v_mov_b32_e32 v6, 0
	v_cmp_gt_u32_e64 s2, 8, v20
	v_mov_b32_e32 v7, 0
	s_delay_alu instid0(VALU_DEP_4)
	v_add_co_u32 v4, vcc_lo, s16, v8
	s_wait_alu 0xfffd
	v_add_co_ci_u32_e64 v5, null, s17, v9, vcc_lo
	s_lshl_b64 s[16:17], s[14:15], 3
	s_branch .LBB135_7
.LBB135_5:                              ;   in Loop: Header=BB135_7 Depth=1
	s_or_b32 exec_lo, exec_lo, s20
.LBB135_6:                              ;   in Loop: Header=BB135_7 Depth=1
	s_wait_alu 0xfffe
	s_or_b32 exec_lo, exec_lo, s3
	v_add_co_u32 v20, vcc_lo, s8, v18
	s_wait_alu 0xfffd
	v_add_co_ci_u32_e64 v21, null, s9, v19, vcc_lo
	v_add_co_u32 v22, vcc_lo, s10, v18
	s_wait_alu 0xfffd
	v_add_co_ci_u32_e64 v23, null, s11, v19, vcc_lo
	global_load_b64 v[24:25], v[20:21], off
	global_load_b64 v[26:27], v[22:23], off
	v_add_co_u32 v20, vcc_lo, v20, s6
	s_wait_alu 0xfffd
	v_add_co_ci_u32_e64 v21, null, s7, v21, vcc_lo
	v_add_co_u32 v22, vcc_lo, v22, s6
	s_wait_alu 0xfffd
	v_add_co_ci_u32_e64 v23, null, s7, v23, vcc_lo
	global_load_b64 v[28:29], v[20:21], off
	global_load_b64 v[30:31], v[22:23], off
	;; [unrolled: 8-line block ×8, first 2 shown]
	v_add_co_u32 v4, vcc_lo, v4, s16
	s_add_nc_u64 s[12:13], s[12:13], s[14:15]
	s_wait_alu 0xfffd
	v_add_co_ci_u32_e64 v5, null, s17, v5, vcc_lo
	v_add_co_u32 v2, vcc_lo, v2, s14
	s_wait_alu 0xfffe
	v_cmp_lt_i64_e64 s3, s[12:13], s[4:5]
	s_wait_alu 0xfffd
	v_add_co_ci_u32_e64 v3, null, 0, v3, vcc_lo
	v_add_co_u32 v18, vcc_lo, v18, s18
	s_wait_alu 0xfffd
	v_add_co_ci_u32_e64 v19, null, s19, v19, vcc_lo
	s_and_b32 vcc_lo, exec_lo, s3
	s_wait_loadcnt 0xe
	v_mul_f64_e32 v[24:25], v[24:25], v[26:27]
	ds_bpermute_b32 v26, v1, v8
	ds_bpermute_b32 v27, v1, v9
	s_wait_loadcnt 0xc
	v_mul_f64_e32 v[28:29], v[28:29], v[30:31]
	s_wait_dscnt 0x0
	v_fma_f64 v[6:7], v[24:25], v[26:27], v[6:7]
	ds_bpermute_b32 v24, v13, v8
	ds_bpermute_b32 v25, v13, v9
	s_wait_loadcnt 0xa
	v_mul_f64_e32 v[26:27], v[32:33], v[34:35]
	s_wait_dscnt 0x0
	v_fma_f64 v[6:7], v[28:29], v[24:25], v[6:7]
	ds_bpermute_b32 v24, v12, v8
	ds_bpermute_b32 v25, v12, v9
	s_wait_loadcnt 0x8
	v_mul_f64_e32 v[28:29], v[36:37], v[38:39]
	s_wait_loadcnt 0x0
	v_mul_f64_e32 v[20:21], v[20:21], v[22:23]
	s_wait_dscnt 0x0
	v_fma_f64 v[6:7], v[26:27], v[24:25], v[6:7]
	ds_bpermute_b32 v24, v14, v8
	ds_bpermute_b32 v25, v14, v9
	v_mul_f64_e32 v[26:27], v[40:41], v[42:43]
	s_wait_dscnt 0x0
	v_fma_f64 v[6:7], v[28:29], v[24:25], v[6:7]
	ds_bpermute_b32 v24, v15, v8
	ds_bpermute_b32 v25, v15, v9
	;; [unrolled: 5-line block ×4, first 2 shown]
	ds_bpermute_b32 v8, v17, v8
	ds_bpermute_b32 v9, v17, v9
	s_wait_dscnt 0x2
	v_fma_f64 v[6:7], v[26:27], v[24:25], v[6:7]
	s_wait_dscnt 0x0
	s_delay_alu instid0(VALU_DEP_1)
	v_fma_f64 v[6:7], v[20:21], v[8:9], v[6:7]
	s_wait_alu 0xfffe
	s_cbranch_vccz .LBB135_10
.LBB135_7:                              ; =>This Inner Loop Header: Depth=1
	v_mov_b32_e32 v8, 0
	v_mov_b32_e32 v9, 0
	s_and_saveexec_b32 s3, s2
	s_cbranch_execz .LBB135_6
; %bb.8:                                ;   in Loop: Header=BB135_7 Depth=1
	v_mov_b32_e32 v8, 0
	v_mov_b32_e32 v9, 0
	s_mov_b32 s20, exec_lo
	v_cmpx_gt_i64_e64 s[4:5], v[2:3]
	s_cbranch_execz .LBB135_5
; %bb.9:                                ;   in Loop: Header=BB135_7 Depth=1
	global_load_b64 v[8:9], v[4:5], off
	s_branch .LBB135_5
.LBB135_10:
	v_mov_b32_e32 v1, v11
.LBB135_11:
	s_load_b64 s[2:3], s[0:1], 0x30
	s_delay_alu instid0(VALU_DEP_1) | instskip(SKIP_3) | instid1(VALU_DEP_3)
	v_mad_u32_u24 v0, v1, 33, v10
	v_mov_b32_e32 v2, 0
	v_lshrrev_b32_e32 v4, 5, v10
	s_mov_b32 s0, exec_lo
	v_lshl_add_u32 v5, v0, 3, 0
	s_delay_alu instid0(VALU_DEP_2)
	v_dual_mov_b32 v3, v2 :: v_dual_add_nc_u32 v0, v4, v1
	ds_store_b64 v5, v[6:7]
	ds_store_b64 v5, v[2:3] offset:4224
	s_wait_dscnt 0x0
	s_barrier_signal -1
	s_barrier_wait -1
	global_inv scope:SCOPE_SE
	v_cmpx_gt_u32_e32 32, v0
	s_cbranch_execz .LBB135_21
; %bb.12:
	v_and_b32_e32 v1, 31, v10
	s_delay_alu instid0(VALU_DEP_1)
	v_cmp_gt_u32_e32 vcc_lo, 16, v1
	v_mul_u32_u24_e32 v4, 33, v1
                                        ; implicit-def: $vgpr1_vgpr2
	s_and_saveexec_b32 s0, vcc_lo
	s_cbranch_execz .LBB135_14
; %bb.13:
	v_lshlrev_b32_e32 v1, 3, v0
	s_delay_alu instid0(VALU_DEP_2) | instskip(NEXT) | instid1(VALU_DEP_1)
	v_lshlrev_b32_e32 v2, 3, v4
	v_add3_u32 v1, 0, v1, v2
	ds_load_b64 v[1:2], v1
.LBB135_14:
	s_wait_alu 0xfffe
	s_or_b32 exec_lo, exec_lo, s0
	v_mbcnt_lo_u32_b32 v3, -1, 0
	s_mov_b32 s4, ttmp9
	s_wait_kmcnt 0x0
	s_cmp_lg_u64 s[2:3], 0
	s_mov_b32 s5, 0
	s_cselect_b32 s1, -1, 0
	v_xor_b32_e32 v5, 8, v3
	s_wait_alu 0xfffe
	s_lshl_b64 s[4:5], s[4:5], 8
	s_wait_alu 0xfffe
	s_add_nc_u64 s[2:3], s[2:3], s[4:5]
	v_cmp_gt_i32_e64 s0, 32, v5
	s_wait_alu 0xf1ff
	s_delay_alu instid0(VALU_DEP_1) | instskip(NEXT) | instid1(VALU_DEP_1)
	v_cndmask_b32_e64 v5, v3, v5, s0
	v_lshlrev_b32_e32 v5, 2, v5
	s_wait_dscnt 0x0
	ds_bpermute_b32 v6, v5, v1
	ds_bpermute_b32 v7, v5, v2
	s_wait_dscnt 0x0
	v_add_f64_e32 v[1:2], v[1:2], v[6:7]
	v_xor_b32_e32 v6, 4, v3
	s_delay_alu instid0(VALU_DEP_1) | instskip(SKIP_1) | instid1(VALU_DEP_1)
	v_cmp_gt_i32_e64 s0, 32, v6
	s_wait_alu 0xf1ff
	v_cndmask_b32_e64 v6, v3, v6, s0
	s_delay_alu instid0(VALU_DEP_1)
	v_lshlrev_b32_e32 v6, 2, v6
	ds_bpermute_b32 v7, v6, v1
	ds_bpermute_b32 v8, v6, v2
	s_wait_dscnt 0x0
	v_add_f64_e32 v[1:2], v[1:2], v[7:8]
	v_xor_b32_e32 v7, 2, v3
	s_delay_alu instid0(VALU_DEP_1) | instskip(SKIP_1) | instid1(VALU_DEP_1)
	v_cmp_gt_i32_e64 s0, 32, v7
	s_wait_alu 0xf1ff
	v_cndmask_b32_e64 v7, v3, v7, s0
	s_delay_alu instid0(VALU_DEP_1)
	v_lshlrev_b32_e32 v7, 2, v7
	ds_bpermute_b32 v8, v7, v1
	ds_bpermute_b32 v9, v7, v2
	s_wait_dscnt 0x0
	v_add_f64_e32 v[1:2], v[1:2], v[8:9]
	v_xor_b32_e32 v8, 1, v3
	s_delay_alu instid0(VALU_DEP_1) | instskip(SKIP_1) | instid1(VALU_DEP_1)
	v_cmp_gt_i32_e64 s0, 32, v8
	s_wait_alu 0xf1ff
	v_cndmask_b32_e64 v3, v3, v8, s0
	v_cmp_eq_u32_e64 s0, 0, v10
	s_delay_alu instid0(VALU_DEP_2)
	v_lshlrev_b32_e32 v8, 2, v3
	s_and_b32 s1, s0, s1
	ds_bpermute_b32 v11, v8, v1
	ds_bpermute_b32 v12, v8, v2
	s_wait_dscnt 0x0
	v_add_f64_e32 v[2:3], v[1:2], v[11:12]
	s_wait_alu 0xfffe
	s_and_saveexec_b32 s4, s1
	s_cbranch_execz .LBB135_16
; %bb.15:
	v_mov_b32_e32 v1, 0
	s_delay_alu instid0(VALU_DEP_1) | instskip(NEXT) | instid1(VALU_DEP_1)
	v_lshlrev_b64_e32 v[9:10], 3, v[0:1]
	v_add_co_u32 v9, s0, s2, v9
	s_wait_alu 0xf1ff
	s_delay_alu instid0(VALU_DEP_2)
	v_add_co_ci_u32_e64 v10, null, s3, v10, s0
	global_store_b64 v[9:10], v[2:3], off
.LBB135_16:
	s_wait_alu 0xfffe
	s_or_b32 exec_lo, exec_lo, s4
	v_cmp_gt_u32_e64 s0, 16, v0
	s_and_b32 exec_lo, exec_lo, s0
	s_cbranch_execz .LBB135_21
; %bb.17:
	s_and_saveexec_b32 s0, vcc_lo
	s_cbranch_execz .LBB135_19
; %bb.18:
	v_lshlrev_b32_e32 v1, 3, v0
	v_lshlrev_b32_e32 v2, 3, v4
	s_delay_alu instid0(VALU_DEP_1)
	v_add3_u32 v1, 0, v1, v2
	ds_load_b64 v[2:3], v1 offset:128
.LBB135_19:
	s_wait_alu 0xfffe
	s_or_b32 exec_lo, exec_lo, s0
	s_wait_dscnt 0x0
	ds_bpermute_b32 v4, v5, v2
	ds_bpermute_b32 v5, v5, v3
	s_wait_dscnt 0x0
	v_add_f64_e32 v[1:2], v[2:3], v[4:5]
	ds_bpermute_b32 v3, v6, v1
	ds_bpermute_b32 v4, v6, v2
	s_wait_dscnt 0x0
	v_add_f64_e32 v[1:2], v[1:2], v[3:4]
	ds_bpermute_b32 v3, v7, v1
	ds_bpermute_b32 v4, v7, v2
	s_wait_dscnt 0x0
	v_add_f64_e32 v[1:2], v[1:2], v[3:4]
	ds_bpermute_b32 v3, v8, v1
	ds_bpermute_b32 v4, v8, v2
	s_and_saveexec_b32 s0, s1
	s_wait_alu 0xfffe
	s_xor_b32 s0, exec_lo, s0
	s_cbranch_execz .LBB135_21
; %bb.20:
	s_wait_dscnt 0x0
	v_add_f64_e32 v[2:3], v[1:2], v[3:4]
	v_mov_b32_e32 v1, 0
	s_delay_alu instid0(VALU_DEP_1) | instskip(NEXT) | instid1(VALU_DEP_1)
	v_lshlrev_b64_e32 v[0:1], 3, v[0:1]
	v_add_co_u32 v0, vcc_lo, s2, v0
	s_wait_alu 0xfffd
	s_delay_alu instid0(VALU_DEP_2)
	v_add_co_ci_u32_e64 v1, null, s3, v1, vcc_lo
	global_store_b64 v[0:1], v[2:3], off offset:128
.LBB135_21:
	s_endpgm
	.section	.rodata,"a",@progbits
	.p2align	6, 0x0
	.amdhsa_kernel _ZN2at6native12_GLOBAL__N_135GammaBetaBackwardCUDAKernelTemplateIddLj32ELj16ELj128ELb0ELb1ELb1EEEvllPKT_S5_PKT0_S8_PS3_S9_
		.amdhsa_group_segment_fixed_size 0
		.amdhsa_private_segment_fixed_size 0
		.amdhsa_kernarg_size 320
		.amdhsa_user_sgpr_count 2
		.amdhsa_user_sgpr_dispatch_ptr 0
		.amdhsa_user_sgpr_queue_ptr 0
		.amdhsa_user_sgpr_kernarg_segment_ptr 1
		.amdhsa_user_sgpr_dispatch_id 0
		.amdhsa_user_sgpr_private_segment_size 0
		.amdhsa_wavefront_size32 1
		.amdhsa_uses_dynamic_stack 0
		.amdhsa_enable_private_segment 0
		.amdhsa_system_sgpr_workgroup_id_x 1
		.amdhsa_system_sgpr_workgroup_id_y 1
		.amdhsa_system_sgpr_workgroup_id_z 0
		.amdhsa_system_sgpr_workgroup_info 0
		.amdhsa_system_vgpr_workitem_id 1
		.amdhsa_next_free_vgpr 52
		.amdhsa_next_free_sgpr 21
		.amdhsa_reserve_vcc 1
		.amdhsa_float_round_mode_32 0
		.amdhsa_float_round_mode_16_64 0
		.amdhsa_float_denorm_mode_32 3
		.amdhsa_float_denorm_mode_16_64 3
		.amdhsa_fp16_overflow 0
		.amdhsa_workgroup_processor_mode 1
		.amdhsa_memory_ordered 1
		.amdhsa_forward_progress 1
		.amdhsa_inst_pref_size 17
		.amdhsa_round_robin_scheduling 0
		.amdhsa_exception_fp_ieee_invalid_op 0
		.amdhsa_exception_fp_denorm_src 0
		.amdhsa_exception_fp_ieee_div_zero 0
		.amdhsa_exception_fp_ieee_overflow 0
		.amdhsa_exception_fp_ieee_underflow 0
		.amdhsa_exception_fp_ieee_inexact 0
		.amdhsa_exception_int_div_zero 0
	.end_amdhsa_kernel
	.section	.text._ZN2at6native12_GLOBAL__N_135GammaBetaBackwardCUDAKernelTemplateIddLj32ELj16ELj128ELb0ELb1ELb1EEEvllPKT_S5_PKT0_S8_PS3_S9_,"axG",@progbits,_ZN2at6native12_GLOBAL__N_135GammaBetaBackwardCUDAKernelTemplateIddLj32ELj16ELj128ELb0ELb1ELb1EEEvllPKT_S5_PKT0_S8_PS3_S9_,comdat
.Lfunc_end135:
	.size	_ZN2at6native12_GLOBAL__N_135GammaBetaBackwardCUDAKernelTemplateIddLj32ELj16ELj128ELb0ELb1ELb1EEEvllPKT_S5_PKT0_S8_PS3_S9_, .Lfunc_end135-_ZN2at6native12_GLOBAL__N_135GammaBetaBackwardCUDAKernelTemplateIddLj32ELj16ELj128ELb0ELb1ELb1EEEvllPKT_S5_PKT0_S8_PS3_S9_
                                        ; -- End function
	.set _ZN2at6native12_GLOBAL__N_135GammaBetaBackwardCUDAKernelTemplateIddLj32ELj16ELj128ELb0ELb1ELb1EEEvllPKT_S5_PKT0_S8_PS3_S9_.num_vgpr, 52
	.set _ZN2at6native12_GLOBAL__N_135GammaBetaBackwardCUDAKernelTemplateIddLj32ELj16ELj128ELb0ELb1ELb1EEEvllPKT_S5_PKT0_S8_PS3_S9_.num_agpr, 0
	.set _ZN2at6native12_GLOBAL__N_135GammaBetaBackwardCUDAKernelTemplateIddLj32ELj16ELj128ELb0ELb1ELb1EEEvllPKT_S5_PKT0_S8_PS3_S9_.numbered_sgpr, 21
	.set _ZN2at6native12_GLOBAL__N_135GammaBetaBackwardCUDAKernelTemplateIddLj32ELj16ELj128ELb0ELb1ELb1EEEvllPKT_S5_PKT0_S8_PS3_S9_.num_named_barrier, 0
	.set _ZN2at6native12_GLOBAL__N_135GammaBetaBackwardCUDAKernelTemplateIddLj32ELj16ELj128ELb0ELb1ELb1EEEvllPKT_S5_PKT0_S8_PS3_S9_.private_seg_size, 0
	.set _ZN2at6native12_GLOBAL__N_135GammaBetaBackwardCUDAKernelTemplateIddLj32ELj16ELj128ELb0ELb1ELb1EEEvllPKT_S5_PKT0_S8_PS3_S9_.uses_vcc, 1
	.set _ZN2at6native12_GLOBAL__N_135GammaBetaBackwardCUDAKernelTemplateIddLj32ELj16ELj128ELb0ELb1ELb1EEEvllPKT_S5_PKT0_S8_PS3_S9_.uses_flat_scratch, 0
	.set _ZN2at6native12_GLOBAL__N_135GammaBetaBackwardCUDAKernelTemplateIddLj32ELj16ELj128ELb0ELb1ELb1EEEvllPKT_S5_PKT0_S8_PS3_S9_.has_dyn_sized_stack, 0
	.set _ZN2at6native12_GLOBAL__N_135GammaBetaBackwardCUDAKernelTemplateIddLj32ELj16ELj128ELb0ELb1ELb1EEEvllPKT_S5_PKT0_S8_PS3_S9_.has_recursion, 0
	.set _ZN2at6native12_GLOBAL__N_135GammaBetaBackwardCUDAKernelTemplateIddLj32ELj16ELj128ELb0ELb1ELb1EEEvllPKT_S5_PKT0_S8_PS3_S9_.has_indirect_call, 0
	.section	.AMDGPU.csdata,"",@progbits
; Kernel info:
; codeLenInByte = 2084
; TotalNumSgprs: 23
; NumVgprs: 52
; ScratchSize: 0
; MemoryBound: 0
; FloatMode: 240
; IeeeMode: 1
; LDSByteSize: 0 bytes/workgroup (compile time only)
; SGPRBlocks: 0
; VGPRBlocks: 6
; NumSGPRsForWavesPerEU: 23
; NumVGPRsForWavesPerEU: 52
; Occupancy: 16
; WaveLimiterHint : 0
; COMPUTE_PGM_RSRC2:SCRATCH_EN: 0
; COMPUTE_PGM_RSRC2:USER_SGPR: 2
; COMPUTE_PGM_RSRC2:TRAP_HANDLER: 0
; COMPUTE_PGM_RSRC2:TGID_X_EN: 1
; COMPUTE_PGM_RSRC2:TGID_Y_EN: 1
; COMPUTE_PGM_RSRC2:TGID_Z_EN: 0
; COMPUTE_PGM_RSRC2:TIDIG_COMP_CNT: 1
	.section	.text._ZN2at6native12_GLOBAL__N_135GammaBetaBackwardCUDAKernelTemplateIddLj32ELj16ELj128ELb0ELb0ELb1EEEvllPKT_S5_PKT0_S8_PS3_S9_,"axG",@progbits,_ZN2at6native12_GLOBAL__N_135GammaBetaBackwardCUDAKernelTemplateIddLj32ELj16ELj128ELb0ELb0ELb1EEEvllPKT_S5_PKT0_S8_PS3_S9_,comdat
	.globl	_ZN2at6native12_GLOBAL__N_135GammaBetaBackwardCUDAKernelTemplateIddLj32ELj16ELj128ELb0ELb0ELb1EEEvllPKT_S5_PKT0_S8_PS3_S9_ ; -- Begin function _ZN2at6native12_GLOBAL__N_135GammaBetaBackwardCUDAKernelTemplateIddLj32ELj16ELj128ELb0ELb0ELb1EEEvllPKT_S5_PKT0_S8_PS3_S9_
	.p2align	8
	.type	_ZN2at6native12_GLOBAL__N_135GammaBetaBackwardCUDAKernelTemplateIddLj32ELj16ELj128ELb0ELb0ELb1EEEvllPKT_S5_PKT0_S8_PS3_S9_,@function
_ZN2at6native12_GLOBAL__N_135GammaBetaBackwardCUDAKernelTemplateIddLj32ELj16ELj128ELb0ELb0ELb1EEEvllPKT_S5_PKT0_S8_PS3_S9_: ; @_ZN2at6native12_GLOBAL__N_135GammaBetaBackwardCUDAKernelTemplateIddLj32ELj16ELj128ELb0ELb0ELb1EEEvllPKT_S5_PKT0_S8_PS3_S9_
; %bb.0:
	s_clause 0x1
	s_load_b256 s[4:11], s[0:1], 0x0
	s_load_b64 s[12:13], s[0:1], 0x28
	s_lshl_b32 s28, ttmp9, 5
	s_mov_b32 s15, 0
	s_or_b32 s14, s28, 31
	s_wait_kmcnt 0x0
	v_cmp_le_i64_e64 s2, s[6:7], s[14:15]
	s_lshl_b32 s14, ttmp7, 7
	s_wait_alu 0xfffe
	v_cmp_gt_i64_e64 s29, s[4:5], s[14:15]
	s_and_b32 vcc_lo, exec_lo, s2
	v_cndmask_b32_e64 v1, 0, 1, s29
	s_delay_alu instid0(VALU_DEP_1)
	v_cmp_ne_u32_e64 s2, 1, v1
	s_cbranch_vccz .LBB136_48
; %bb.1:
	v_mov_b32_e32 v36, 0
	v_mov_b32_e32 v37, 0
	s_and_b32 vcc_lo, exec_lo, s2
	s_cbranch_vccnz .LBB136_49
; %bb.2:
	v_bfe_u32 v42, v0, 10, 10
	v_dual_mov_b32 v1, 0 :: v_dual_and_b32 v44, 0x3ff, v0
	s_load_b32 s3, s[0:1], 0x44
	s_mov_b32 s17, 0
	s_delay_alu instid0(VALU_DEP_2) | instskip(NEXT) | instid1(VALU_DEP_2)
	v_dual_mov_b32 v36, 0 :: v_dual_lshlrev_b32 v43, 3, v42
	v_dual_mov_b32 v3, v1 :: v_dual_add_nc_u32 v2, s28, v44
	s_mov_b32 s21, s17
	s_delay_alu instid0(VALU_DEP_2) | instskip(NEXT) | instid1(VALU_DEP_1)
	v_add_co_u32 v10, s2, v43, s14
	v_add_co_ci_u32_e64 v11, null, 0, 0, s2
	s_delay_alu instid0(VALU_DEP_3) | instskip(NEXT) | instid1(VALU_DEP_3)
	v_cmp_gt_i64_e64 s2, s[6:7], v[2:3]
	v_mul_lo_u32 v6, s7, v10
	v_mad_co_u64_u32 v[4:5], null, s6, v10, 0
	s_delay_alu instid0(VALU_DEP_4) | instskip(SKIP_1) | instid1(VALU_DEP_1)
	v_mul_lo_u32 v7, s6, v11
	v_add_co_u32 v8, vcc_lo, v10, 7
	v_add_co_ci_u32_e64 v9, null, 0, v11, vcc_lo
	v_lshlrev_b64_e32 v[34:35], 3, v[2:3]
	s_delay_alu instid0(VALU_DEP_3)
	v_mul_lo_u32 v12, s7, v8
	s_wait_kmcnt 0x0
	s_lshl_b32 s20, s3, 7
	v_add3_u32 v5, v5, v7, v6
	v_mad_co_u64_u32 v[6:7], null, s6, v8, 0
	v_add_co_u32 v8, vcc_lo, v10, 6
	v_mul_lo_u32 v13, s6, v9
	s_wait_alu 0xfffd
	v_add_co_ci_u32_e64 v9, null, 0, v11, vcc_lo
	v_lshlrev_b64_e32 v[2:3], 3, v[4:5]
	v_mul_lo_u32 v14, s7, v8
	v_mov_b32_e32 v37, 0
	s_delay_alu instid0(VALU_DEP_4)
	v_mul_lo_u32 v15, s6, v9
	v_mad_co_u64_u32 v[8:9], null, s6, v8, 0
	v_add_co_u32 v45, vcc_lo, s8, v2
	s_wait_alu 0xfffd
	v_add_co_ci_u32_e64 v46, null, s9, v3, vcc_lo
	v_add_co_u32 v47, vcc_lo, s10, v2
	v_add3_u32 v7, v7, v13, v12
	s_wait_alu 0xfffd
	v_add_co_ci_u32_e64 v48, null, s11, v3, vcc_lo
	v_add_co_u32 v12, vcc_lo, v10, 5
	v_add3_u32 v9, v9, v15, v14
	s_wait_alu 0xfffd
	v_add_co_ci_u32_e64 v13, null, 0, v11, vcc_lo
	v_lshlrev_b64_e32 v[2:3], 3, v[6:7]
	v_mul_lo_u32 v14, s7, v12
	v_lshlrev_b64_e32 v[6:7], 3, v[8:9]
	s_delay_alu instid0(VALU_DEP_4)
	v_mul_lo_u32 v13, s6, v13
	v_mad_co_u64_u32 v[8:9], null, s6, v12, 0
	v_add_co_u32 v49, vcc_lo, s8, v2
	s_wait_alu 0xfffd
	v_add_co_ci_u32_e64 v50, null, s9, v3, vcc_lo
	v_add_co_u32 v51, vcc_lo, s10, v2
	s_wait_alu 0xfffd
	v_add_co_ci_u32_e64 v52, null, s11, v3, vcc_lo
	v_add_co_u32 v53, vcc_lo, s8, v6
	v_add3_u32 v9, v9, v13, v14
	s_wait_alu 0xfffd
	v_add_co_ci_u32_e64 v54, null, s9, v7, vcc_lo
	v_add_co_u32 v12, vcc_lo, v10, 4
	v_add_co_u32 v55, s3, s10, v6
	s_wait_alu 0xfffd
	v_add_co_ci_u32_e64 v6, null, 0, v11, vcc_lo
	v_lshlrev_b64_e32 v[2:3], 3, v[8:9]
	v_add_co_u32 v8, vcc_lo, v10, 3
	s_wait_alu 0xfffd
	v_add_co_ci_u32_e64 v9, null, 0, v11, vcc_lo
	s_wait_alu 0xf1ff
	v_add_co_ci_u32_e64 v56, null, s11, v7, s3
	v_mul_lo_u32 v13, s7, v12
	v_mul_lo_u32 v14, s6, v6
	v_mad_co_u64_u32 v[6:7], null, s6, v12, 0
	v_mul_lo_u32 v12, s7, v8
	v_mul_lo_u32 v15, s6, v9
	v_mad_co_u64_u32 v[8:9], null, s6, v8, 0
	v_add_co_u32 v57, vcc_lo, s8, v2
	s_wait_alu 0xfffd
	v_add_co_ci_u32_e64 v58, null, s9, v3, vcc_lo
	v_add3_u32 v7, v7, v14, v13
	v_add_co_u32 v59, vcc_lo, s10, v2
	s_wait_alu 0xfffd
	v_add_co_ci_u32_e64 v60, null, s11, v3, vcc_lo
	v_add_co_u32 v10, vcc_lo, v10, 2
	v_add3_u32 v9, v9, v15, v12
	s_wait_alu 0xfffd
	v_add_co_ci_u32_e64 v11, null, 0, v11, vcc_lo
	v_lshlrev_b64_e32 v[2:3], 3, v[6:7]
	v_mul_lo_u32 v12, s7, v10
	v_lshlrev_b64_e32 v[6:7], 3, v[8:9]
	s_delay_alu instid0(VALU_DEP_4)
	v_mul_lo_u32 v11, s6, v11
	v_mad_co_u64_u32 v[8:9], null, s6, v10, 0
	v_add_co_u32 v61, vcc_lo, s8, v2
	s_wait_alu 0xfffd
	v_add_co_ci_u32_e64 v62, null, s9, v3, vcc_lo
	v_add_co_u32 v63, vcc_lo, s10, v2
	s_wait_alu 0xfffd
	v_add_co_ci_u32_e64 v64, null, s11, v3, vcc_lo
	;; [unrolled: 3-line block ×3, first 2 shown]
	v_add3_u32 v9, v9, v11, v12
	v_add_co_u32 v67, vcc_lo, s10, v6
	s_wait_alu 0xfffd
	v_add_co_ci_u32_e64 v68, null, s11, v7, vcc_lo
	v_add_co_u32 v4, vcc_lo, v4, s6
	s_wait_alu 0xfffd
	v_add_co_ci_u32_e64 v5, null, s7, v5, vcc_lo
	v_lshlrev_b64_e32 v[2:3], 3, v[8:9]
	s_mul_u64 s[22:23], s[6:7], s[20:21]
	s_add_nc_u64 s[18:19], s[0:1], 64
	s_delay_alu instid0(VALU_DEP_2)
	v_lshlrev_b64_e32 v[4:5], 3, v[4:5]
	s_lshl_b64 s[22:23], s[22:23], 3
	s_add_nc_u64 s[24:25], s[14:15], 0x7f
	v_add_co_u32 v69, vcc_lo, s8, v2
	s_wait_alu 0xfffd
	v_add_co_ci_u32_e64 v70, null, s9, v3, vcc_lo
	v_add_co_u32 v71, vcc_lo, s10, v2
	s_wait_alu 0xfffd
	v_add_co_ci_u32_e64 v72, null, s11, v3, vcc_lo
	;; [unrolled: 3-line block ×4, first 2 shown]
	s_mov_b64 s[26:27], s[14:15]
	s_branch .LBB136_5
.LBB136_3:                              ;   in Loop: Header=BB136_5 Depth=1
	s_wait_alu 0xfffe
	s_or_b32 exec_lo, exec_lo, s3
	s_wait_loadcnt 0x0
	v_mul_f64_e32 v[2:3], v[18:19], v[2:3]
	ds_bpermute_b32 v18, v1, v38
	ds_bpermute_b32 v19, v1, v39
	v_mul_f64_e32 v[4:5], v[20:21], v[4:5]
	v_mul_f64_e32 v[6:7], v[22:23], v[6:7]
	;; [unrolled: 1-line block ×3, first 2 shown]
	s_wait_dscnt 0x0
	v_fma_f64 v[2:3], v[2:3], v[18:19], v[36:37]
	ds_bpermute_b32 v18, v1, v38 offset:4
	ds_bpermute_b32 v19, v1, v39 offset:4
	s_wait_dscnt 0x0
	v_fma_f64 v[2:3], v[4:5], v[18:19], v[2:3]
	ds_bpermute_b32 v4, v1, v38 offset:8
	ds_bpermute_b32 v5, v1, v39 offset:8
	;; [unrolled: 4-line block ×3, first 2 shown]
	v_mul_f64_e32 v[6:7], v[26:27], v[10:11]
	s_wait_dscnt 0x0
	v_fma_f64 v[2:3], v[8:9], v[4:5], v[2:3]
	ds_bpermute_b32 v4, v1, v38 offset:16
	ds_bpermute_b32 v5, v1, v39 offset:16
	v_mul_f64_e32 v[8:9], v[28:29], v[12:13]
	s_wait_dscnt 0x0
	v_fma_f64 v[2:3], v[6:7], v[4:5], v[2:3]
	ds_bpermute_b32 v4, v1, v38 offset:20
	ds_bpermute_b32 v5, v1, v39 offset:20
	;; [unrolled: 1-line block ×4, first 2 shown]
	s_wait_dscnt 0x2
	v_fma_f64 v[2:3], v[8:9], v[4:5], v[2:3]
	v_mul_f64_e32 v[4:5], v[30:31], v[14:15]
	s_wait_dscnt 0x0
	s_delay_alu instid0(VALU_DEP_1)
	v_fma_f64 v[40:41], v[4:5], v[6:7], v[2:3]
	ds_bpermute_b32 v2, v1, v38 offset:28
	ds_bpermute_b32 v3, v1, v39 offset:28
.LBB136_4:                              ;   in Loop: Header=BB136_5 Depth=1
	v_mul_f64_e32 v[4:5], v[16:17], v[32:33]
	v_add_co_u32 v45, vcc_lo, v45, s22
	s_wait_alu 0xfffd
	v_add_co_ci_u32_e64 v46, null, s23, v46, vcc_lo
	v_add_co_u32 v47, vcc_lo, v47, s22
	s_wait_alu 0xfffd
	v_add_co_ci_u32_e64 v48, null, s23, v48, vcc_lo
	;; [unrolled: 3-line block ×9, first 2 shown]
	v_add_co_u32 v63, vcc_lo, v63, s22
	s_wait_dscnt 0x0
	v_fma_f64 v[36:37], v[4:5], v[2:3], v[40:41]
	s_wait_alu 0xfffd
	v_add_co_ci_u32_e64 v64, null, s23, v64, vcc_lo
	v_add_co_u32 v65, vcc_lo, v65, s22
	s_wait_alu 0xfffd
	v_add_co_ci_u32_e64 v66, null, s23, v66, vcc_lo
	v_add_co_u32 v67, vcc_lo, v67, s22
	;; [unrolled: 3-line block ×4, first 2 shown]
	s_add_nc_u64 s[26:27], s[26:27], s[20:21]
	s_wait_alu 0xfffd
	v_add_co_ci_u32_e64 v72, null, s23, v72, vcc_lo
	v_add_co_u32 v73, vcc_lo, v73, s22
	s_wait_alu 0xfffe
	v_cmp_lt_i64_e64 s3, s[26:27], s[4:5]
	s_wait_alu 0xfffd
	v_add_co_ci_u32_e64 v74, null, s23, v74, vcc_lo
	v_add_co_u32 v75, vcc_lo, v75, s22
	s_wait_alu 0xfffd
	v_add_co_ci_u32_e64 v76, null, s23, v76, vcc_lo
	s_and_b32 vcc_lo, exec_lo, s3
	s_add_nc_u64 s[24:25], s[24:25], s[20:21]
	s_wait_alu 0xfffe
	s_cbranch_vccz .LBB136_49
.LBB136_5:                              ; =>This Inner Loop Header: Depth=1
	v_cmp_ge_i64_e64 s3, s[24:25], s[4:5]
	v_add_co_u32 v77, s16, v43, s24
	s_wait_alu 0xf1ff
	v_add_co_ci_u32_e64 v78, null, 0, s25, s16
                                        ; implicit-def: $vgpr2_vgpr3_vgpr4_vgpr5_vgpr6_vgpr7_vgpr8_vgpr9_vgpr10_vgpr11_vgpr12_vgpr13_vgpr14_vgpr15_vgpr16_vgpr17
                                        ; implicit-def: $vgpr40_vgpr41
                                        ; implicit-def: $vgpr18_vgpr19_vgpr20_vgpr21_vgpr22_vgpr23_vgpr24_vgpr25_vgpr26_vgpr27_vgpr28_vgpr29_vgpr30_vgpr31_vgpr32_vgpr33
                                        ; implicit-def: $vgpr2
	s_and_b32 vcc_lo, exec_lo, s3
	s_mov_b32 s3, -1
	s_wait_alu 0xfffe
	s_cbranch_vccz .LBB136_27
; %bb.6:                                ;   in Loop: Header=BB136_5 Depth=1
	s_load_b32 s3, s[18:19], 0xc
	v_mov_b32_e32 v38, 0
	v_mov_b32_e32 v39, 0
	s_wait_kmcnt 0x0
	s_and_b32 s3, s3, 0xffff
	s_wait_alu 0xfffe
	v_mad_u32_u24 v2, v42, s3, v44
	s_mov_b32 s3, exec_lo
	s_delay_alu instid0(VALU_DEP_1) | instskip(NEXT) | instid1(VALU_DEP_1)
	v_and_b32_e32 v2, 31, v2
	v_cmpx_gt_u32_e32 8, v2
	s_cbranch_execz .LBB136_10
; %bb.7:                                ;   in Loop: Header=BB136_5 Depth=1
	v_add_co_u32 v2, vcc_lo, v77, v2
	s_wait_alu 0xfffd
	v_add_co_ci_u32_e64 v3, null, 0, v78, vcc_lo
	v_mov_b32_e32 v38, 0
	s_delay_alu instid0(VALU_DEP_3) | instskip(SKIP_1) | instid1(VALU_DEP_3)
	v_add_co_u32 v2, vcc_lo, 0xffffff81, v2
	s_wait_alu 0xfffd
	v_add_co_ci_u32_e64 v3, null, -1, v3, vcc_lo
	v_mov_b32_e32 v39, 0
	s_mov_b32 s16, exec_lo
	s_delay_alu instid0(VALU_DEP_2)
	v_cmpx_gt_i64_e64 s[4:5], v[2:3]
	s_cbranch_execz .LBB136_9
; %bb.8:                                ;   in Loop: Header=BB136_5 Depth=1
	v_lshlrev_b64_e32 v[2:3], 3, v[2:3]
	s_delay_alu instid0(VALU_DEP_1) | instskip(SKIP_1) | instid1(VALU_DEP_2)
	v_add_co_u32 v2, vcc_lo, s12, v2
	s_wait_alu 0xfffd
	v_add_co_ci_u32_e64 v3, null, s13, v3, vcc_lo
	global_load_b64 v[38:39], v[2:3], off
.LBB136_9:                              ;   in Loop: Header=BB136_5 Depth=1
	s_wait_alu 0xfffe
	s_or_b32 exec_lo, exec_lo, s16
.LBB136_10:                             ;   in Loop: Header=BB136_5 Depth=1
	s_wait_alu 0xfffe
	s_or_b32 exec_lo, exec_lo, s3
	v_add_co_u32 v17, vcc_lo, 0xffffff81, v77
	s_wait_alu 0xfffd
	v_add_co_ci_u32_e64 v18, null, -1, v78, vcc_lo
	v_mov_b32_e32 v16, v1
	v_dual_mov_b32 v2, v1 :: v_dual_mov_b32 v3, v1
	v_dual_mov_b32 v4, v1 :: v_dual_mov_b32 v5, v1
	;; [unrolled: 1-line block ×7, first 2 shown]
	v_cmp_gt_i64_e32 vcc_lo, s[4:5], v[17:18]
	s_delay_alu instid0(VALU_DEP_3) | instskip(NEXT) | instid1(VALU_DEP_3)
	v_dual_mov_b32 v33, v16 :: v_dual_mov_b32 v30, v13
	v_dual_mov_b32 v31, v14 :: v_dual_mov_b32 v32, v15
	;; [unrolled: 1-line block ×8, first 2 shown]
	v_mov_b32_e32 v17, v16
	v_mov_b32_e32 v16, v15
	;; [unrolled: 1-line block ×16, first 2 shown]
	s_and_b32 s16, s2, vcc_lo
	s_wait_alu 0xfffe
	s_and_saveexec_b32 s3, s16
	s_cbranch_execz .LBB136_12
; %bb.11:                               ;   in Loop: Header=BB136_5 Depth=1
	v_add_co_u32 v2, vcc_lo, v45, v34
	s_wait_alu 0xfffd
	v_add_co_ci_u32_e64 v3, null, v46, v35, vcc_lo
	v_add_co_u32 v4, vcc_lo, v47, v34
	s_wait_alu 0xfffd
	v_add_co_ci_u32_e64 v5, null, v48, v35, vcc_lo
	global_load_b64 v[2:3], v[2:3], off
	global_load_b64 v[18:19], v[4:5], off
	v_dual_mov_b32 v4, v1 :: v_dual_mov_b32 v5, v1
	v_dual_mov_b32 v6, v1 :: v_dual_mov_b32 v7, v1
	;; [unrolled: 1-line block ×14, first 2 shown]
.LBB136_12:                             ;   in Loop: Header=BB136_5 Depth=1
	s_wait_alu 0xfffe
	s_or_b32 exec_lo, exec_lo, s3
	v_add_co_u32 v40, vcc_lo, 0xffffff82, v77
	s_wait_alu 0xfffd
	v_add_co_ci_u32_e64 v41, null, -1, v78, vcc_lo
	s_delay_alu instid0(VALU_DEP_1)
	v_cmp_gt_i64_e32 vcc_lo, s[4:5], v[40:41]
	s_and_b32 s16, s2, vcc_lo
	s_wait_alu 0xfffe
	s_and_saveexec_b32 s3, s16
	s_cbranch_execz .LBB136_14
; %bb.13:                               ;   in Loop: Header=BB136_5 Depth=1
	v_add_co_u32 v4, vcc_lo, v73, v34
	s_wait_alu 0xfffd
	v_add_co_ci_u32_e64 v5, null, v74, v35, vcc_lo
	v_add_co_u32 v20, vcc_lo, v75, v34
	s_wait_alu 0xfffd
	v_add_co_ci_u32_e64 v21, null, v76, v35, vcc_lo
	global_load_b64 v[4:5], v[4:5], off
	global_load_b64 v[20:21], v[20:21], off
.LBB136_14:                             ;   in Loop: Header=BB136_5 Depth=1
	s_wait_alu 0xfffe
	s_or_b32 exec_lo, exec_lo, s3
	v_add_co_u32 v40, vcc_lo, 0xffffff83, v77
	s_wait_alu 0xfffd
	v_add_co_ci_u32_e64 v41, null, -1, v78, vcc_lo
	s_delay_alu instid0(VALU_DEP_1)
	v_cmp_gt_i64_e32 vcc_lo, s[4:5], v[40:41]
	s_and_b32 s16, s2, vcc_lo
	s_wait_alu 0xfffe
	s_and_saveexec_b32 s3, s16
	s_cbranch_execz .LBB136_16
; %bb.15:                               ;   in Loop: Header=BB136_5 Depth=1
	v_add_co_u32 v6, vcc_lo, v69, v34
	s_wait_alu 0xfffd
	v_add_co_ci_u32_e64 v7, null, v70, v35, vcc_lo
	v_add_co_u32 v22, vcc_lo, v71, v34
	s_wait_alu 0xfffd
	v_add_co_ci_u32_e64 v23, null, v72, v35, vcc_lo
	global_load_b64 v[6:7], v[6:7], off
	global_load_b64 v[22:23], v[22:23], off
.LBB136_16:                             ;   in Loop: Header=BB136_5 Depth=1
	;; [unrolled: 21-line block ×7, first 2 shown]
	s_wait_alu 0xfffe
	s_or_b32 exec_lo, exec_lo, s3
	s_wait_loadcnt 0x0
	v_mul_f64_e32 v[2:3], v[18:19], v[2:3]
	ds_bpermute_b32 v18, v1, v38
	ds_bpermute_b32 v19, v1, v39
	v_mul_f64_e32 v[4:5], v[20:21], v[4:5]
	v_mul_f64_e32 v[6:7], v[22:23], v[6:7]
	;; [unrolled: 1-line block ×3, first 2 shown]
	s_mov_b32 s3, 0
	s_wait_dscnt 0x0
	v_fma_f64 v[2:3], v[2:3], v[18:19], v[36:37]
	ds_bpermute_b32 v18, v1, v38 offset:4
	ds_bpermute_b32 v19, v1, v39 offset:4
	s_wait_dscnt 0x0
	v_fma_f64 v[2:3], v[4:5], v[18:19], v[2:3]
	ds_bpermute_b32 v4, v1, v38 offset:8
	ds_bpermute_b32 v5, v1, v39 offset:8
	;; [unrolled: 4-line block ×3, first 2 shown]
	v_mul_f64_e32 v[6:7], v[26:27], v[10:11]
	s_wait_dscnt 0x0
	v_fma_f64 v[2:3], v[8:9], v[4:5], v[2:3]
	ds_bpermute_b32 v4, v1, v38 offset:16
	ds_bpermute_b32 v5, v1, v39 offset:16
	v_mul_f64_e32 v[8:9], v[28:29], v[12:13]
	s_wait_dscnt 0x0
	v_fma_f64 v[2:3], v[6:7], v[4:5], v[2:3]
	ds_bpermute_b32 v4, v1, v38 offset:20
	ds_bpermute_b32 v5, v1, v39 offset:20
	;; [unrolled: 1-line block ×4, first 2 shown]
	s_wait_dscnt 0x2
	v_fma_f64 v[2:3], v[8:9], v[4:5], v[2:3]
	v_mul_f64_e32 v[4:5], v[30:31], v[14:15]
	s_wait_dscnt 0x0
	s_delay_alu instid0(VALU_DEP_1)
	v_fma_f64 v[40:41], v[4:5], v[6:7], v[2:3]
	ds_bpermute_b32 v2, v1, v38 offset:28
	ds_bpermute_b32 v3, v1, v39 offset:28
.LBB136_27:                             ;   in Loop: Header=BB136_5 Depth=1
	s_wait_alu 0xfffe
	s_and_b32 vcc_lo, exec_lo, s3
	s_wait_alu 0xfffe
	s_cbranch_vccz .LBB136_4
; %bb.28:                               ;   in Loop: Header=BB136_5 Depth=1
	s_load_b32 s3, s[18:19], 0x0
	v_mov_b32_e32 v38, 0
	v_mov_b32_e32 v39, 0
	s_wait_kmcnt 0x0
	s_cmp_lt_u32 ttmp9, s3
	s_cselect_b32 s16, 12, 18
	s_wait_alu 0xfffe
	s_add_nc_u64 s[30:31], s[18:19], s[16:17]
	s_load_u16 s3, s[30:31], 0x0
	s_wait_dscnt 0x1
	s_wait_kmcnt 0x0
	v_mad_u32_u24 v2, v42, s3, v44
	s_mov_b32 s3, exec_lo
	s_delay_alu instid0(VALU_DEP_1) | instskip(NEXT) | instid1(VALU_DEP_1)
	v_and_b32_e32 v2, 31, v2
	v_cmpx_gt_u32_e32 8, v2
	s_cbranch_execz .LBB136_32
; %bb.29:                               ;   in Loop: Header=BB136_5 Depth=1
	v_add_co_u32 v2, vcc_lo, v77, v2
	s_wait_dscnt 0x0
	s_wait_alu 0xfffd
	v_add_co_ci_u32_e64 v3, null, 0, v78, vcc_lo
	v_mov_b32_e32 v38, 0
	v_add_co_u32 v2, vcc_lo, 0xffffff81, v2
	s_wait_alu 0xfffd
	s_delay_alu instid0(VALU_DEP_3) | instskip(SKIP_2) | instid1(VALU_DEP_2)
	v_add_co_ci_u32_e64 v3, null, -1, v3, vcc_lo
	v_mov_b32_e32 v39, 0
	s_mov_b32 s16, exec_lo
	v_cmpx_gt_i64_e64 s[4:5], v[2:3]
	s_cbranch_execz .LBB136_31
; %bb.30:                               ;   in Loop: Header=BB136_5 Depth=1
	v_lshlrev_b64_e32 v[2:3], 3, v[2:3]
	s_delay_alu instid0(VALU_DEP_1) | instskip(SKIP_1) | instid1(VALU_DEP_2)
	v_add_co_u32 v2, vcc_lo, s12, v2
	s_wait_alu 0xfffd
	v_add_co_ci_u32_e64 v3, null, s13, v3, vcc_lo
	global_load_b64 v[38:39], v[2:3], off
.LBB136_31:                             ;   in Loop: Header=BB136_5 Depth=1
	s_wait_alu 0xfffe
	s_or_b32 exec_lo, exec_lo, s16
.LBB136_32:                             ;   in Loop: Header=BB136_5 Depth=1
	s_wait_alu 0xfffe
	s_or_b32 exec_lo, exec_lo, s3
	v_mov_b32_e32 v16, v1
	s_wait_dscnt 0x0
	v_dual_mov_b32 v2, v1 :: v_dual_mov_b32 v3, v1
	v_dual_mov_b32 v4, v1 :: v_dual_mov_b32 v5, v1
	;; [unrolled: 1-line block ×7, first 2 shown]
	v_mov_b32_e32 v33, v16
	s_delay_alu instid0(VALU_DEP_3) | instskip(NEXT) | instid1(VALU_DEP_3)
	v_dual_mov_b32 v29, v12 :: v_dual_mov_b32 v28, v11
	v_dual_mov_b32 v31, v14 :: v_dual_mov_b32 v30, v13
	s_delay_alu instid0(VALU_DEP_4)
	v_dual_mov_b32 v32, v15 :: v_dual_mov_b32 v27, v10
	v_dual_mov_b32 v26, v9 :: v_dual_mov_b32 v25, v8
	;; [unrolled: 1-line block ×6, first 2 shown]
	v_mov_b32_e32 v16, v15
	v_mov_b32_e32 v15, v14
	;; [unrolled: 1-line block ×15, first 2 shown]
	s_and_saveexec_b32 s3, s2
	s_cbranch_execnz .LBB136_40
; %bb.33:                               ;   in Loop: Header=BB136_5 Depth=1
	s_wait_alu 0xfffe
	s_or_b32 exec_lo, exec_lo, s3
	s_and_saveexec_b32 s3, s2
	s_cbranch_execnz .LBB136_41
.LBB136_34:                             ;   in Loop: Header=BB136_5 Depth=1
	s_wait_alu 0xfffe
	s_or_b32 exec_lo, exec_lo, s3
	s_and_saveexec_b32 s3, s2
	s_cbranch_execnz .LBB136_42
.LBB136_35:                             ;   in Loop: Header=BB136_5 Depth=1
	s_wait_alu 0xfffe
	s_or_b32 exec_lo, exec_lo, s3
	s_and_saveexec_b32 s3, s2
	s_cbranch_execnz .LBB136_43
.LBB136_36:                             ;   in Loop: Header=BB136_5 Depth=1
	s_wait_alu 0xfffe
	s_or_b32 exec_lo, exec_lo, s3
	s_and_saveexec_b32 s3, s2
	s_cbranch_execnz .LBB136_44
.LBB136_37:                             ;   in Loop: Header=BB136_5 Depth=1
	s_wait_alu 0xfffe
	s_or_b32 exec_lo, exec_lo, s3
	s_and_saveexec_b32 s3, s2
	s_cbranch_execnz .LBB136_45
.LBB136_38:                             ;   in Loop: Header=BB136_5 Depth=1
	s_wait_alu 0xfffe
	s_or_b32 exec_lo, exec_lo, s3
	s_and_saveexec_b32 s3, s2
	s_cbranch_execnz .LBB136_46
.LBB136_39:                             ;   in Loop: Header=BB136_5 Depth=1
	s_wait_alu 0xfffe
	s_or_b32 exec_lo, exec_lo, s3
	s_and_saveexec_b32 s3, s2
	s_cbranch_execz .LBB136_3
	s_branch .LBB136_47
.LBB136_40:                             ;   in Loop: Header=BB136_5 Depth=1
	v_add_co_u32 v2, vcc_lo, v45, v34
	s_wait_alu 0xfffd
	v_add_co_ci_u32_e64 v3, null, v46, v35, vcc_lo
	v_add_co_u32 v4, vcc_lo, v47, v34
	s_wait_alu 0xfffd
	v_add_co_ci_u32_e64 v5, null, v48, v35, vcc_lo
	global_load_b64 v[2:3], v[2:3], off
	global_load_b64 v[18:19], v[4:5], off
	v_dual_mov_b32 v4, v1 :: v_dual_mov_b32 v5, v1
	v_dual_mov_b32 v6, v1 :: v_dual_mov_b32 v7, v1
	v_dual_mov_b32 v8, v1 :: v_dual_mov_b32 v9, v1
	v_dual_mov_b32 v10, v1 :: v_dual_mov_b32 v11, v1
	v_dual_mov_b32 v12, v1 :: v_dual_mov_b32 v13, v1
	v_dual_mov_b32 v14, v1 :: v_dual_mov_b32 v15, v1
	v_dual_mov_b32 v16, v1 :: v_dual_mov_b32 v17, v1
	v_dual_mov_b32 v20, v1 :: v_dual_mov_b32 v21, v1
	v_dual_mov_b32 v22, v1 :: v_dual_mov_b32 v23, v1
	v_dual_mov_b32 v24, v1 :: v_dual_mov_b32 v25, v1
	v_dual_mov_b32 v26, v1 :: v_dual_mov_b32 v27, v1
	v_dual_mov_b32 v28, v1 :: v_dual_mov_b32 v29, v1
	v_dual_mov_b32 v30, v1 :: v_dual_mov_b32 v31, v1
	v_dual_mov_b32 v32, v1 :: v_dual_mov_b32 v33, v1
	s_wait_alu 0xfffe
	s_or_b32 exec_lo, exec_lo, s3
	s_and_saveexec_b32 s3, s2
	s_cbranch_execz .LBB136_34
.LBB136_41:                             ;   in Loop: Header=BB136_5 Depth=1
	v_add_co_u32 v4, vcc_lo, v73, v34
	s_wait_alu 0xfffd
	v_add_co_ci_u32_e64 v5, null, v74, v35, vcc_lo
	v_add_co_u32 v20, vcc_lo, v75, v34
	s_wait_alu 0xfffd
	v_add_co_ci_u32_e64 v21, null, v76, v35, vcc_lo
	global_load_b64 v[4:5], v[4:5], off
	global_load_b64 v[20:21], v[20:21], off
	s_wait_alu 0xfffe
	s_or_b32 exec_lo, exec_lo, s3
	s_and_saveexec_b32 s3, s2
	s_cbranch_execz .LBB136_35
.LBB136_42:                             ;   in Loop: Header=BB136_5 Depth=1
	v_add_co_u32 v6, vcc_lo, v69, v34
	s_wait_alu 0xfffd
	v_add_co_ci_u32_e64 v7, null, v70, v35, vcc_lo
	v_add_co_u32 v22, vcc_lo, v71, v34
	s_wait_alu 0xfffd
	v_add_co_ci_u32_e64 v23, null, v72, v35, vcc_lo
	global_load_b64 v[6:7], v[6:7], off
	global_load_b64 v[22:23], v[22:23], off
	s_wait_alu 0xfffe
	s_or_b32 exec_lo, exec_lo, s3
	s_and_saveexec_b32 s3, s2
	s_cbranch_execz .LBB136_36
.LBB136_43:                             ;   in Loop: Header=BB136_5 Depth=1
	v_add_co_u32 v8, vcc_lo, v65, v34
	s_wait_alu 0xfffd
	v_add_co_ci_u32_e64 v9, null, v66, v35, vcc_lo
	v_add_co_u32 v24, vcc_lo, v67, v34
	s_wait_alu 0xfffd
	v_add_co_ci_u32_e64 v25, null, v68, v35, vcc_lo
	global_load_b64 v[8:9], v[8:9], off
	global_load_b64 v[24:25], v[24:25], off
	s_wait_alu 0xfffe
	s_or_b32 exec_lo, exec_lo, s3
	s_and_saveexec_b32 s3, s2
	s_cbranch_execz .LBB136_37
.LBB136_44:                             ;   in Loop: Header=BB136_5 Depth=1
	v_add_co_u32 v10, vcc_lo, v61, v34
	s_wait_alu 0xfffd
	v_add_co_ci_u32_e64 v11, null, v62, v35, vcc_lo
	v_add_co_u32 v26, vcc_lo, v63, v34
	s_wait_alu 0xfffd
	v_add_co_ci_u32_e64 v27, null, v64, v35, vcc_lo
	global_load_b64 v[10:11], v[10:11], off
	global_load_b64 v[26:27], v[26:27], off
	s_wait_alu 0xfffe
	s_or_b32 exec_lo, exec_lo, s3
	s_and_saveexec_b32 s3, s2
	s_cbranch_execz .LBB136_38
.LBB136_45:                             ;   in Loop: Header=BB136_5 Depth=1
	v_add_co_u32 v12, vcc_lo, v57, v34
	s_wait_alu 0xfffd
	v_add_co_ci_u32_e64 v13, null, v58, v35, vcc_lo
	v_add_co_u32 v28, vcc_lo, v59, v34
	s_wait_alu 0xfffd
	v_add_co_ci_u32_e64 v29, null, v60, v35, vcc_lo
	global_load_b64 v[12:13], v[12:13], off
	global_load_b64 v[28:29], v[28:29], off
	s_wait_alu 0xfffe
	s_or_b32 exec_lo, exec_lo, s3
	s_and_saveexec_b32 s3, s2
	s_cbranch_execz .LBB136_39
.LBB136_46:                             ;   in Loop: Header=BB136_5 Depth=1
	v_add_co_u32 v14, vcc_lo, v53, v34
	s_wait_alu 0xfffd
	v_add_co_ci_u32_e64 v15, null, v54, v35, vcc_lo
	v_add_co_u32 v30, vcc_lo, v55, v34
	s_wait_alu 0xfffd
	v_add_co_ci_u32_e64 v31, null, v56, v35, vcc_lo
	global_load_b64 v[14:15], v[14:15], off
	global_load_b64 v[30:31], v[30:31], off
	s_wait_alu 0xfffe
	s_or_b32 exec_lo, exec_lo, s3
	s_and_saveexec_b32 s3, s2
	s_cbranch_execz .LBB136_3
.LBB136_47:                             ;   in Loop: Header=BB136_5 Depth=1
	v_add_co_u32 v16, vcc_lo, v49, v34
	s_wait_alu 0xfffd
	v_add_co_ci_u32_e64 v17, null, v50, v35, vcc_lo
	v_add_co_u32 v32, vcc_lo, v51, v34
	s_wait_alu 0xfffd
	v_add_co_ci_u32_e64 v33, null, v52, v35, vcc_lo
	global_load_b64 v[16:17], v[16:17], off
	global_load_b64 v[32:33], v[32:33], off
	s_branch .LBB136_3
.LBB136_48:
                                        ; implicit-def: $vgpr36_vgpr37
	s_branch .LBB136_50
.LBB136_49:
	s_cbranch_execnz .LBB136_82
.LBB136_50:
	v_mov_b32_e32 v36, 0
	v_mov_b32_e32 v37, 0
	s_and_not1_b32 vcc_lo, exec_lo, s29
	s_wait_alu 0xfffe
	s_cbranch_vccnz .LBB136_82
; %bb.51:
	v_bfe_u32 v68, v0, 10, 10
	v_dual_mov_b32 v1, 0 :: v_dual_and_b32 v70, 0x3ff, v0
	s_lshl_b64 s[18:19], s[14:15], 3
	s_mov_b32 s3, 0
	s_delay_alu instid0(VALU_DEP_2) | instskip(SKIP_2) | instid1(VALU_DEP_3)
	v_dual_mov_b32 v66, 0 :: v_dual_lshlrev_b32 v69, 3, v68
	v_dual_mov_b32 v67, 0 :: v_dual_lshlrev_b32 v8, 6, v68
	v_dual_mov_b32 v5, v1 :: v_dual_add_nc_u32 v4, s28, v70
	v_add_co_u32 v10, s2, v69, s14
	s_wait_alu 0xf1ff
	v_add_co_ci_u32_e64 v11, null, 0, 0, s2
	s_delay_alu instid0(VALU_DEP_3) | instskip(NEXT) | instid1(VALU_DEP_3)
	v_lshlrev_b64_e32 v[34:35], 3, v[4:5]
	v_mul_lo_u32 v6, s7, v10
	v_mad_co_u64_u32 v[2:3], null, s6, v10, 0
	s_delay_alu instid0(VALU_DEP_4) | instskip(SKIP_2) | instid1(VALU_DEP_1)
	v_mul_lo_u32 v7, s6, v11
	s_load_b32 s2, s[0:1], 0x44
	s_mov_b32 s17, s3
	v_add3_u32 v3, v3, v7, v6
	v_add_co_u32 v6, s16, v8, s18
	s_wait_alu 0xf1ff
	v_add_co_ci_u32_e64 v7, null, 0, s19, s16
	s_delay_alu instid0(VALU_DEP_3) | instskip(NEXT) | instid1(VALU_DEP_3)
	v_lshlrev_b64_e32 v[4:5], 3, v[2:3]
	v_add_co_u32 v8, vcc_lo, v6, 8
	s_wait_alu 0xfffd
	s_delay_alu instid0(VALU_DEP_3) | instskip(NEXT) | instid1(VALU_DEP_3)
	v_add_co_ci_u32_e64 v9, null, 0, v7, vcc_lo
	v_add_co_u32 v71, vcc_lo, s8, v4
	s_wait_alu 0xfffd
	v_add_co_ci_u32_e64 v72, null, s9, v5, vcc_lo
	v_add_co_u32 v73, vcc_lo, s10, v4
	s_wait_alu 0xfffd
	;; [unrolled: 3-line block ×5, first 2 shown]
	v_add_co_ci_u32_e64 v18, null, 0, v7, vcc_lo
	v_add_co_u32 v19, vcc_lo, v6, 40
	v_mad_co_u64_u32 v[40:41], null, s6, v4, s[8:9]
	v_mul_lo_u32 v5, s6, v5
	v_mul_lo_u32 v15, s7, v4
	v_mad_co_u64_u32 v[54:55], null, s6, v4, s[10:11]
	s_wait_alu 0xfffd
	v_add_co_ci_u32_e64 v20, null, 0, v7, vcc_lo
	v_add_co_u32 v22, vcc_lo, v6, 48
	s_wait_alu 0xfffd
	v_add_co_ci_u32_e64 v24, null, 0, v7, vcc_lo
	v_add_co_u32 v6, vcc_lo, v6, 56
	v_mad_co_u64_u32 v[38:39], null, s6, v8, s[8:9]
	v_mul_lo_u32 v9, s6, v9
	v_mul_lo_u32 v12, s7, v8
	v_mad_co_u64_u32 v[52:53], null, s6, v8, s[10:11]
	s_wait_alu 0xfffd
	v_add_co_ci_u32_e64 v7, null, 0, v7, vcc_lo
	v_add_co_u32 v4, vcc_lo, v10, 7
	v_add3_u32 v41, v15, v41, v5
	v_add3_u32 v55, v15, v55, v5
	s_wait_alu 0xfffd
	v_add_co_ci_u32_e64 v5, null, 0, v11, vcc_lo
	v_mul_lo_u32 v26, s6, v7
	v_add_co_u32 v7, vcc_lo, v10, 6
	v_add3_u32 v39, v12, v39, v9
	v_add3_u32 v53, v12, v53, v9
	s_wait_alu 0xfffd
	v_add_co_ci_u32_e64 v12, null, 0, v11, vcc_lo
	v_mul_lo_u32 v8, s7, v4
	v_mul_lo_u32 v9, s6, v5
	v_mad_co_u64_u32 v[4:5], null, s6, v4, 0
	v_mad_co_u64_u32 v[42:43], null, s6, v13, s[8:9]
	v_mul_lo_u32 v17, s7, v13
	v_mad_co_u64_u32 v[50:51], null, s6, v6, s[8:9]
	v_mul_lo_u32 v27, s7, v6
	v_mad_co_u64_u32 v[56:57], null, s6, v13, s[10:11]
	v_mad_co_u64_u32 v[64:65], null, s6, v6, s[10:11]
	v_mul_lo_u32 v13, s7, v7
	v_mul_lo_u32 v12, s6, v12
	v_mad_co_u64_u32 v[6:7], null, s6, v7, 0
	v_add3_u32 v5, v5, v9, v8
	v_add_co_u32 v8, vcc_lo, v10, 5
	s_wait_alu 0xfffd
	v_add_co_ci_u32_e64 v9, null, 0, v11, vcc_lo
	s_delay_alu instid0(VALU_DEP_3) | instskip(SKIP_2) | instid1(VALU_DEP_4)
	v_lshlrev_b64_e32 v[4:5], 3, v[4:5]
	v_add3_u32 v7, v7, v12, v13
	v_mul_lo_u32 v12, s7, v8
	v_mul_lo_u32 v13, s6, v9
	v_mad_co_u64_u32 v[8:9], null, s6, v8, 0
	s_delay_alu instid0(VALU_DEP_4)
	v_lshlrev_b64_e32 v[6:7], 3, v[6:7]
	v_add_co_u32 v75, vcc_lo, s8, v4
	s_wait_alu 0xfffd
	v_add_co_ci_u32_e64 v76, null, s9, v5, vcc_lo
	v_add_co_u32 v77, vcc_lo, s10, v4
	s_wait_alu 0xfffd
	v_add_co_ci_u32_e64 v78, null, s11, v5, vcc_lo
	v_add_co_u32 v79, vcc_lo, s8, v6
	v_mul_lo_u32 v14, s6, v14
	v_add3_u32 v9, v9, v13, v12
	s_wait_alu 0xfffd
	v_add_co_ci_u32_e64 v80, null, s9, v7, vcc_lo
	v_add_co_u32 v12, vcc_lo, v10, 4
	s_wait_kmcnt 0x0
	s_lshl_b32 s16, s2, 7
	v_add_co_u32 v81, s2, s10, v6
	s_wait_alu 0xfffd
	v_add_co_ci_u32_e64 v6, null, 0, v11, vcc_lo
	v_lshlrev_b64_e32 v[4:5], 3, v[8:9]
	v_add_co_u32 v8, vcc_lo, v10, 3
	s_wait_alu 0xfffd
	v_add_co_ci_u32_e64 v9, null, 0, v11, vcc_lo
	v_add3_u32 v43, v17, v43, v14
	v_add3_u32 v57, v17, v57, v14
	s_wait_alu 0xf1ff
	v_add_co_ci_u32_e64 v82, null, s11, v7, s2
	v_mul_lo_u32 v13, s7, v12
	v_mul_lo_u32 v14, s6, v6
	v_mad_co_u64_u32 v[6:7], null, s6, v12, 0
	v_mul_lo_u32 v12, s7, v8
	v_mul_lo_u32 v15, s6, v9
	v_mad_co_u64_u32 v[8:9], null, s6, v8, 0
	v_add_co_u32 v83, vcc_lo, s8, v4
	s_wait_alu 0xfffd
	v_add_co_ci_u32_e64 v84, null, s9, v5, vcc_lo
	v_add3_u32 v7, v7, v14, v13
	v_add_co_u32 v85, vcc_lo, s10, v4
	s_wait_alu 0xfffd
	v_add_co_ci_u32_e64 v86, null, s11, v5, vcc_lo
	v_add_co_u32 v10, vcc_lo, v10, 2
	v_add3_u32 v9, v9, v15, v12
	s_wait_alu 0xfffd
	v_add_co_ci_u32_e64 v11, null, 0, v11, vcc_lo
	v_lshlrev_b64_e32 v[4:5], 3, v[6:7]
	v_mul_lo_u32 v12, s7, v10
	v_lshlrev_b64_e32 v[6:7], 3, v[8:9]
	s_delay_alu instid0(VALU_DEP_4)
	v_mul_lo_u32 v11, s6, v11
	v_mad_co_u64_u32 v[8:9], null, s6, v10, 0
	v_add_co_u32 v87, vcc_lo, s8, v4
	s_wait_alu 0xfffd
	v_add_co_ci_u32_e64 v88, null, s9, v5, vcc_lo
	v_add_co_u32 v89, vcc_lo, s10, v4
	s_wait_alu 0xfffd
	v_add_co_ci_u32_e64 v90, null, s11, v5, vcc_lo
	;; [unrolled: 3-line block ×3, first 2 shown]
	v_add3_u32 v9, v9, v11, v12
	v_add_co_u32 v93, vcc_lo, s10, v6
	s_wait_alu 0xfffd
	v_add_co_ci_u32_e64 v94, null, s11, v7, vcc_lo
	v_add_co_u32 v2, vcc_lo, v2, s6
	s_wait_alu 0xfffd
	v_add_co_ci_u32_e64 v3, null, s7, v3, vcc_lo
	v_lshlrev_b64_e32 v[4:5], 3, v[8:9]
	v_mad_co_u64_u32 v[44:45], null, s6, v16, s[8:9]
	s_delay_alu instid0(VALU_DEP_3)
	v_lshlrev_b64_e32 v[2:3], 3, v[2:3]
	v_mul_lo_u32 v18, s6, v18
	v_mul_lo_u32 v21, s7, v16
	v_mad_co_u64_u32 v[46:47], null, s6, v19, s[8:9]
	v_mul_lo_u32 v20, s6, v20
	v_mul_lo_u32 v23, s7, v19
	v_mad_co_u64_u32 v[48:49], null, s6, v22, s[8:9]
	;; [unrolled: 3-line block ×3, first 2 shown]
	v_mad_co_u64_u32 v[60:61], null, s6, v19, s[10:11]
	v_mad_co_u64_u32 v[62:63], null, s6, v22, s[10:11]
	v_add_co_u32 v95, vcc_lo, s8, v4
	s_wait_alu 0xfffd
	v_add_co_ci_u32_e64 v96, null, s9, v5, vcc_lo
	v_add_co_u32 v97, vcc_lo, s10, v4
	s_wait_alu 0xfffd
	v_add_co_ci_u32_e64 v98, null, s11, v5, vcc_lo
	;; [unrolled: 3-line block ×3, first 2 shown]
	v_add_co_u32 v101, vcc_lo, s10, v2
	v_add3_u32 v45, v21, v45, v18
	v_add3_u32 v47, v23, v47, v20
	v_add3_u32 v49, v25, v49, v24
	v_add3_u32 v51, v27, v51, v26
	v_add3_u32 v59, v21, v59, v18
	v_add3_u32 v61, v23, v61, v20
	v_add3_u32 v63, v25, v63, v24
	v_add3_u32 v65, v27, v65, v26
	s_wait_alu 0xfffd
	v_add_co_ci_u32_e64 v102, null, s11, v3, vcc_lo
	s_wait_alu 0xfffe
	s_mul_u64 s[18:19], s[6:7], s[16:17]
	s_add_nc_u64 s[8:9], s[0:1], 64
	s_wait_alu 0xfffe
	s_lshl_b64 s[10:11], s[18:19], 3
	s_add_nc_u64 s[18:19], s[14:15], 0x7f
.LBB136_52:                             ; =>This Inner Loop Header: Depth=1
	s_wait_alu 0xfffe
	v_cmp_ge_i64_e64 s2, s[18:19], s[4:5]
	v_add_co_u32 v103, s20, v69, s18
	s_wait_alu 0xf1ff
	v_add_co_ci_u32_e64 v104, null, 0, s19, s20
                                        ; implicit-def: $vgpr36_vgpr37
	s_and_b32 vcc_lo, exec_lo, s2
	s_mov_b32 s2, -1
	s_wait_alu 0xfffe
	s_cbranch_vccz .LBB136_74
; %bb.53:                               ;   in Loop: Header=BB136_52 Depth=1
	s_load_b32 s2, s[8:9], 0xc
	v_mov_b32_e32 v36, 0
	v_mov_b32_e32 v37, 0
	s_wait_kmcnt 0x0
	s_and_b32 s2, s2, 0xffff
	s_wait_alu 0xfffe
	v_mad_u32_u24 v2, v68, s2, v70
	s_mov_b32 s2, exec_lo
	s_delay_alu instid0(VALU_DEP_1) | instskip(NEXT) | instid1(VALU_DEP_1)
	v_and_b32_e32 v2, 31, v2
	v_cmpx_gt_u32_e32 8, v2
	s_cbranch_execz .LBB136_57
; %bb.54:                               ;   in Loop: Header=BB136_52 Depth=1
	v_add_co_u32 v2, vcc_lo, v103, v2
	s_wait_alu 0xfffd
	v_add_co_ci_u32_e64 v3, null, 0, v104, vcc_lo
	v_mov_b32_e32 v36, 0
	s_delay_alu instid0(VALU_DEP_3) | instskip(SKIP_1) | instid1(VALU_DEP_3)
	v_add_co_u32 v2, vcc_lo, 0xffffff81, v2
	s_wait_alu 0xfffd
	v_add_co_ci_u32_e64 v3, null, -1, v3, vcc_lo
	v_mov_b32_e32 v37, 0
	s_mov_b32 s20, exec_lo
	s_delay_alu instid0(VALU_DEP_2)
	v_cmpx_gt_i64_e64 s[4:5], v[2:3]
	s_cbranch_execz .LBB136_56
; %bb.55:                               ;   in Loop: Header=BB136_52 Depth=1
	v_lshlrev_b64_e32 v[2:3], 3, v[2:3]
	s_delay_alu instid0(VALU_DEP_1) | instskip(SKIP_1) | instid1(VALU_DEP_2)
	v_add_co_u32 v2, vcc_lo, s12, v2
	s_wait_alu 0xfffd
	v_add_co_ci_u32_e64 v3, null, s13, v3, vcc_lo
	global_load_b64 v[36:37], v[2:3], off
.LBB136_56:                             ;   in Loop: Header=BB136_52 Depth=1
	s_wait_alu 0xfffe
	s_or_b32 exec_lo, exec_lo, s20
.LBB136_57:                             ;   in Loop: Header=BB136_52 Depth=1
	s_wait_alu 0xfffe
	s_or_b32 exec_lo, exec_lo, s2
	v_add_co_u32 v17, vcc_lo, 0xffffff81, v103
	s_wait_alu 0xfffd
	v_add_co_ci_u32_e64 v18, null, -1, v104, vcc_lo
	v_mov_b32_e32 v16, v1
	v_dual_mov_b32 v2, v1 :: v_dual_mov_b32 v3, v1
	v_dual_mov_b32 v4, v1 :: v_dual_mov_b32 v5, v1
	;; [unrolled: 1-line block ×7, first 2 shown]
	v_cmp_gt_i64_e32 vcc_lo, s[4:5], v[17:18]
	s_delay_alu instid0(VALU_DEP_3) | instskip(NEXT) | instid1(VALU_DEP_3)
	v_dual_mov_b32 v33, v16 :: v_dual_mov_b32 v30, v13
	v_dual_mov_b32 v31, v14 :: v_dual_mov_b32 v32, v15
	;; [unrolled: 1-line block ×8, first 2 shown]
	v_mov_b32_e32 v17, v16
	v_mov_b32_e32 v16, v15
	;; [unrolled: 1-line block ×16, first 2 shown]
	s_and_saveexec_b32 s2, vcc_lo
	s_cbranch_execz .LBB136_59
; %bb.58:                               ;   in Loop: Header=BB136_52 Depth=1
	v_add_co_u32 v2, vcc_lo, v71, v34
	s_wait_alu 0xfffd
	v_add_co_ci_u32_e64 v3, null, v72, v35, vcc_lo
	v_add_co_u32 v4, vcc_lo, v73, v34
	s_wait_alu 0xfffd
	v_add_co_ci_u32_e64 v5, null, v74, v35, vcc_lo
	global_load_b64 v[2:3], v[2:3], off
	global_load_b64 v[18:19], v[4:5], off
	v_dual_mov_b32 v4, v1 :: v_dual_mov_b32 v5, v1
	v_dual_mov_b32 v6, v1 :: v_dual_mov_b32 v7, v1
	;; [unrolled: 1-line block ×14, first 2 shown]
.LBB136_59:                             ;   in Loop: Header=BB136_52 Depth=1
	s_wait_alu 0xfffe
	s_or_b32 exec_lo, exec_lo, s2
	v_add_co_u32 v105, vcc_lo, 0xffffff82, v103
	s_wait_alu 0xfffd
	v_add_co_ci_u32_e64 v106, null, -1, v104, vcc_lo
	s_mov_b32 s2, exec_lo
	v_cmpx_gt_i64_e64 s[4:5], v[105:106]
	s_cbranch_execz .LBB136_61
; %bb.60:                               ;   in Loop: Header=BB136_52 Depth=1
	v_add_co_u32 v4, vcc_lo, v99, v34
	s_wait_alu 0xfffd
	v_add_co_ci_u32_e64 v5, null, v100, v35, vcc_lo
	v_add_co_u32 v20, vcc_lo, v101, v34
	s_wait_alu 0xfffd
	v_add_co_ci_u32_e64 v21, null, v102, v35, vcc_lo
	global_load_b64 v[4:5], v[4:5], off
	global_load_b64 v[20:21], v[20:21], off
.LBB136_61:                             ;   in Loop: Header=BB136_52 Depth=1
	s_wait_alu 0xfffe
	s_or_b32 exec_lo, exec_lo, s2
	v_add_co_u32 v105, vcc_lo, 0xffffff83, v103
	s_wait_alu 0xfffd
	v_add_co_ci_u32_e64 v106, null, -1, v104, vcc_lo
	s_mov_b32 s2, exec_lo
	v_cmpx_gt_i64_e64 s[4:5], v[105:106]
	s_cbranch_execz .LBB136_63
; %bb.62:                               ;   in Loop: Header=BB136_52 Depth=1
	v_add_co_u32 v6, vcc_lo, v95, v34
	s_wait_alu 0xfffd
	v_add_co_ci_u32_e64 v7, null, v96, v35, vcc_lo
	v_add_co_u32 v22, vcc_lo, v97, v34
	s_wait_alu 0xfffd
	v_add_co_ci_u32_e64 v23, null, v98, v35, vcc_lo
	global_load_b64 v[6:7], v[6:7], off
	global_load_b64 v[22:23], v[22:23], off
.LBB136_63:                             ;   in Loop: Header=BB136_52 Depth=1
	s_wait_alu 0xfffe
	s_or_b32 exec_lo, exec_lo, s2
	v_add_co_u32 v105, vcc_lo, 0xffffff84, v103
	s_wait_alu 0xfffd
	v_add_co_ci_u32_e64 v106, null, -1, v104, vcc_lo
	s_mov_b32 s2, exec_lo
	v_cmpx_gt_i64_e64 s[4:5], v[105:106]
	s_cbranch_execz .LBB136_65
; %bb.64:                               ;   in Loop: Header=BB136_52 Depth=1
	v_add_co_u32 v8, vcc_lo, v91, v34
	s_wait_alu 0xfffd
	v_add_co_ci_u32_e64 v9, null, v92, v35, vcc_lo
	v_add_co_u32 v24, vcc_lo, v93, v34
	s_wait_alu 0xfffd
	v_add_co_ci_u32_e64 v25, null, v94, v35, vcc_lo
	global_load_b64 v[8:9], v[8:9], off
	global_load_b64 v[24:25], v[24:25], off
.LBB136_65:                             ;   in Loop: Header=BB136_52 Depth=1
	s_wait_alu 0xfffe
	s_or_b32 exec_lo, exec_lo, s2
	v_add_co_u32 v105, vcc_lo, 0xffffff85, v103
	s_wait_alu 0xfffd
	v_add_co_ci_u32_e64 v106, null, -1, v104, vcc_lo
	s_mov_b32 s2, exec_lo
	v_cmpx_gt_i64_e64 s[4:5], v[105:106]
	s_cbranch_execz .LBB136_67
; %bb.66:                               ;   in Loop: Header=BB136_52 Depth=1
	v_add_co_u32 v10, vcc_lo, v87, v34
	s_wait_alu 0xfffd
	v_add_co_ci_u32_e64 v11, null, v88, v35, vcc_lo
	v_add_co_u32 v26, vcc_lo, v89, v34
	s_wait_alu 0xfffd
	v_add_co_ci_u32_e64 v27, null, v90, v35, vcc_lo
	global_load_b64 v[10:11], v[10:11], off
	global_load_b64 v[26:27], v[26:27], off
.LBB136_67:                             ;   in Loop: Header=BB136_52 Depth=1
	s_wait_alu 0xfffe
	s_or_b32 exec_lo, exec_lo, s2
	v_add_co_u32 v105, vcc_lo, 0xffffff86, v103
	s_wait_alu 0xfffd
	v_add_co_ci_u32_e64 v106, null, -1, v104, vcc_lo
	s_mov_b32 s2, exec_lo
	v_cmpx_gt_i64_e64 s[4:5], v[105:106]
	s_cbranch_execz .LBB136_69
; %bb.68:                               ;   in Loop: Header=BB136_52 Depth=1
	v_add_co_u32 v12, vcc_lo, v83, v34
	s_wait_alu 0xfffd
	v_add_co_ci_u32_e64 v13, null, v84, v35, vcc_lo
	v_add_co_u32 v28, vcc_lo, v85, v34
	s_wait_alu 0xfffd
	v_add_co_ci_u32_e64 v29, null, v86, v35, vcc_lo
	global_load_b64 v[12:13], v[12:13], off
	global_load_b64 v[28:29], v[28:29], off
.LBB136_69:                             ;   in Loop: Header=BB136_52 Depth=1
	s_wait_alu 0xfffe
	s_or_b32 exec_lo, exec_lo, s2
	v_add_co_u32 v105, vcc_lo, 0xffffff87, v103
	s_wait_alu 0xfffd
	v_add_co_ci_u32_e64 v106, null, -1, v104, vcc_lo
	s_mov_b32 s2, exec_lo
	v_cmpx_gt_i64_e64 s[4:5], v[105:106]
	s_cbranch_execz .LBB136_71
; %bb.70:                               ;   in Loop: Header=BB136_52 Depth=1
	v_add_co_u32 v14, vcc_lo, v79, v34
	s_wait_alu 0xfffd
	v_add_co_ci_u32_e64 v15, null, v80, v35, vcc_lo
	v_add_co_u32 v30, vcc_lo, v81, v34
	s_wait_alu 0xfffd
	v_add_co_ci_u32_e64 v31, null, v82, v35, vcc_lo
	global_load_b64 v[14:15], v[14:15], off
	global_load_b64 v[30:31], v[30:31], off
.LBB136_71:                             ;   in Loop: Header=BB136_52 Depth=1
	s_wait_alu 0xfffe
	s_or_b32 exec_lo, exec_lo, s2
	v_add_co_u32 v105, vcc_lo, 0xffffff88, v103
	s_wait_alu 0xfffd
	v_add_co_ci_u32_e64 v106, null, -1, v104, vcc_lo
	s_mov_b32 s2, exec_lo
	v_cmpx_gt_i64_e64 s[4:5], v[105:106]
	s_cbranch_execz .LBB136_73
; %bb.72:                               ;   in Loop: Header=BB136_52 Depth=1
	v_add_co_u32 v16, vcc_lo, v75, v34
	s_wait_alu 0xfffd
	v_add_co_ci_u32_e64 v17, null, v76, v35, vcc_lo
	v_add_co_u32 v32, vcc_lo, v77, v34
	s_wait_alu 0xfffd
	v_add_co_ci_u32_e64 v33, null, v78, v35, vcc_lo
	global_load_b64 v[16:17], v[16:17], off
	global_load_b64 v[32:33], v[32:33], off
.LBB136_73:                             ;   in Loop: Header=BB136_52 Depth=1
	s_wait_alu 0xfffe
	s_or_b32 exec_lo, exec_lo, s2
	s_wait_loadcnt 0x0
	v_mul_f64_e32 v[2:3], v[18:19], v[2:3]
	ds_bpermute_b32 v18, v1, v36
	ds_bpermute_b32 v19, v1, v37
	v_mul_f64_e32 v[4:5], v[20:21], v[4:5]
	v_mul_f64_e32 v[6:7], v[22:23], v[6:7]
	;; [unrolled: 1-line block ×3, first 2 shown]
	s_mov_b32 s2, 0
	s_wait_dscnt 0x0
	v_fma_f64 v[2:3], v[2:3], v[18:19], v[66:67]
	ds_bpermute_b32 v18, v1, v36 offset:4
	ds_bpermute_b32 v19, v1, v37 offset:4
	s_wait_dscnt 0x0
	v_fma_f64 v[2:3], v[4:5], v[18:19], v[2:3]
	ds_bpermute_b32 v4, v1, v36 offset:8
	ds_bpermute_b32 v5, v1, v37 offset:8
	;; [unrolled: 4-line block ×3, first 2 shown]
	v_mul_f64_e32 v[6:7], v[26:27], v[10:11]
	s_wait_dscnt 0x0
	v_fma_f64 v[2:3], v[8:9], v[4:5], v[2:3]
	ds_bpermute_b32 v4, v1, v36 offset:16
	ds_bpermute_b32 v5, v1, v37 offset:16
	v_mul_f64_e32 v[8:9], v[28:29], v[12:13]
	s_wait_dscnt 0x0
	v_fma_f64 v[2:3], v[6:7], v[4:5], v[2:3]
	ds_bpermute_b32 v4, v1, v36 offset:20
	ds_bpermute_b32 v5, v1, v37 offset:20
	;; [unrolled: 5-line block ×3, first 2 shown]
	s_wait_dscnt 0x0
	v_fma_f64 v[2:3], v[6:7], v[4:5], v[2:3]
	v_mul_f64_e32 v[4:5], v[32:33], v[16:17]
	ds_bpermute_b32 v6, v1, v36 offset:28
	ds_bpermute_b32 v7, v1, v37 offset:28
	s_wait_dscnt 0x0
	v_fma_f64 v[36:37], v[4:5], v[6:7], v[2:3]
.LBB136_74:                             ;   in Loop: Header=BB136_52 Depth=1
	s_wait_alu 0xfffe
	s_and_b32 vcc_lo, exec_lo, s2
	s_wait_alu 0xfffe
	s_cbranch_vccz .LBB136_80
; %bb.75:                               ;   in Loop: Header=BB136_52 Depth=1
	s_load_b32 s2, s[8:9], 0x0
	s_wait_kmcnt 0x0
	s_cmp_lt_u32 ttmp9, s2
	s_cselect_b32 s2, 12, 18
	s_wait_alu 0xfffe
	s_add_nc_u64 s[20:21], s[8:9], s[2:3]
	s_load_u16 s2, s[20:21], 0x0
	s_wait_kmcnt 0x0
	v_mad_u32_u24 v2, v68, s2, v70
	s_mov_b32 s2, exec_lo
	s_delay_alu instid0(VALU_DEP_1) | instskip(SKIP_2) | instid1(VALU_DEP_3)
	v_and_b32_e32 v4, 31, v2
	v_mov_b32_e32 v2, 0
	v_mov_b32_e32 v3, 0
	v_cmpx_gt_u32_e32 8, v4
	s_cbranch_execz .LBB136_79
; %bb.76:                               ;   in Loop: Header=BB136_52 Depth=1
	v_add_co_u32 v2, vcc_lo, v103, v4
	s_wait_alu 0xfffd
	v_add_co_ci_u32_e64 v3, null, 0, v104, vcc_lo
	s_mov_b32 s20, exec_lo
	v_add_co_u32 v4, vcc_lo, 0xffffff81, v2
	s_wait_alu 0xfffd
	v_add_co_ci_u32_e64 v5, null, -1, v3, vcc_lo
	v_mov_b32_e32 v2, 0
	v_mov_b32_e32 v3, 0
	s_delay_alu instid0(VALU_DEP_3)
	v_cmpx_gt_i64_e64 s[4:5], v[4:5]
	s_cbranch_execz .LBB136_78
; %bb.77:                               ;   in Loop: Header=BB136_52 Depth=1
	v_lshlrev_b64_e32 v[2:3], 3, v[4:5]
	s_delay_alu instid0(VALU_DEP_1) | instskip(SKIP_1) | instid1(VALU_DEP_2)
	v_add_co_u32 v2, vcc_lo, s12, v2
	s_wait_alu 0xfffd
	v_add_co_ci_u32_e64 v3, null, s13, v3, vcc_lo
	global_load_b64 v[2:3], v[2:3], off
.LBB136_78:                             ;   in Loop: Header=BB136_52 Depth=1
	s_wait_alu 0xfffe
	s_or_b32 exec_lo, exec_lo, s20
.LBB136_79:                             ;   in Loop: Header=BB136_52 Depth=1
	s_wait_alu 0xfffe
	s_or_b32 exec_lo, exec_lo, s2
	v_add_co_u32 v4, vcc_lo, v71, v34
	s_wait_alu 0xfffd
	v_add_co_ci_u32_e64 v5, null, v72, v35, vcc_lo
	v_add_co_u32 v6, vcc_lo, v73, v34
	s_wait_alu 0xfffd
	v_add_co_ci_u32_e64 v7, null, v74, v35, vcc_lo
	global_load_b64 v[4:5], v[4:5], off
	global_load_b64 v[6:7], v[6:7], off
	v_add_co_u32 v8, vcc_lo, v38, v34
	s_wait_alu 0xfffd
	v_add_co_ci_u32_e64 v9, null, v39, v35, vcc_lo
	v_add_co_u32 v10, vcc_lo, v52, v34
	s_wait_alu 0xfffd
	v_add_co_ci_u32_e64 v11, null, v53, v35, vcc_lo
	global_load_b64 v[8:9], v[8:9], off
	global_load_b64 v[10:11], v[10:11], off
	;; [unrolled: 8-line block ×8, first 2 shown]
	s_wait_loadcnt 0xe
	v_mul_f64_e32 v[4:5], v[4:5], v[6:7]
	ds_bpermute_b32 v6, v1, v2
	ds_bpermute_b32 v7, v1, v3
	s_wait_loadcnt 0xc
	v_mul_f64_e32 v[8:9], v[8:9], v[10:11]
	s_wait_loadcnt 0xa
	v_mul_f64_e32 v[10:11], v[12:13], v[14:15]
	s_wait_dscnt 0x0
	v_fma_f64 v[4:5], v[4:5], v[6:7], v[66:67]
	ds_bpermute_b32 v6, v1, v2 offset:4
	ds_bpermute_b32 v7, v1, v3 offset:4
	s_wait_dscnt 0x0
	v_fma_f64 v[4:5], v[8:9], v[6:7], v[4:5]
	ds_bpermute_b32 v6, v1, v2 offset:8
	ds_bpermute_b32 v7, v1, v3 offset:8
	s_wait_loadcnt 0x8
	v_mul_f64_e32 v[8:9], v[16:17], v[18:19]
	s_wait_dscnt 0x0
	v_fma_f64 v[4:5], v[10:11], v[6:7], v[4:5]
	ds_bpermute_b32 v6, v1, v2 offset:12
	ds_bpermute_b32 v7, v1, v3 offset:12
	s_wait_loadcnt 0x6
	v_mul_f64_e32 v[10:11], v[20:21], v[22:23]
	;; [unrolled: 6-line block ×4, first 2 shown]
	s_wait_dscnt 0x0
	v_fma_f64 v[4:5], v[8:9], v[6:7], v[4:5]
	ds_bpermute_b32 v6, v1, v2 offset:24
	ds_bpermute_b32 v7, v1, v3 offset:24
	ds_bpermute_b32 v2, v1, v2 offset:28
	ds_bpermute_b32 v3, v1, v3 offset:28
	s_wait_dscnt 0x2
	v_fma_f64 v[4:5], v[10:11], v[6:7], v[4:5]
	s_wait_loadcnt 0x0
	v_mul_f64_e32 v[6:7], v[32:33], v[36:37]
	s_wait_dscnt 0x0
	s_delay_alu instid0(VALU_DEP_1)
	v_fma_f64 v[36:37], v[6:7], v[2:3], v[4:5]
.LBB136_80:                             ;   in Loop: Header=BB136_52 Depth=1
	v_add_co_u32 v71, vcc_lo, v71, s10
	s_wait_alu 0xfffd
	v_add_co_ci_u32_e64 v72, null, s11, v72, vcc_lo
	v_add_co_u32 v73, vcc_lo, v73, s10
	s_wait_alu 0xfffd
	v_add_co_ci_u32_e64 v74, null, s11, v74, vcc_lo
	;; [unrolled: 3-line block ×27, first 2 shown]
	v_add_co_u32 v97, vcc_lo, v97, s10
	s_add_nc_u64 s[14:15], s[14:15], s[16:17]
	s_wait_alu 0xfffd
	v_add_co_ci_u32_e64 v98, null, s11, v98, vcc_lo
	v_add_co_u32 v99, vcc_lo, v99, s10
	s_wait_alu 0xfffe
	v_cmp_ge_i64_e64 s2, s[14:15], s[4:5]
	s_wait_alu 0xfffd
	v_add_co_ci_u32_e64 v100, null, s11, v100, vcc_lo
	v_add_co_u32 v101, vcc_lo, v101, s10
	s_wait_alu 0xfffd
	v_add_co_ci_u32_e64 v102, null, s11, v102, vcc_lo
	s_and_b32 vcc_lo, exec_lo, s2
	s_add_nc_u64 s[18:19], s[18:19], s[16:17]
	s_wait_alu 0xfffe
	s_cbranch_vccnz .LBB136_82
; %bb.81:                               ;   in Loop: Header=BB136_52 Depth=1
	v_dual_mov_b32 v67, v37 :: v_dual_mov_b32 v66, v36
	s_branch .LBB136_52
.LBB136_82:
	v_and_b32_e32 v5, 0x3ff, v0
	v_bfe_u32 v1, v0, 10, 10
	v_bfe_u32 v2, v0, 5, 5
	v_mov_b32_e32 v0, 0
	s_mov_b32 s2, exec_lo
	s_delay_alu instid0(VALU_DEP_3) | instskip(NEXT) | instid1(VALU_DEP_2)
	v_mad_u32_u24 v3, v1, 33, v5
	v_dual_mov_b32 v1, v0 :: v_dual_add_nc_u32 v4, v2, v1
	s_delay_alu instid0(VALU_DEP_2)
	v_lshl_add_u32 v2, v3, 3, 0
	ds_store_b64 v2, v[36:37]
	ds_store_b64 v2, v[0:1] offset:4224
	s_wait_dscnt 0x0
	s_barrier_signal -1
	s_barrier_wait -1
	global_inv scope:SCOPE_SE
	v_cmpx_gt_u32_e32 32, v4
	s_cbranch_execz .LBB136_92
; %bb.83:
	s_load_b64 s[2:3], s[0:1], 0x30
	v_and_b32_e32 v0, 31, v5
	s_delay_alu instid0(VALU_DEP_1)
	v_cmp_gt_u32_e32 vcc_lo, 16, v0
	v_mul_u32_u24_e32 v6, 33, v0
                                        ; implicit-def: $vgpr0_vgpr1
	s_and_saveexec_b32 s0, vcc_lo
	s_cbranch_execz .LBB136_85
; %bb.84:
	v_lshlrev_b32_e32 v0, 3, v4
	s_delay_alu instid0(VALU_DEP_2) | instskip(NEXT) | instid1(VALU_DEP_1)
	v_lshlrev_b32_e32 v1, 3, v6
	v_add3_u32 v0, 0, v0, v1
	ds_load_b64 v[0:1], v0
.LBB136_85:
	s_or_b32 exec_lo, exec_lo, s0
	v_mbcnt_lo_u32_b32 v10, -1, 0
	s_mov_b32 s4, ttmp9
	s_mov_b32 s5, 0
	s_wait_alu 0xfffe
	s_lshl_b64 s[4:5], s[4:5], 5
	v_xor_b32_e32 v2, 8, v10
	s_wait_kmcnt 0x0
	s_cmp_eq_u64 s[2:3], 0
	s_cselect_b32 s8, -1, 0
	s_delay_alu instid0(VALU_DEP_1) | instskip(NEXT) | instid1(VALU_DEP_1)
	v_cmp_gt_i32_e64 s0, 32, v2
	v_cndmask_b32_e64 v2, v10, v2, s0
	s_delay_alu instid0(VALU_DEP_1)
	v_lshlrev_b32_e32 v7, 2, v2
	s_wait_dscnt 0x0
	ds_bpermute_b32 v2, v7, v0
	ds_bpermute_b32 v3, v7, v1
	s_wait_dscnt 0x0
	v_add_f64_e32 v[0:1], v[0:1], v[2:3]
	v_xor_b32_e32 v2, 4, v10
	s_delay_alu instid0(VALU_DEP_1) | instskip(SKIP_1) | instid1(VALU_DEP_1)
	v_cmp_gt_i32_e64 s0, 32, v2
	s_wait_alu 0xf1ff
	v_cndmask_b32_e64 v2, v10, v2, s0
	s_delay_alu instid0(VALU_DEP_1)
	v_lshlrev_b32_e32 v8, 2, v2
	ds_bpermute_b32 v2, v8, v0
	ds_bpermute_b32 v3, v8, v1
	s_wait_dscnt 0x0
	v_add_f64_e32 v[0:1], v[0:1], v[2:3]
	v_xor_b32_e32 v2, 2, v10
	s_delay_alu instid0(VALU_DEP_1) | instskip(SKIP_1) | instid1(VALU_DEP_1)
	v_cmp_gt_i32_e64 s0, 32, v2
	s_wait_alu 0xf1ff
	v_cndmask_b32_e64 v2, v10, v2, s0
	s_delay_alu instid0(VALU_DEP_1)
	v_lshlrev_b32_e32 v9, 2, v2
	ds_bpermute_b32 v2, v9, v0
	ds_bpermute_b32 v3, v9, v1
	s_wait_dscnt 0x0
	v_add_f64_e32 v[0:1], v[0:1], v[2:3]
	v_xor_b32_e32 v2, 1, v10
	s_delay_alu instid0(VALU_DEP_1) | instskip(SKIP_1) | instid1(VALU_DEP_1)
	v_cmp_gt_i32_e64 s0, 32, v2
	s_wait_alu 0xf1ff
	v_cndmask_b32_e64 v2, v10, v2, s0
	v_cmp_ne_u32_e64 s0, 0, v5
	s_delay_alu instid0(VALU_DEP_2)
	v_lshlrev_b32_e32 v10, 2, v2
	ds_bpermute_b32 v2, v10, v0
	ds_bpermute_b32 v3, v10, v1
	s_wait_dscnt 0x0
	v_add_f64_e32 v[0:1], v[0:1], v[2:3]
	s_wait_alu 0xfffe
	v_or_b32_e32 v2, s4, v4
	v_mov_b32_e32 v3, s5
	s_delay_alu instid0(VALU_DEP_1)
	v_cmp_le_i64_e64 s1, s[6:7], v[2:3]
	s_or_b32 s1, s0, s1
	s_wait_alu 0xfffe
	s_nor_b32 s1, s8, s1
	s_wait_alu 0xfffe
	s_and_saveexec_b32 s9, s1
	s_cbranch_execz .LBB136_87
; %bb.86:
	v_lshlrev_b64_e32 v[2:3], 3, v[2:3]
	s_delay_alu instid0(VALU_DEP_1) | instskip(SKIP_1) | instid1(VALU_DEP_2)
	v_add_co_u32 v2, s1, s2, v2
	s_wait_alu 0xf1ff
	v_add_co_ci_u32_e64 v3, null, s3, v3, s1
	global_store_b64 v[2:3], v[0:1], off
.LBB136_87:
	s_wait_alu 0xfffe
	s_or_b32 exec_lo, exec_lo, s9
	v_cmp_gt_u32_e64 s1, 16, v4
	s_and_b32 exec_lo, exec_lo, s1
	s_cbranch_execz .LBB136_92
; %bb.88:
	s_and_saveexec_b32 s1, vcc_lo
	s_cbranch_execz .LBB136_90
; %bb.89:
	v_lshlrev_b32_e32 v0, 3, v4
	v_lshlrev_b32_e32 v1, 3, v6
	s_delay_alu instid0(VALU_DEP_1)
	v_add3_u32 v0, 0, v0, v1
	ds_load_b64 v[0:1], v0 offset:128
.LBB136_90:
	s_wait_alu 0xfffe
	s_or_b32 exec_lo, exec_lo, s1
	s_wait_dscnt 0x0
	ds_bpermute_b32 v2, v7, v0
	ds_bpermute_b32 v3, v7, v1
	v_dual_mov_b32 v6, s5 :: v_dual_add_nc_u32 v5, 16, v4
	s_delay_alu instid0(VALU_DEP_1) | instskip(NEXT) | instid1(VALU_DEP_1)
	v_or_b32_e32 v5, s4, v5
	v_cmp_le_i64_e32 vcc_lo, s[6:7], v[5:6]
	s_or_b32 s0, s0, vcc_lo
	s_wait_alu 0xfffe
	s_nor_b32 s0, s8, s0
	s_wait_dscnt 0x0
	v_add_f64_e32 v[0:1], v[0:1], v[2:3]
	ds_bpermute_b32 v2, v8, v0
	ds_bpermute_b32 v3, v8, v1
	s_wait_dscnt 0x0
	v_add_f64_e32 v[0:1], v[0:1], v[2:3]
	ds_bpermute_b32 v2, v9, v0
	ds_bpermute_b32 v3, v9, v1
	;; [unrolled: 4-line block ×3, first 2 shown]
	s_wait_alu 0xfffe
	s_and_saveexec_b32 s1, s0
	s_wait_alu 0xfffe
	s_xor_b32 s1, exec_lo, s1
	s_cbranch_execz .LBB136_92
; %bb.91:
	s_wait_dscnt 0x0
	v_add_f64_e32 v[0:1], v[0:1], v[2:3]
	v_add_co_u32 v2, s0, s4, v4
	s_wait_alu 0xf1ff
	v_add_co_ci_u32_e64 v3, null, s5, 0, s0
	s_delay_alu instid0(VALU_DEP_1) | instskip(NEXT) | instid1(VALU_DEP_1)
	v_lshlrev_b64_e32 v[2:3], 3, v[2:3]
	v_add_co_u32 v2, vcc_lo, s2, v2
	s_wait_alu 0xfffd
	s_delay_alu instid0(VALU_DEP_2)
	v_add_co_ci_u32_e64 v3, null, s3, v3, vcc_lo
	global_store_b64 v[2:3], v[0:1], off offset:128
.LBB136_92:
	s_nop 0
	s_sendmsg sendmsg(MSG_DEALLOC_VGPRS)
	s_endpgm
	.section	.rodata,"a",@progbits
	.p2align	6, 0x0
	.amdhsa_kernel _ZN2at6native12_GLOBAL__N_135GammaBetaBackwardCUDAKernelTemplateIddLj32ELj16ELj128ELb0ELb0ELb1EEEvllPKT_S5_PKT0_S8_PS3_S9_
		.amdhsa_group_segment_fixed_size 0
		.amdhsa_private_segment_fixed_size 0
		.amdhsa_kernarg_size 320
		.amdhsa_user_sgpr_count 2
		.amdhsa_user_sgpr_dispatch_ptr 0
		.amdhsa_user_sgpr_queue_ptr 0
		.amdhsa_user_sgpr_kernarg_segment_ptr 1
		.amdhsa_user_sgpr_dispatch_id 0
		.amdhsa_user_sgpr_private_segment_size 0
		.amdhsa_wavefront_size32 1
		.amdhsa_uses_dynamic_stack 0
		.amdhsa_enable_private_segment 0
		.amdhsa_system_sgpr_workgroup_id_x 1
		.amdhsa_system_sgpr_workgroup_id_y 1
		.amdhsa_system_sgpr_workgroup_id_z 0
		.amdhsa_system_sgpr_workgroup_info 0
		.amdhsa_system_vgpr_workitem_id 1
		.amdhsa_next_free_vgpr 107
		.amdhsa_next_free_sgpr 32
		.amdhsa_reserve_vcc 1
		.amdhsa_float_round_mode_32 0
		.amdhsa_float_round_mode_16_64 0
		.amdhsa_float_denorm_mode_32 3
		.amdhsa_float_denorm_mode_16_64 3
		.amdhsa_fp16_overflow 0
		.amdhsa_workgroup_processor_mode 1
		.amdhsa_memory_ordered 1
		.amdhsa_forward_progress 1
		.amdhsa_inst_pref_size 81
		.amdhsa_round_robin_scheduling 0
		.amdhsa_exception_fp_ieee_invalid_op 0
		.amdhsa_exception_fp_denorm_src 0
		.amdhsa_exception_fp_ieee_div_zero 0
		.amdhsa_exception_fp_ieee_overflow 0
		.amdhsa_exception_fp_ieee_underflow 0
		.amdhsa_exception_fp_ieee_inexact 0
		.amdhsa_exception_int_div_zero 0
	.end_amdhsa_kernel
	.section	.text._ZN2at6native12_GLOBAL__N_135GammaBetaBackwardCUDAKernelTemplateIddLj32ELj16ELj128ELb0ELb0ELb1EEEvllPKT_S5_PKT0_S8_PS3_S9_,"axG",@progbits,_ZN2at6native12_GLOBAL__N_135GammaBetaBackwardCUDAKernelTemplateIddLj32ELj16ELj128ELb0ELb0ELb1EEEvllPKT_S5_PKT0_S8_PS3_S9_,comdat
.Lfunc_end136:
	.size	_ZN2at6native12_GLOBAL__N_135GammaBetaBackwardCUDAKernelTemplateIddLj32ELj16ELj128ELb0ELb0ELb1EEEvllPKT_S5_PKT0_S8_PS3_S9_, .Lfunc_end136-_ZN2at6native12_GLOBAL__N_135GammaBetaBackwardCUDAKernelTemplateIddLj32ELj16ELj128ELb0ELb0ELb1EEEvllPKT_S5_PKT0_S8_PS3_S9_
                                        ; -- End function
	.set _ZN2at6native12_GLOBAL__N_135GammaBetaBackwardCUDAKernelTemplateIddLj32ELj16ELj128ELb0ELb0ELb1EEEvllPKT_S5_PKT0_S8_PS3_S9_.num_vgpr, 107
	.set _ZN2at6native12_GLOBAL__N_135GammaBetaBackwardCUDAKernelTemplateIddLj32ELj16ELj128ELb0ELb0ELb1EEEvllPKT_S5_PKT0_S8_PS3_S9_.num_agpr, 0
	.set _ZN2at6native12_GLOBAL__N_135GammaBetaBackwardCUDAKernelTemplateIddLj32ELj16ELj128ELb0ELb0ELb1EEEvllPKT_S5_PKT0_S8_PS3_S9_.numbered_sgpr, 32
	.set _ZN2at6native12_GLOBAL__N_135GammaBetaBackwardCUDAKernelTemplateIddLj32ELj16ELj128ELb0ELb0ELb1EEEvllPKT_S5_PKT0_S8_PS3_S9_.num_named_barrier, 0
	.set _ZN2at6native12_GLOBAL__N_135GammaBetaBackwardCUDAKernelTemplateIddLj32ELj16ELj128ELb0ELb0ELb1EEEvllPKT_S5_PKT0_S8_PS3_S9_.private_seg_size, 0
	.set _ZN2at6native12_GLOBAL__N_135GammaBetaBackwardCUDAKernelTemplateIddLj32ELj16ELj128ELb0ELb0ELb1EEEvllPKT_S5_PKT0_S8_PS3_S9_.uses_vcc, 1
	.set _ZN2at6native12_GLOBAL__N_135GammaBetaBackwardCUDAKernelTemplateIddLj32ELj16ELj128ELb0ELb0ELb1EEEvllPKT_S5_PKT0_S8_PS3_S9_.uses_flat_scratch, 0
	.set _ZN2at6native12_GLOBAL__N_135GammaBetaBackwardCUDAKernelTemplateIddLj32ELj16ELj128ELb0ELb0ELb1EEEvllPKT_S5_PKT0_S8_PS3_S9_.has_dyn_sized_stack, 0
	.set _ZN2at6native12_GLOBAL__N_135GammaBetaBackwardCUDAKernelTemplateIddLj32ELj16ELj128ELb0ELb0ELb1EEEvllPKT_S5_PKT0_S8_PS3_S9_.has_recursion, 0
	.set _ZN2at6native12_GLOBAL__N_135GammaBetaBackwardCUDAKernelTemplateIddLj32ELj16ELj128ELb0ELb0ELb1EEEvllPKT_S5_PKT0_S8_PS3_S9_.has_indirect_call, 0
	.section	.AMDGPU.csdata,"",@progbits
; Kernel info:
; codeLenInByte = 10248
; TotalNumSgprs: 34
; NumVgprs: 107
; ScratchSize: 0
; MemoryBound: 1
; FloatMode: 240
; IeeeMode: 1
; LDSByteSize: 0 bytes/workgroup (compile time only)
; SGPRBlocks: 0
; VGPRBlocks: 13
; NumSGPRsForWavesPerEU: 34
; NumVGPRsForWavesPerEU: 107
; Occupancy: 12
; WaveLimiterHint : 0
; COMPUTE_PGM_RSRC2:SCRATCH_EN: 0
; COMPUTE_PGM_RSRC2:USER_SGPR: 2
; COMPUTE_PGM_RSRC2:TRAP_HANDLER: 0
; COMPUTE_PGM_RSRC2:TGID_X_EN: 1
; COMPUTE_PGM_RSRC2:TGID_Y_EN: 1
; COMPUTE_PGM_RSRC2:TGID_Z_EN: 0
; COMPUTE_PGM_RSRC2:TIDIG_COMP_CNT: 1
	.section	.text._ZN2at6native12_GLOBAL__N_135GammaBetaBackwardCUDAKernelTemplateIddLj32ELj32ELj256ELb0ELb1ELb1EEEvllPKT_S5_PKT0_S8_PS3_S9_,"axG",@progbits,_ZN2at6native12_GLOBAL__N_135GammaBetaBackwardCUDAKernelTemplateIddLj32ELj32ELj256ELb0ELb1ELb1EEEvllPKT_S5_PKT0_S8_PS3_S9_,comdat
	.globl	_ZN2at6native12_GLOBAL__N_135GammaBetaBackwardCUDAKernelTemplateIddLj32ELj32ELj256ELb0ELb1ELb1EEEvllPKT_S5_PKT0_S8_PS3_S9_ ; -- Begin function _ZN2at6native12_GLOBAL__N_135GammaBetaBackwardCUDAKernelTemplateIddLj32ELj32ELj256ELb0ELb1ELb1EEEvllPKT_S5_PKT0_S8_PS3_S9_
	.p2align	8
	.type	_ZN2at6native12_GLOBAL__N_135GammaBetaBackwardCUDAKernelTemplateIddLj32ELj32ELj256ELb0ELb1ELb1EEEvllPKT_S5_PKT0_S8_PS3_S9_,@function
_ZN2at6native12_GLOBAL__N_135GammaBetaBackwardCUDAKernelTemplateIddLj32ELj32ELj256ELb0ELb1ELb1EEEvllPKT_S5_PKT0_S8_PS3_S9_: ; @_ZN2at6native12_GLOBAL__N_135GammaBetaBackwardCUDAKernelTemplateIddLj32ELj32ELj256ELb0ELb1ELb1EEEvllPKT_S5_PKT0_S8_PS3_S9_
; %bb.0:
	s_load_b128 s[4:7], s[0:1], 0x0
	s_lshl_b32 s12, ttmp7, 8
	s_mov_b32 s13, 0
	v_bfe_u32 v11, v0, 10, 10
	s_wait_kmcnt 0x0
	v_cmp_gt_i64_e64 s2, s[4:5], s[12:13]
	s_and_b32 vcc_lo, exec_lo, s2
	s_cbranch_vccnz .LBB137_2
; %bb.1:
	v_bfe_u32 v1, v0, 10, 10
	s_mov_b32 s2, s13
	s_branch .LBB137_3
.LBB137_2:
	s_mov_b32 s2, -1
                                        ; implicit-def: $vgpr1
.LBB137_3:
	v_mov_b32_e32 v6, 0
	v_dual_mov_b32 v7, 0 :: v_dual_and_b32 v10, 0x3ff, v0
	s_and_not1_b32 vcc_lo, exec_lo, s2
	s_cbranch_vccnz .LBB137_11
; %bb.4:
	s_load_b32 s2, s[0:1], 0x4c
	v_dual_mov_b32 v1, 0 :: v_dual_lshlrev_b32 v0, 3, v11
	s_clause 0x2
	s_load_b32 s3, s[0:1], 0x44
	s_load_b128 s[8:11], s[0:1], 0x10
	s_load_b64 s[16:17], s[0:1], 0x28
	s_mov_b32 s15, 0
	v_dual_mov_b32 v12, 4 :: v_dual_mov_b32 v13, 8
	v_add_co_u32 v2, s14, v0, s12
	s_delay_alu instid0(VALU_DEP_1) | instskip(SKIP_1) | instid1(VALU_DEP_3)
	v_add_co_ci_u32_e64 v3, null, 0, 0, s14
	v_lshl_add_u32 v0, ttmp9, 5, v10
	v_mul_lo_u32 v8, s7, v2
	v_mad_co_u64_u32 v[4:5], null, s6, v2, 0
	s_delay_alu instid0(VALU_DEP_4)
	v_mul_lo_u32 v9, s6, v3
	v_dual_mov_b32 v14, 12 :: v_dual_mov_b32 v15, 16
	v_dual_mov_b32 v16, 20 :: v_dual_mov_b32 v17, 28
	s_wait_kmcnt 0x0
	s_and_b32 s2, s2, 0xffff
	s_lshl_b32 s14, s3, 8
	v_mad_u32_u24 v6, v11, s2, v10
	s_delay_alu instid0(VALU_DEP_4)
	v_add3_u32 v5, v5, v9, v8
	s_wait_alu 0xfffe
	s_mul_u64 s[18:19], s[6:7], s[14:15]
	s_lshl_b64 s[6:7], s[6:7], 3
	s_lshl_b64 s[18:19], s[18:19], 3
	v_and_b32_e32 v20, 31, v6
	v_lshlrev_b64_e32 v[6:7], 3, v[0:1]
	v_lshlrev_b64_e32 v[4:5], 3, v[4:5]
	v_mov_b32_e32 v0, 24
	s_delay_alu instid0(VALU_DEP_4) | instskip(NEXT) | instid1(VALU_DEP_1)
	v_add_co_u32 v2, vcc_lo, v2, v20
	v_add_co_ci_u32_e64 v3, null, 0, v3, vcc_lo
	s_delay_alu instid0(VALU_DEP_4) | instskip(SKIP_2) | instid1(VALU_DEP_3)
	v_add_co_u32 v18, vcc_lo, v4, v6
	s_wait_alu 0xfffd
	v_add_co_ci_u32_e64 v19, null, v5, v7, vcc_lo
	v_lshlrev_b64_e32 v[8:9], 3, v[2:3]
	v_mov_b32_e32 v6, 0
	v_cmp_gt_u32_e64 s2, 8, v20
	v_mov_b32_e32 v7, 0
	s_delay_alu instid0(VALU_DEP_4)
	v_add_co_u32 v4, vcc_lo, s16, v8
	s_wait_alu 0xfffd
	v_add_co_ci_u32_e64 v5, null, s17, v9, vcc_lo
	s_lshl_b64 s[16:17], s[14:15], 3
	s_branch .LBB137_7
.LBB137_5:                              ;   in Loop: Header=BB137_7 Depth=1
	s_or_b32 exec_lo, exec_lo, s20
.LBB137_6:                              ;   in Loop: Header=BB137_7 Depth=1
	s_wait_alu 0xfffe
	s_or_b32 exec_lo, exec_lo, s3
	v_add_co_u32 v20, vcc_lo, s8, v18
	s_wait_alu 0xfffd
	v_add_co_ci_u32_e64 v21, null, s9, v19, vcc_lo
	v_add_co_u32 v22, vcc_lo, s10, v18
	s_wait_alu 0xfffd
	v_add_co_ci_u32_e64 v23, null, s11, v19, vcc_lo
	global_load_b64 v[24:25], v[20:21], off
	global_load_b64 v[26:27], v[22:23], off
	v_add_co_u32 v20, vcc_lo, v20, s6
	s_wait_alu 0xfffd
	v_add_co_ci_u32_e64 v21, null, s7, v21, vcc_lo
	v_add_co_u32 v22, vcc_lo, v22, s6
	s_wait_alu 0xfffd
	v_add_co_ci_u32_e64 v23, null, s7, v23, vcc_lo
	global_load_b64 v[28:29], v[20:21], off
	global_load_b64 v[30:31], v[22:23], off
	;; [unrolled: 8-line block ×8, first 2 shown]
	v_add_co_u32 v4, vcc_lo, v4, s16
	s_add_nc_u64 s[12:13], s[12:13], s[14:15]
	s_wait_alu 0xfffd
	v_add_co_ci_u32_e64 v5, null, s17, v5, vcc_lo
	v_add_co_u32 v2, vcc_lo, v2, s14
	s_wait_alu 0xfffe
	v_cmp_lt_i64_e64 s3, s[12:13], s[4:5]
	s_wait_alu 0xfffd
	v_add_co_ci_u32_e64 v3, null, 0, v3, vcc_lo
	v_add_co_u32 v18, vcc_lo, v18, s18
	s_wait_alu 0xfffd
	v_add_co_ci_u32_e64 v19, null, s19, v19, vcc_lo
	s_and_b32 vcc_lo, exec_lo, s3
	s_wait_loadcnt 0xe
	v_mul_f64_e32 v[24:25], v[24:25], v[26:27]
	ds_bpermute_b32 v26, v1, v8
	ds_bpermute_b32 v27, v1, v9
	s_wait_loadcnt 0xc
	v_mul_f64_e32 v[28:29], v[28:29], v[30:31]
	s_wait_dscnt 0x0
	v_fma_f64 v[6:7], v[24:25], v[26:27], v[6:7]
	ds_bpermute_b32 v24, v12, v8
	ds_bpermute_b32 v25, v12, v9
	s_wait_loadcnt 0xa
	v_mul_f64_e32 v[26:27], v[32:33], v[34:35]
	s_wait_dscnt 0x0
	v_fma_f64 v[6:7], v[28:29], v[24:25], v[6:7]
	ds_bpermute_b32 v24, v13, v8
	ds_bpermute_b32 v25, v13, v9
	s_wait_loadcnt 0x8
	v_mul_f64_e32 v[28:29], v[36:37], v[38:39]
	s_wait_loadcnt 0x0
	v_mul_f64_e32 v[20:21], v[20:21], v[22:23]
	s_wait_dscnt 0x0
	v_fma_f64 v[6:7], v[26:27], v[24:25], v[6:7]
	ds_bpermute_b32 v24, v14, v8
	ds_bpermute_b32 v25, v14, v9
	v_mul_f64_e32 v[26:27], v[40:41], v[42:43]
	s_wait_dscnt 0x0
	v_fma_f64 v[6:7], v[28:29], v[24:25], v[6:7]
	ds_bpermute_b32 v24, v15, v8
	ds_bpermute_b32 v25, v15, v9
	;; [unrolled: 5-line block ×4, first 2 shown]
	ds_bpermute_b32 v8, v17, v8
	ds_bpermute_b32 v9, v17, v9
	s_wait_dscnt 0x2
	v_fma_f64 v[6:7], v[26:27], v[24:25], v[6:7]
	s_wait_dscnt 0x0
	s_delay_alu instid0(VALU_DEP_1)
	v_fma_f64 v[6:7], v[20:21], v[8:9], v[6:7]
	s_wait_alu 0xfffe
	s_cbranch_vccz .LBB137_10
.LBB137_7:                              ; =>This Inner Loop Header: Depth=1
	v_mov_b32_e32 v8, 0
	v_mov_b32_e32 v9, 0
	s_and_saveexec_b32 s3, s2
	s_cbranch_execz .LBB137_6
; %bb.8:                                ;   in Loop: Header=BB137_7 Depth=1
	v_mov_b32_e32 v8, 0
	v_mov_b32_e32 v9, 0
	s_mov_b32 s20, exec_lo
	v_cmpx_gt_i64_e64 s[4:5], v[2:3]
	s_cbranch_execz .LBB137_5
; %bb.9:                                ;   in Loop: Header=BB137_7 Depth=1
	global_load_b64 v[8:9], v[4:5], off
	s_branch .LBB137_5
.LBB137_10:
	v_mov_b32_e32 v1, v11
.LBB137_11:
	s_load_b64 s[0:1], s[0:1], 0x30
	s_delay_alu instid0(VALU_DEP_1) | instskip(SKIP_3) | instid1(VALU_DEP_3)
	v_mad_u32_u24 v0, v1, 33, v10
	v_mov_b32_e32 v2, 0
	v_lshrrev_b32_e32 v4, 5, v10
	s_mov_b32 s2, exec_lo
	v_lshl_add_u32 v5, v0, 3, 0
	s_delay_alu instid0(VALU_DEP_2)
	v_dual_mov_b32 v3, v2 :: v_dual_add_nc_u32 v0, v4, v1
	ds_store_b64 v5, v[6:7]
	ds_store_b64 v5, v[2:3] offset:8448
	s_wait_dscnt 0x0
	s_barrier_signal -1
	s_barrier_wait -1
	global_inv scope:SCOPE_SE
	v_cmpx_gt_u32_e32 32, v0
	s_cbranch_execz .LBB137_14
; %bb.12:
	v_mbcnt_lo_u32_b32 v5, -1, 0
	v_and_b32_e32 v1, 31, v10
	s_wait_kmcnt 0x0
	s_cmp_lg_u64 s[0:1], 0
	s_cselect_b32 s2, -1, 0
	v_xor_b32_e32 v3, 16, v5
	v_mul_u32_u24_e32 v1, 0x108, v1
	s_delay_alu instid0(VALU_DEP_2) | instskip(SKIP_2) | instid1(VALU_DEP_1)
	v_cmp_gt_i32_e32 vcc_lo, 32, v3
	s_wait_alu 0xfffd
	v_dual_cndmask_b32 v3, v5, v3 :: v_dual_lshlrev_b32 v2, 3, v0
	v_add3_u32 v1, 0, v2, v1
	s_delay_alu instid0(VALU_DEP_2)
	v_lshlrev_b32_e32 v4, 2, v3
	ds_load_b64 v[1:2], v1
	s_wait_dscnt 0x0
	ds_bpermute_b32 v3, v4, v1
	ds_bpermute_b32 v4, v4, v2
	s_wait_dscnt 0x0
	v_add_f64_e32 v[1:2], v[1:2], v[3:4]
	v_xor_b32_e32 v3, 8, v5
	s_delay_alu instid0(VALU_DEP_1) | instskip(SKIP_2) | instid1(VALU_DEP_1)
	v_cmp_gt_i32_e32 vcc_lo, 32, v3
	s_wait_alu 0xfffd
	v_cndmask_b32_e32 v3, v5, v3, vcc_lo
	v_lshlrev_b32_e32 v4, 2, v3
	ds_bpermute_b32 v3, v4, v1
	ds_bpermute_b32 v4, v4, v2
	s_wait_dscnt 0x0
	v_add_f64_e32 v[1:2], v[1:2], v[3:4]
	v_xor_b32_e32 v3, 4, v5
	s_delay_alu instid0(VALU_DEP_1) | instskip(SKIP_2) | instid1(VALU_DEP_1)
	v_cmp_gt_i32_e32 vcc_lo, 32, v3
	s_wait_alu 0xfffd
	v_cndmask_b32_e32 v3, v5, v3, vcc_lo
	v_lshlrev_b32_e32 v4, 2, v3
	;; [unrolled: 10-line block ×3, first 2 shown]
	ds_bpermute_b32 v3, v4, v1
	ds_bpermute_b32 v4, v4, v2
	s_wait_dscnt 0x0
	v_add_f64_e32 v[1:2], v[1:2], v[3:4]
	v_xor_b32_e32 v3, 1, v5
	s_delay_alu instid0(VALU_DEP_1) | instskip(SKIP_3) | instid1(VALU_DEP_2)
	v_cmp_gt_i32_e32 vcc_lo, 32, v3
	s_wait_alu 0xfffd
	v_cndmask_b32_e32 v3, v5, v3, vcc_lo
	v_cmp_eq_u32_e32 vcc_lo, 0, v10
	v_lshlrev_b32_e32 v4, 2, v3
	s_wait_alu 0xfffe
	s_and_b32 s2, vcc_lo, s2
	ds_bpermute_b32 v3, v4, v1
	ds_bpermute_b32 v4, v4, v2
	s_wait_alu 0xfffe
	s_and_b32 exec_lo, exec_lo, s2
	s_cbranch_execz .LBB137_14
; %bb.13:
	s_wait_dscnt 0x0
	v_add_f64_e32 v[2:3], v[1:2], v[3:4]
	v_mov_b32_e32 v1, 0
	s_mov_b32 s2, ttmp9
	s_mov_b32 s3, 0
	s_wait_alu 0xfffe
	s_lshl_b64 s[2:3], s[2:3], 8
	v_lshlrev_b64_e32 v[0:1], 3, v[0:1]
	s_wait_alu 0xfffe
	s_add_nc_u64 s[0:1], s[0:1], s[2:3]
	s_wait_alu 0xfffe
	s_delay_alu instid0(VALU_DEP_1)
	v_add_co_u32 v0, vcc_lo, s0, v0
	s_wait_alu 0xfffd
	v_add_co_ci_u32_e64 v1, null, s1, v1, vcc_lo
	global_store_b64 v[0:1], v[2:3], off
.LBB137_14:
	s_endpgm
	.section	.rodata,"a",@progbits
	.p2align	6, 0x0
	.amdhsa_kernel _ZN2at6native12_GLOBAL__N_135GammaBetaBackwardCUDAKernelTemplateIddLj32ELj32ELj256ELb0ELb1ELb1EEEvllPKT_S5_PKT0_S8_PS3_S9_
		.amdhsa_group_segment_fixed_size 0
		.amdhsa_private_segment_fixed_size 0
		.amdhsa_kernarg_size 320
		.amdhsa_user_sgpr_count 2
		.amdhsa_user_sgpr_dispatch_ptr 0
		.amdhsa_user_sgpr_queue_ptr 0
		.amdhsa_user_sgpr_kernarg_segment_ptr 1
		.amdhsa_user_sgpr_dispatch_id 0
		.amdhsa_user_sgpr_private_segment_size 0
		.amdhsa_wavefront_size32 1
		.amdhsa_uses_dynamic_stack 0
		.amdhsa_enable_private_segment 0
		.amdhsa_system_sgpr_workgroup_id_x 1
		.amdhsa_system_sgpr_workgroup_id_y 1
		.amdhsa_system_sgpr_workgroup_id_z 0
		.amdhsa_system_sgpr_workgroup_info 0
		.amdhsa_system_vgpr_workitem_id 1
		.amdhsa_next_free_vgpr 52
		.amdhsa_next_free_sgpr 21
		.amdhsa_reserve_vcc 1
		.amdhsa_float_round_mode_32 0
		.amdhsa_float_round_mode_16_64 0
		.amdhsa_float_denorm_mode_32 3
		.amdhsa_float_denorm_mode_16_64 3
		.amdhsa_fp16_overflow 0
		.amdhsa_workgroup_processor_mode 1
		.amdhsa_memory_ordered 1
		.amdhsa_forward_progress 1
		.amdhsa_inst_pref_size 15
		.amdhsa_round_robin_scheduling 0
		.amdhsa_exception_fp_ieee_invalid_op 0
		.amdhsa_exception_fp_denorm_src 0
		.amdhsa_exception_fp_ieee_div_zero 0
		.amdhsa_exception_fp_ieee_overflow 0
		.amdhsa_exception_fp_ieee_underflow 0
		.amdhsa_exception_fp_ieee_inexact 0
		.amdhsa_exception_int_div_zero 0
	.end_amdhsa_kernel
	.section	.text._ZN2at6native12_GLOBAL__N_135GammaBetaBackwardCUDAKernelTemplateIddLj32ELj32ELj256ELb0ELb1ELb1EEEvllPKT_S5_PKT0_S8_PS3_S9_,"axG",@progbits,_ZN2at6native12_GLOBAL__N_135GammaBetaBackwardCUDAKernelTemplateIddLj32ELj32ELj256ELb0ELb1ELb1EEEvllPKT_S5_PKT0_S8_PS3_S9_,comdat
.Lfunc_end137:
	.size	_ZN2at6native12_GLOBAL__N_135GammaBetaBackwardCUDAKernelTemplateIddLj32ELj32ELj256ELb0ELb1ELb1EEEvllPKT_S5_PKT0_S8_PS3_S9_, .Lfunc_end137-_ZN2at6native12_GLOBAL__N_135GammaBetaBackwardCUDAKernelTemplateIddLj32ELj32ELj256ELb0ELb1ELb1EEEvllPKT_S5_PKT0_S8_PS3_S9_
                                        ; -- End function
	.set _ZN2at6native12_GLOBAL__N_135GammaBetaBackwardCUDAKernelTemplateIddLj32ELj32ELj256ELb0ELb1ELb1EEEvllPKT_S5_PKT0_S8_PS3_S9_.num_vgpr, 52
	.set _ZN2at6native12_GLOBAL__N_135GammaBetaBackwardCUDAKernelTemplateIddLj32ELj32ELj256ELb0ELb1ELb1EEEvllPKT_S5_PKT0_S8_PS3_S9_.num_agpr, 0
	.set _ZN2at6native12_GLOBAL__N_135GammaBetaBackwardCUDAKernelTemplateIddLj32ELj32ELj256ELb0ELb1ELb1EEEvllPKT_S5_PKT0_S8_PS3_S9_.numbered_sgpr, 21
	.set _ZN2at6native12_GLOBAL__N_135GammaBetaBackwardCUDAKernelTemplateIddLj32ELj32ELj256ELb0ELb1ELb1EEEvllPKT_S5_PKT0_S8_PS3_S9_.num_named_barrier, 0
	.set _ZN2at6native12_GLOBAL__N_135GammaBetaBackwardCUDAKernelTemplateIddLj32ELj32ELj256ELb0ELb1ELb1EEEvllPKT_S5_PKT0_S8_PS3_S9_.private_seg_size, 0
	.set _ZN2at6native12_GLOBAL__N_135GammaBetaBackwardCUDAKernelTemplateIddLj32ELj32ELj256ELb0ELb1ELb1EEEvllPKT_S5_PKT0_S8_PS3_S9_.uses_vcc, 1
	.set _ZN2at6native12_GLOBAL__N_135GammaBetaBackwardCUDAKernelTemplateIddLj32ELj32ELj256ELb0ELb1ELb1EEEvllPKT_S5_PKT0_S8_PS3_S9_.uses_flat_scratch, 0
	.set _ZN2at6native12_GLOBAL__N_135GammaBetaBackwardCUDAKernelTemplateIddLj32ELj32ELj256ELb0ELb1ELb1EEEvllPKT_S5_PKT0_S8_PS3_S9_.has_dyn_sized_stack, 0
	.set _ZN2at6native12_GLOBAL__N_135GammaBetaBackwardCUDAKernelTemplateIddLj32ELj32ELj256ELb0ELb1ELb1EEEvllPKT_S5_PKT0_S8_PS3_S9_.has_recursion, 0
	.set _ZN2at6native12_GLOBAL__N_135GammaBetaBackwardCUDAKernelTemplateIddLj32ELj32ELj256ELb0ELb1ELb1EEEvllPKT_S5_PKT0_S8_PS3_S9_.has_indirect_call, 0
	.section	.AMDGPU.csdata,"",@progbits
; Kernel info:
; codeLenInByte = 1832
; TotalNumSgprs: 23
; NumVgprs: 52
; ScratchSize: 0
; MemoryBound: 0
; FloatMode: 240
; IeeeMode: 1
; LDSByteSize: 0 bytes/workgroup (compile time only)
; SGPRBlocks: 0
; VGPRBlocks: 6
; NumSGPRsForWavesPerEU: 23
; NumVGPRsForWavesPerEU: 52
; Occupancy: 16
; WaveLimiterHint : 0
; COMPUTE_PGM_RSRC2:SCRATCH_EN: 0
; COMPUTE_PGM_RSRC2:USER_SGPR: 2
; COMPUTE_PGM_RSRC2:TRAP_HANDLER: 0
; COMPUTE_PGM_RSRC2:TGID_X_EN: 1
; COMPUTE_PGM_RSRC2:TGID_Y_EN: 1
; COMPUTE_PGM_RSRC2:TGID_Z_EN: 0
; COMPUTE_PGM_RSRC2:TIDIG_COMP_CNT: 1
	.section	.text._ZN2at6native12_GLOBAL__N_135GammaBetaBackwardCUDAKernelTemplateIddLj32ELj32ELj256ELb0ELb0ELb1EEEvllPKT_S5_PKT0_S8_PS3_S9_,"axG",@progbits,_ZN2at6native12_GLOBAL__N_135GammaBetaBackwardCUDAKernelTemplateIddLj32ELj32ELj256ELb0ELb0ELb1EEEvllPKT_S5_PKT0_S8_PS3_S9_,comdat
	.globl	_ZN2at6native12_GLOBAL__N_135GammaBetaBackwardCUDAKernelTemplateIddLj32ELj32ELj256ELb0ELb0ELb1EEEvllPKT_S5_PKT0_S8_PS3_S9_ ; -- Begin function _ZN2at6native12_GLOBAL__N_135GammaBetaBackwardCUDAKernelTemplateIddLj32ELj32ELj256ELb0ELb0ELb1EEEvllPKT_S5_PKT0_S8_PS3_S9_
	.p2align	8
	.type	_ZN2at6native12_GLOBAL__N_135GammaBetaBackwardCUDAKernelTemplateIddLj32ELj32ELj256ELb0ELb0ELb1EEEvllPKT_S5_PKT0_S8_PS3_S9_,@function
_ZN2at6native12_GLOBAL__N_135GammaBetaBackwardCUDAKernelTemplateIddLj32ELj32ELj256ELb0ELb0ELb1EEEvllPKT_S5_PKT0_S8_PS3_S9_: ; @_ZN2at6native12_GLOBAL__N_135GammaBetaBackwardCUDAKernelTemplateIddLj32ELj32ELj256ELb0ELb0ELb1EEEvllPKT_S5_PKT0_S8_PS3_S9_
; %bb.0:
	s_clause 0x1
	s_load_b256 s[4:11], s[0:1], 0x0
	s_load_b64 s[12:13], s[0:1], 0x28
	s_lshl_b32 s28, ttmp9, 5
	s_mov_b32 s15, 0
	s_or_b32 s14, s28, 31
	s_wait_kmcnt 0x0
	v_cmp_le_i64_e64 s2, s[6:7], s[14:15]
	s_lshl_b32 s14, ttmp7, 8
	s_wait_alu 0xfffe
	v_cmp_gt_i64_e64 s29, s[4:5], s[14:15]
	s_and_b32 vcc_lo, exec_lo, s2
	v_cndmask_b32_e64 v1, 0, 1, s29
	s_delay_alu instid0(VALU_DEP_1)
	v_cmp_ne_u32_e64 s2, 1, v1
	s_cbranch_vccz .LBB138_48
; %bb.1:
	v_mov_b32_e32 v36, 0
	v_mov_b32_e32 v37, 0
	s_and_b32 vcc_lo, exec_lo, s2
	s_cbranch_vccnz .LBB138_49
; %bb.2:
	v_bfe_u32 v42, v0, 10, 10
	v_dual_mov_b32 v1, 0 :: v_dual_and_b32 v44, 0x3ff, v0
	s_load_b32 s3, s[0:1], 0x44
	s_mov_b32 s17, 0
	s_delay_alu instid0(VALU_DEP_2) | instskip(NEXT) | instid1(VALU_DEP_2)
	v_dual_mov_b32 v36, 0 :: v_dual_lshlrev_b32 v43, 3, v42
	v_dual_mov_b32 v3, v1 :: v_dual_add_nc_u32 v2, s28, v44
	s_mov_b32 s21, s17
	s_delay_alu instid0(VALU_DEP_2) | instskip(NEXT) | instid1(VALU_DEP_1)
	v_add_co_u32 v10, s2, v43, s14
	v_add_co_ci_u32_e64 v11, null, 0, 0, s2
	s_delay_alu instid0(VALU_DEP_3) | instskip(NEXT) | instid1(VALU_DEP_3)
	v_cmp_gt_i64_e64 s2, s[6:7], v[2:3]
	v_mul_lo_u32 v6, s7, v10
	v_mad_co_u64_u32 v[4:5], null, s6, v10, 0
	s_delay_alu instid0(VALU_DEP_4) | instskip(SKIP_1) | instid1(VALU_DEP_1)
	v_mul_lo_u32 v7, s6, v11
	v_add_co_u32 v8, vcc_lo, v10, 7
	v_add_co_ci_u32_e64 v9, null, 0, v11, vcc_lo
	v_lshlrev_b64_e32 v[34:35], 3, v[2:3]
	s_delay_alu instid0(VALU_DEP_3)
	v_mul_lo_u32 v12, s7, v8
	s_wait_kmcnt 0x0
	s_lshl_b32 s20, s3, 8
	v_add3_u32 v5, v5, v7, v6
	v_mad_co_u64_u32 v[6:7], null, s6, v8, 0
	v_add_co_u32 v8, vcc_lo, v10, 6
	v_mul_lo_u32 v13, s6, v9
	s_wait_alu 0xfffd
	v_add_co_ci_u32_e64 v9, null, 0, v11, vcc_lo
	v_lshlrev_b64_e32 v[2:3], 3, v[4:5]
	v_mul_lo_u32 v14, s7, v8
	v_mov_b32_e32 v37, 0
	s_delay_alu instid0(VALU_DEP_4)
	v_mul_lo_u32 v15, s6, v9
	v_mad_co_u64_u32 v[8:9], null, s6, v8, 0
	v_add_co_u32 v45, vcc_lo, s8, v2
	s_wait_alu 0xfffd
	v_add_co_ci_u32_e64 v46, null, s9, v3, vcc_lo
	v_add_co_u32 v47, vcc_lo, s10, v2
	v_add3_u32 v7, v7, v13, v12
	s_wait_alu 0xfffd
	v_add_co_ci_u32_e64 v48, null, s11, v3, vcc_lo
	v_add_co_u32 v12, vcc_lo, v10, 5
	v_add3_u32 v9, v9, v15, v14
	s_wait_alu 0xfffd
	v_add_co_ci_u32_e64 v13, null, 0, v11, vcc_lo
	v_lshlrev_b64_e32 v[2:3], 3, v[6:7]
	v_mul_lo_u32 v14, s7, v12
	v_lshlrev_b64_e32 v[6:7], 3, v[8:9]
	s_delay_alu instid0(VALU_DEP_4)
	v_mul_lo_u32 v13, s6, v13
	v_mad_co_u64_u32 v[8:9], null, s6, v12, 0
	v_add_co_u32 v49, vcc_lo, s8, v2
	s_wait_alu 0xfffd
	v_add_co_ci_u32_e64 v50, null, s9, v3, vcc_lo
	v_add_co_u32 v51, vcc_lo, s10, v2
	s_wait_alu 0xfffd
	v_add_co_ci_u32_e64 v52, null, s11, v3, vcc_lo
	v_add_co_u32 v53, vcc_lo, s8, v6
	v_add3_u32 v9, v9, v13, v14
	s_wait_alu 0xfffd
	v_add_co_ci_u32_e64 v54, null, s9, v7, vcc_lo
	v_add_co_u32 v12, vcc_lo, v10, 4
	v_add_co_u32 v55, s3, s10, v6
	s_wait_alu 0xfffd
	v_add_co_ci_u32_e64 v6, null, 0, v11, vcc_lo
	v_lshlrev_b64_e32 v[2:3], 3, v[8:9]
	v_add_co_u32 v8, vcc_lo, v10, 3
	s_wait_alu 0xfffd
	v_add_co_ci_u32_e64 v9, null, 0, v11, vcc_lo
	s_wait_alu 0xf1ff
	v_add_co_ci_u32_e64 v56, null, s11, v7, s3
	v_mul_lo_u32 v13, s7, v12
	v_mul_lo_u32 v14, s6, v6
	v_mad_co_u64_u32 v[6:7], null, s6, v12, 0
	v_mul_lo_u32 v12, s7, v8
	v_mul_lo_u32 v15, s6, v9
	v_mad_co_u64_u32 v[8:9], null, s6, v8, 0
	v_add_co_u32 v57, vcc_lo, s8, v2
	s_wait_alu 0xfffd
	v_add_co_ci_u32_e64 v58, null, s9, v3, vcc_lo
	v_add3_u32 v7, v7, v14, v13
	v_add_co_u32 v59, vcc_lo, s10, v2
	s_wait_alu 0xfffd
	v_add_co_ci_u32_e64 v60, null, s11, v3, vcc_lo
	v_add_co_u32 v10, vcc_lo, v10, 2
	v_add3_u32 v9, v9, v15, v12
	s_wait_alu 0xfffd
	v_add_co_ci_u32_e64 v11, null, 0, v11, vcc_lo
	v_lshlrev_b64_e32 v[2:3], 3, v[6:7]
	v_mul_lo_u32 v12, s7, v10
	v_lshlrev_b64_e32 v[6:7], 3, v[8:9]
	s_delay_alu instid0(VALU_DEP_4)
	v_mul_lo_u32 v11, s6, v11
	v_mad_co_u64_u32 v[8:9], null, s6, v10, 0
	v_add_co_u32 v61, vcc_lo, s8, v2
	s_wait_alu 0xfffd
	v_add_co_ci_u32_e64 v62, null, s9, v3, vcc_lo
	v_add_co_u32 v63, vcc_lo, s10, v2
	s_wait_alu 0xfffd
	v_add_co_ci_u32_e64 v64, null, s11, v3, vcc_lo
	;; [unrolled: 3-line block ×3, first 2 shown]
	v_add3_u32 v9, v9, v11, v12
	v_add_co_u32 v67, vcc_lo, s10, v6
	s_wait_alu 0xfffd
	v_add_co_ci_u32_e64 v68, null, s11, v7, vcc_lo
	v_add_co_u32 v4, vcc_lo, v4, s6
	s_wait_alu 0xfffd
	v_add_co_ci_u32_e64 v5, null, s7, v5, vcc_lo
	v_lshlrev_b64_e32 v[2:3], 3, v[8:9]
	s_mul_u64 s[22:23], s[6:7], s[20:21]
	s_add_nc_u64 s[18:19], s[0:1], 64
	s_delay_alu instid0(VALU_DEP_2)
	v_lshlrev_b64_e32 v[4:5], 3, v[4:5]
	s_lshl_b64 s[22:23], s[22:23], 3
	s_add_nc_u64 s[24:25], s[14:15], 0xff
	v_add_co_u32 v69, vcc_lo, s8, v2
	s_wait_alu 0xfffd
	v_add_co_ci_u32_e64 v70, null, s9, v3, vcc_lo
	v_add_co_u32 v71, vcc_lo, s10, v2
	s_wait_alu 0xfffd
	v_add_co_ci_u32_e64 v72, null, s11, v3, vcc_lo
	;; [unrolled: 3-line block ×4, first 2 shown]
	s_mov_b64 s[26:27], s[14:15]
	s_branch .LBB138_5
.LBB138_3:                              ;   in Loop: Header=BB138_5 Depth=1
	s_wait_alu 0xfffe
	s_or_b32 exec_lo, exec_lo, s3
	s_wait_loadcnt 0x0
	v_mul_f64_e32 v[2:3], v[18:19], v[2:3]
	ds_bpermute_b32 v18, v1, v38
	ds_bpermute_b32 v19, v1, v39
	v_mul_f64_e32 v[4:5], v[20:21], v[4:5]
	v_mul_f64_e32 v[6:7], v[22:23], v[6:7]
	;; [unrolled: 1-line block ×3, first 2 shown]
	s_wait_dscnt 0x0
	v_fma_f64 v[2:3], v[2:3], v[18:19], v[36:37]
	ds_bpermute_b32 v18, v1, v38 offset:4
	ds_bpermute_b32 v19, v1, v39 offset:4
	s_wait_dscnt 0x0
	v_fma_f64 v[2:3], v[4:5], v[18:19], v[2:3]
	ds_bpermute_b32 v4, v1, v38 offset:8
	ds_bpermute_b32 v5, v1, v39 offset:8
	s_wait_dscnt 0x0
	v_fma_f64 v[2:3], v[6:7], v[4:5], v[2:3]
	ds_bpermute_b32 v4, v1, v38 offset:12
	ds_bpermute_b32 v5, v1, v39 offset:12
	v_mul_f64_e32 v[6:7], v[26:27], v[10:11]
	s_wait_dscnt 0x0
	v_fma_f64 v[2:3], v[8:9], v[4:5], v[2:3]
	ds_bpermute_b32 v4, v1, v38 offset:16
	ds_bpermute_b32 v5, v1, v39 offset:16
	v_mul_f64_e32 v[8:9], v[28:29], v[12:13]
	s_wait_dscnt 0x0
	v_fma_f64 v[2:3], v[6:7], v[4:5], v[2:3]
	ds_bpermute_b32 v4, v1, v38 offset:20
	ds_bpermute_b32 v5, v1, v39 offset:20
	;; [unrolled: 1-line block ×4, first 2 shown]
	s_wait_dscnt 0x2
	v_fma_f64 v[2:3], v[8:9], v[4:5], v[2:3]
	v_mul_f64_e32 v[4:5], v[30:31], v[14:15]
	s_wait_dscnt 0x0
	s_delay_alu instid0(VALU_DEP_1)
	v_fma_f64 v[40:41], v[4:5], v[6:7], v[2:3]
	ds_bpermute_b32 v2, v1, v38 offset:28
	ds_bpermute_b32 v3, v1, v39 offset:28
.LBB138_4:                              ;   in Loop: Header=BB138_5 Depth=1
	v_mul_f64_e32 v[4:5], v[16:17], v[32:33]
	v_add_co_u32 v45, vcc_lo, v45, s22
	s_wait_alu 0xfffd
	v_add_co_ci_u32_e64 v46, null, s23, v46, vcc_lo
	v_add_co_u32 v47, vcc_lo, v47, s22
	s_wait_alu 0xfffd
	v_add_co_ci_u32_e64 v48, null, s23, v48, vcc_lo
	;; [unrolled: 3-line block ×9, first 2 shown]
	v_add_co_u32 v63, vcc_lo, v63, s22
	s_wait_dscnt 0x0
	v_fma_f64 v[36:37], v[4:5], v[2:3], v[40:41]
	s_wait_alu 0xfffd
	v_add_co_ci_u32_e64 v64, null, s23, v64, vcc_lo
	v_add_co_u32 v65, vcc_lo, v65, s22
	s_wait_alu 0xfffd
	v_add_co_ci_u32_e64 v66, null, s23, v66, vcc_lo
	v_add_co_u32 v67, vcc_lo, v67, s22
	;; [unrolled: 3-line block ×4, first 2 shown]
	s_add_nc_u64 s[26:27], s[26:27], s[20:21]
	s_wait_alu 0xfffd
	v_add_co_ci_u32_e64 v72, null, s23, v72, vcc_lo
	v_add_co_u32 v73, vcc_lo, v73, s22
	s_wait_alu 0xfffe
	v_cmp_lt_i64_e64 s3, s[26:27], s[4:5]
	s_wait_alu 0xfffd
	v_add_co_ci_u32_e64 v74, null, s23, v74, vcc_lo
	v_add_co_u32 v75, vcc_lo, v75, s22
	s_wait_alu 0xfffd
	v_add_co_ci_u32_e64 v76, null, s23, v76, vcc_lo
	s_and_b32 vcc_lo, exec_lo, s3
	s_add_nc_u64 s[24:25], s[24:25], s[20:21]
	s_wait_alu 0xfffe
	s_cbranch_vccz .LBB138_49
.LBB138_5:                              ; =>This Inner Loop Header: Depth=1
	v_cmp_ge_i64_e64 s3, s[24:25], s[4:5]
	v_add_co_u32 v77, s16, v43, s24
	s_wait_alu 0xf1ff
	v_add_co_ci_u32_e64 v78, null, 0, s25, s16
                                        ; implicit-def: $vgpr2_vgpr3_vgpr4_vgpr5_vgpr6_vgpr7_vgpr8_vgpr9_vgpr10_vgpr11_vgpr12_vgpr13_vgpr14_vgpr15_vgpr16_vgpr17
                                        ; implicit-def: $vgpr40_vgpr41
                                        ; implicit-def: $vgpr18_vgpr19_vgpr20_vgpr21_vgpr22_vgpr23_vgpr24_vgpr25_vgpr26_vgpr27_vgpr28_vgpr29_vgpr30_vgpr31_vgpr32_vgpr33
                                        ; implicit-def: $vgpr2
	s_and_b32 vcc_lo, exec_lo, s3
	s_mov_b32 s3, -1
	s_wait_alu 0xfffe
	s_cbranch_vccz .LBB138_27
; %bb.6:                                ;   in Loop: Header=BB138_5 Depth=1
	s_load_b32 s3, s[18:19], 0xc
	v_mov_b32_e32 v38, 0
	v_mov_b32_e32 v39, 0
	s_wait_kmcnt 0x0
	s_and_b32 s3, s3, 0xffff
	s_wait_alu 0xfffe
	v_mad_u32_u24 v2, v42, s3, v44
	s_mov_b32 s3, exec_lo
	s_delay_alu instid0(VALU_DEP_1) | instskip(NEXT) | instid1(VALU_DEP_1)
	v_and_b32_e32 v2, 31, v2
	v_cmpx_gt_u32_e32 8, v2
	s_cbranch_execz .LBB138_10
; %bb.7:                                ;   in Loop: Header=BB138_5 Depth=1
	v_add_co_u32 v2, vcc_lo, v77, v2
	s_wait_alu 0xfffd
	v_add_co_ci_u32_e64 v3, null, 0, v78, vcc_lo
	v_mov_b32_e32 v38, 0
	s_delay_alu instid0(VALU_DEP_3) | instskip(SKIP_1) | instid1(VALU_DEP_3)
	v_add_co_u32 v2, vcc_lo, 0xffffff01, v2
	s_wait_alu 0xfffd
	v_add_co_ci_u32_e64 v3, null, -1, v3, vcc_lo
	v_mov_b32_e32 v39, 0
	s_mov_b32 s16, exec_lo
	s_delay_alu instid0(VALU_DEP_2)
	v_cmpx_gt_i64_e64 s[4:5], v[2:3]
	s_cbranch_execz .LBB138_9
; %bb.8:                                ;   in Loop: Header=BB138_5 Depth=1
	v_lshlrev_b64_e32 v[2:3], 3, v[2:3]
	s_delay_alu instid0(VALU_DEP_1) | instskip(SKIP_1) | instid1(VALU_DEP_2)
	v_add_co_u32 v2, vcc_lo, s12, v2
	s_wait_alu 0xfffd
	v_add_co_ci_u32_e64 v3, null, s13, v3, vcc_lo
	global_load_b64 v[38:39], v[2:3], off
.LBB138_9:                              ;   in Loop: Header=BB138_5 Depth=1
	s_wait_alu 0xfffe
	s_or_b32 exec_lo, exec_lo, s16
.LBB138_10:                             ;   in Loop: Header=BB138_5 Depth=1
	s_wait_alu 0xfffe
	s_or_b32 exec_lo, exec_lo, s3
	v_add_co_u32 v17, vcc_lo, 0xffffff01, v77
	s_wait_alu 0xfffd
	v_add_co_ci_u32_e64 v18, null, -1, v78, vcc_lo
	v_mov_b32_e32 v16, v1
	v_dual_mov_b32 v2, v1 :: v_dual_mov_b32 v3, v1
	v_dual_mov_b32 v4, v1 :: v_dual_mov_b32 v5, v1
	;; [unrolled: 1-line block ×7, first 2 shown]
	v_cmp_gt_i64_e32 vcc_lo, s[4:5], v[17:18]
	s_delay_alu instid0(VALU_DEP_3) | instskip(NEXT) | instid1(VALU_DEP_3)
	v_dual_mov_b32 v33, v16 :: v_dual_mov_b32 v30, v13
	v_dual_mov_b32 v31, v14 :: v_dual_mov_b32 v32, v15
	;; [unrolled: 1-line block ×8, first 2 shown]
	v_mov_b32_e32 v17, v16
	v_mov_b32_e32 v16, v15
	;; [unrolled: 1-line block ×16, first 2 shown]
	s_and_b32 s16, s2, vcc_lo
	s_wait_alu 0xfffe
	s_and_saveexec_b32 s3, s16
	s_cbranch_execz .LBB138_12
; %bb.11:                               ;   in Loop: Header=BB138_5 Depth=1
	v_add_co_u32 v2, vcc_lo, v45, v34
	s_wait_alu 0xfffd
	v_add_co_ci_u32_e64 v3, null, v46, v35, vcc_lo
	v_add_co_u32 v4, vcc_lo, v47, v34
	s_wait_alu 0xfffd
	v_add_co_ci_u32_e64 v5, null, v48, v35, vcc_lo
	global_load_b64 v[2:3], v[2:3], off
	global_load_b64 v[18:19], v[4:5], off
	v_dual_mov_b32 v4, v1 :: v_dual_mov_b32 v5, v1
	v_dual_mov_b32 v6, v1 :: v_dual_mov_b32 v7, v1
	v_dual_mov_b32 v8, v1 :: v_dual_mov_b32 v9, v1
	v_dual_mov_b32 v10, v1 :: v_dual_mov_b32 v11, v1
	v_dual_mov_b32 v12, v1 :: v_dual_mov_b32 v13, v1
	v_dual_mov_b32 v14, v1 :: v_dual_mov_b32 v15, v1
	v_dual_mov_b32 v16, v1 :: v_dual_mov_b32 v17, v1
	v_dual_mov_b32 v20, v1 :: v_dual_mov_b32 v21, v1
	v_dual_mov_b32 v22, v1 :: v_dual_mov_b32 v23, v1
	v_dual_mov_b32 v24, v1 :: v_dual_mov_b32 v25, v1
	v_dual_mov_b32 v26, v1 :: v_dual_mov_b32 v27, v1
	v_dual_mov_b32 v28, v1 :: v_dual_mov_b32 v29, v1
	v_dual_mov_b32 v30, v1 :: v_dual_mov_b32 v31, v1
	v_dual_mov_b32 v32, v1 :: v_dual_mov_b32 v33, v1
.LBB138_12:                             ;   in Loop: Header=BB138_5 Depth=1
	s_wait_alu 0xfffe
	s_or_b32 exec_lo, exec_lo, s3
	v_add_co_u32 v40, vcc_lo, 0xffffff02, v77
	s_wait_alu 0xfffd
	v_add_co_ci_u32_e64 v41, null, -1, v78, vcc_lo
	s_delay_alu instid0(VALU_DEP_1)
	v_cmp_gt_i64_e32 vcc_lo, s[4:5], v[40:41]
	s_and_b32 s16, s2, vcc_lo
	s_wait_alu 0xfffe
	s_and_saveexec_b32 s3, s16
	s_cbranch_execz .LBB138_14
; %bb.13:                               ;   in Loop: Header=BB138_5 Depth=1
	v_add_co_u32 v4, vcc_lo, v73, v34
	s_wait_alu 0xfffd
	v_add_co_ci_u32_e64 v5, null, v74, v35, vcc_lo
	v_add_co_u32 v20, vcc_lo, v75, v34
	s_wait_alu 0xfffd
	v_add_co_ci_u32_e64 v21, null, v76, v35, vcc_lo
	global_load_b64 v[4:5], v[4:5], off
	global_load_b64 v[20:21], v[20:21], off
.LBB138_14:                             ;   in Loop: Header=BB138_5 Depth=1
	s_wait_alu 0xfffe
	s_or_b32 exec_lo, exec_lo, s3
	v_add_co_u32 v40, vcc_lo, 0xffffff03, v77
	s_wait_alu 0xfffd
	v_add_co_ci_u32_e64 v41, null, -1, v78, vcc_lo
	s_delay_alu instid0(VALU_DEP_1)
	v_cmp_gt_i64_e32 vcc_lo, s[4:5], v[40:41]
	s_and_b32 s16, s2, vcc_lo
	s_wait_alu 0xfffe
	s_and_saveexec_b32 s3, s16
	s_cbranch_execz .LBB138_16
; %bb.15:                               ;   in Loop: Header=BB138_5 Depth=1
	v_add_co_u32 v6, vcc_lo, v69, v34
	s_wait_alu 0xfffd
	v_add_co_ci_u32_e64 v7, null, v70, v35, vcc_lo
	v_add_co_u32 v22, vcc_lo, v71, v34
	s_wait_alu 0xfffd
	v_add_co_ci_u32_e64 v23, null, v72, v35, vcc_lo
	global_load_b64 v[6:7], v[6:7], off
	global_load_b64 v[22:23], v[22:23], off
.LBB138_16:                             ;   in Loop: Header=BB138_5 Depth=1
	;; [unrolled: 21-line block ×7, first 2 shown]
	s_wait_alu 0xfffe
	s_or_b32 exec_lo, exec_lo, s3
	s_wait_loadcnt 0x0
	v_mul_f64_e32 v[2:3], v[18:19], v[2:3]
	ds_bpermute_b32 v18, v1, v38
	ds_bpermute_b32 v19, v1, v39
	v_mul_f64_e32 v[4:5], v[20:21], v[4:5]
	v_mul_f64_e32 v[6:7], v[22:23], v[6:7]
	;; [unrolled: 1-line block ×3, first 2 shown]
	s_mov_b32 s3, 0
	s_wait_dscnt 0x0
	v_fma_f64 v[2:3], v[2:3], v[18:19], v[36:37]
	ds_bpermute_b32 v18, v1, v38 offset:4
	ds_bpermute_b32 v19, v1, v39 offset:4
	s_wait_dscnt 0x0
	v_fma_f64 v[2:3], v[4:5], v[18:19], v[2:3]
	ds_bpermute_b32 v4, v1, v38 offset:8
	ds_bpermute_b32 v5, v1, v39 offset:8
	;; [unrolled: 4-line block ×3, first 2 shown]
	v_mul_f64_e32 v[6:7], v[26:27], v[10:11]
	s_wait_dscnt 0x0
	v_fma_f64 v[2:3], v[8:9], v[4:5], v[2:3]
	ds_bpermute_b32 v4, v1, v38 offset:16
	ds_bpermute_b32 v5, v1, v39 offset:16
	v_mul_f64_e32 v[8:9], v[28:29], v[12:13]
	s_wait_dscnt 0x0
	v_fma_f64 v[2:3], v[6:7], v[4:5], v[2:3]
	ds_bpermute_b32 v4, v1, v38 offset:20
	ds_bpermute_b32 v5, v1, v39 offset:20
	;; [unrolled: 1-line block ×4, first 2 shown]
	s_wait_dscnt 0x2
	v_fma_f64 v[2:3], v[8:9], v[4:5], v[2:3]
	v_mul_f64_e32 v[4:5], v[30:31], v[14:15]
	s_wait_dscnt 0x0
	s_delay_alu instid0(VALU_DEP_1)
	v_fma_f64 v[40:41], v[4:5], v[6:7], v[2:3]
	ds_bpermute_b32 v2, v1, v38 offset:28
	ds_bpermute_b32 v3, v1, v39 offset:28
.LBB138_27:                             ;   in Loop: Header=BB138_5 Depth=1
	s_wait_alu 0xfffe
	s_and_b32 vcc_lo, exec_lo, s3
	s_wait_alu 0xfffe
	s_cbranch_vccz .LBB138_4
; %bb.28:                               ;   in Loop: Header=BB138_5 Depth=1
	s_load_b32 s3, s[18:19], 0x0
	v_mov_b32_e32 v38, 0
	v_mov_b32_e32 v39, 0
	s_wait_kmcnt 0x0
	s_cmp_lt_u32 ttmp9, s3
	s_cselect_b32 s16, 12, 18
	s_wait_alu 0xfffe
	s_add_nc_u64 s[30:31], s[18:19], s[16:17]
	s_load_u16 s3, s[30:31], 0x0
	s_wait_dscnt 0x1
	s_wait_kmcnt 0x0
	v_mad_u32_u24 v2, v42, s3, v44
	s_mov_b32 s3, exec_lo
	s_delay_alu instid0(VALU_DEP_1) | instskip(NEXT) | instid1(VALU_DEP_1)
	v_and_b32_e32 v2, 31, v2
	v_cmpx_gt_u32_e32 8, v2
	s_cbranch_execz .LBB138_32
; %bb.29:                               ;   in Loop: Header=BB138_5 Depth=1
	v_add_co_u32 v2, vcc_lo, v77, v2
	s_wait_dscnt 0x0
	s_wait_alu 0xfffd
	v_add_co_ci_u32_e64 v3, null, 0, v78, vcc_lo
	v_mov_b32_e32 v38, 0
	v_add_co_u32 v2, vcc_lo, 0xffffff01, v2
	s_wait_alu 0xfffd
	s_delay_alu instid0(VALU_DEP_3) | instskip(SKIP_2) | instid1(VALU_DEP_2)
	v_add_co_ci_u32_e64 v3, null, -1, v3, vcc_lo
	v_mov_b32_e32 v39, 0
	s_mov_b32 s16, exec_lo
	v_cmpx_gt_i64_e64 s[4:5], v[2:3]
	s_cbranch_execz .LBB138_31
; %bb.30:                               ;   in Loop: Header=BB138_5 Depth=1
	v_lshlrev_b64_e32 v[2:3], 3, v[2:3]
	s_delay_alu instid0(VALU_DEP_1) | instskip(SKIP_1) | instid1(VALU_DEP_2)
	v_add_co_u32 v2, vcc_lo, s12, v2
	s_wait_alu 0xfffd
	v_add_co_ci_u32_e64 v3, null, s13, v3, vcc_lo
	global_load_b64 v[38:39], v[2:3], off
.LBB138_31:                             ;   in Loop: Header=BB138_5 Depth=1
	s_wait_alu 0xfffe
	s_or_b32 exec_lo, exec_lo, s16
.LBB138_32:                             ;   in Loop: Header=BB138_5 Depth=1
	s_wait_alu 0xfffe
	s_or_b32 exec_lo, exec_lo, s3
	v_mov_b32_e32 v16, v1
	s_wait_dscnt 0x0
	v_dual_mov_b32 v2, v1 :: v_dual_mov_b32 v3, v1
	v_dual_mov_b32 v4, v1 :: v_dual_mov_b32 v5, v1
	;; [unrolled: 1-line block ×7, first 2 shown]
	v_mov_b32_e32 v33, v16
	s_delay_alu instid0(VALU_DEP_3) | instskip(NEXT) | instid1(VALU_DEP_3)
	v_dual_mov_b32 v29, v12 :: v_dual_mov_b32 v28, v11
	v_dual_mov_b32 v31, v14 :: v_dual_mov_b32 v30, v13
	s_delay_alu instid0(VALU_DEP_4)
	v_dual_mov_b32 v32, v15 :: v_dual_mov_b32 v27, v10
	v_dual_mov_b32 v26, v9 :: v_dual_mov_b32 v25, v8
	;; [unrolled: 1-line block ×6, first 2 shown]
	v_mov_b32_e32 v16, v15
	v_mov_b32_e32 v15, v14
	;; [unrolled: 1-line block ×15, first 2 shown]
	s_and_saveexec_b32 s3, s2
	s_cbranch_execnz .LBB138_40
; %bb.33:                               ;   in Loop: Header=BB138_5 Depth=1
	s_wait_alu 0xfffe
	s_or_b32 exec_lo, exec_lo, s3
	s_and_saveexec_b32 s3, s2
	s_cbranch_execnz .LBB138_41
.LBB138_34:                             ;   in Loop: Header=BB138_5 Depth=1
	s_wait_alu 0xfffe
	s_or_b32 exec_lo, exec_lo, s3
	s_and_saveexec_b32 s3, s2
	s_cbranch_execnz .LBB138_42
.LBB138_35:                             ;   in Loop: Header=BB138_5 Depth=1
	s_wait_alu 0xfffe
	s_or_b32 exec_lo, exec_lo, s3
	s_and_saveexec_b32 s3, s2
	s_cbranch_execnz .LBB138_43
.LBB138_36:                             ;   in Loop: Header=BB138_5 Depth=1
	s_wait_alu 0xfffe
	s_or_b32 exec_lo, exec_lo, s3
	s_and_saveexec_b32 s3, s2
	s_cbranch_execnz .LBB138_44
.LBB138_37:                             ;   in Loop: Header=BB138_5 Depth=1
	s_wait_alu 0xfffe
	s_or_b32 exec_lo, exec_lo, s3
	s_and_saveexec_b32 s3, s2
	s_cbranch_execnz .LBB138_45
.LBB138_38:                             ;   in Loop: Header=BB138_5 Depth=1
	s_wait_alu 0xfffe
	s_or_b32 exec_lo, exec_lo, s3
	s_and_saveexec_b32 s3, s2
	s_cbranch_execnz .LBB138_46
.LBB138_39:                             ;   in Loop: Header=BB138_5 Depth=1
	s_wait_alu 0xfffe
	s_or_b32 exec_lo, exec_lo, s3
	s_and_saveexec_b32 s3, s2
	s_cbranch_execz .LBB138_3
	s_branch .LBB138_47
.LBB138_40:                             ;   in Loop: Header=BB138_5 Depth=1
	v_add_co_u32 v2, vcc_lo, v45, v34
	s_wait_alu 0xfffd
	v_add_co_ci_u32_e64 v3, null, v46, v35, vcc_lo
	v_add_co_u32 v4, vcc_lo, v47, v34
	s_wait_alu 0xfffd
	v_add_co_ci_u32_e64 v5, null, v48, v35, vcc_lo
	global_load_b64 v[2:3], v[2:3], off
	global_load_b64 v[18:19], v[4:5], off
	v_dual_mov_b32 v4, v1 :: v_dual_mov_b32 v5, v1
	v_dual_mov_b32 v6, v1 :: v_dual_mov_b32 v7, v1
	;; [unrolled: 1-line block ×14, first 2 shown]
	s_wait_alu 0xfffe
	s_or_b32 exec_lo, exec_lo, s3
	s_and_saveexec_b32 s3, s2
	s_cbranch_execz .LBB138_34
.LBB138_41:                             ;   in Loop: Header=BB138_5 Depth=1
	v_add_co_u32 v4, vcc_lo, v73, v34
	s_wait_alu 0xfffd
	v_add_co_ci_u32_e64 v5, null, v74, v35, vcc_lo
	v_add_co_u32 v20, vcc_lo, v75, v34
	s_wait_alu 0xfffd
	v_add_co_ci_u32_e64 v21, null, v76, v35, vcc_lo
	global_load_b64 v[4:5], v[4:5], off
	global_load_b64 v[20:21], v[20:21], off
	s_wait_alu 0xfffe
	s_or_b32 exec_lo, exec_lo, s3
	s_and_saveexec_b32 s3, s2
	s_cbranch_execz .LBB138_35
.LBB138_42:                             ;   in Loop: Header=BB138_5 Depth=1
	v_add_co_u32 v6, vcc_lo, v69, v34
	s_wait_alu 0xfffd
	v_add_co_ci_u32_e64 v7, null, v70, v35, vcc_lo
	v_add_co_u32 v22, vcc_lo, v71, v34
	s_wait_alu 0xfffd
	v_add_co_ci_u32_e64 v23, null, v72, v35, vcc_lo
	global_load_b64 v[6:7], v[6:7], off
	global_load_b64 v[22:23], v[22:23], off
	s_wait_alu 0xfffe
	s_or_b32 exec_lo, exec_lo, s3
	s_and_saveexec_b32 s3, s2
	s_cbranch_execz .LBB138_36
.LBB138_43:                             ;   in Loop: Header=BB138_5 Depth=1
	v_add_co_u32 v8, vcc_lo, v65, v34
	s_wait_alu 0xfffd
	v_add_co_ci_u32_e64 v9, null, v66, v35, vcc_lo
	v_add_co_u32 v24, vcc_lo, v67, v34
	s_wait_alu 0xfffd
	v_add_co_ci_u32_e64 v25, null, v68, v35, vcc_lo
	global_load_b64 v[8:9], v[8:9], off
	global_load_b64 v[24:25], v[24:25], off
	s_wait_alu 0xfffe
	s_or_b32 exec_lo, exec_lo, s3
	s_and_saveexec_b32 s3, s2
	s_cbranch_execz .LBB138_37
.LBB138_44:                             ;   in Loop: Header=BB138_5 Depth=1
	v_add_co_u32 v10, vcc_lo, v61, v34
	s_wait_alu 0xfffd
	v_add_co_ci_u32_e64 v11, null, v62, v35, vcc_lo
	v_add_co_u32 v26, vcc_lo, v63, v34
	s_wait_alu 0xfffd
	v_add_co_ci_u32_e64 v27, null, v64, v35, vcc_lo
	global_load_b64 v[10:11], v[10:11], off
	global_load_b64 v[26:27], v[26:27], off
	s_wait_alu 0xfffe
	s_or_b32 exec_lo, exec_lo, s3
	s_and_saveexec_b32 s3, s2
	s_cbranch_execz .LBB138_38
.LBB138_45:                             ;   in Loop: Header=BB138_5 Depth=1
	v_add_co_u32 v12, vcc_lo, v57, v34
	s_wait_alu 0xfffd
	v_add_co_ci_u32_e64 v13, null, v58, v35, vcc_lo
	v_add_co_u32 v28, vcc_lo, v59, v34
	s_wait_alu 0xfffd
	v_add_co_ci_u32_e64 v29, null, v60, v35, vcc_lo
	global_load_b64 v[12:13], v[12:13], off
	global_load_b64 v[28:29], v[28:29], off
	s_wait_alu 0xfffe
	s_or_b32 exec_lo, exec_lo, s3
	s_and_saveexec_b32 s3, s2
	s_cbranch_execz .LBB138_39
.LBB138_46:                             ;   in Loop: Header=BB138_5 Depth=1
	v_add_co_u32 v14, vcc_lo, v53, v34
	s_wait_alu 0xfffd
	v_add_co_ci_u32_e64 v15, null, v54, v35, vcc_lo
	v_add_co_u32 v30, vcc_lo, v55, v34
	s_wait_alu 0xfffd
	v_add_co_ci_u32_e64 v31, null, v56, v35, vcc_lo
	global_load_b64 v[14:15], v[14:15], off
	global_load_b64 v[30:31], v[30:31], off
	s_wait_alu 0xfffe
	s_or_b32 exec_lo, exec_lo, s3
	s_and_saveexec_b32 s3, s2
	s_cbranch_execz .LBB138_3
.LBB138_47:                             ;   in Loop: Header=BB138_5 Depth=1
	v_add_co_u32 v16, vcc_lo, v49, v34
	s_wait_alu 0xfffd
	v_add_co_ci_u32_e64 v17, null, v50, v35, vcc_lo
	v_add_co_u32 v32, vcc_lo, v51, v34
	s_wait_alu 0xfffd
	v_add_co_ci_u32_e64 v33, null, v52, v35, vcc_lo
	global_load_b64 v[16:17], v[16:17], off
	global_load_b64 v[32:33], v[32:33], off
	s_branch .LBB138_3
.LBB138_48:
                                        ; implicit-def: $vgpr36_vgpr37
	s_branch .LBB138_50
.LBB138_49:
	s_cbranch_execnz .LBB138_82
.LBB138_50:
	v_mov_b32_e32 v36, 0
	v_mov_b32_e32 v37, 0
	s_and_not1_b32 vcc_lo, exec_lo, s29
	s_wait_alu 0xfffe
	s_cbranch_vccnz .LBB138_82
; %bb.51:
	v_bfe_u32 v68, v0, 10, 10
	v_dual_mov_b32 v1, 0 :: v_dual_and_b32 v70, 0x3ff, v0
	s_lshl_b64 s[18:19], s[14:15], 3
	s_mov_b32 s3, 0
	s_delay_alu instid0(VALU_DEP_2) | instskip(SKIP_2) | instid1(VALU_DEP_3)
	v_dual_mov_b32 v66, 0 :: v_dual_lshlrev_b32 v69, 3, v68
	v_dual_mov_b32 v67, 0 :: v_dual_lshlrev_b32 v8, 6, v68
	v_dual_mov_b32 v5, v1 :: v_dual_add_nc_u32 v4, s28, v70
	v_add_co_u32 v10, s2, v69, s14
	s_wait_alu 0xf1ff
	v_add_co_ci_u32_e64 v11, null, 0, 0, s2
	s_delay_alu instid0(VALU_DEP_3) | instskip(NEXT) | instid1(VALU_DEP_3)
	v_lshlrev_b64_e32 v[34:35], 3, v[4:5]
	v_mul_lo_u32 v6, s7, v10
	v_mad_co_u64_u32 v[2:3], null, s6, v10, 0
	s_delay_alu instid0(VALU_DEP_4) | instskip(SKIP_2) | instid1(VALU_DEP_1)
	v_mul_lo_u32 v7, s6, v11
	s_load_b32 s2, s[0:1], 0x44
	s_mov_b32 s17, s3
	v_add3_u32 v3, v3, v7, v6
	v_add_co_u32 v6, s16, v8, s18
	s_wait_alu 0xf1ff
	v_add_co_ci_u32_e64 v7, null, 0, s19, s16
	s_delay_alu instid0(VALU_DEP_3) | instskip(NEXT) | instid1(VALU_DEP_3)
	v_lshlrev_b64_e32 v[4:5], 3, v[2:3]
	v_add_co_u32 v8, vcc_lo, v6, 8
	s_wait_alu 0xfffd
	s_delay_alu instid0(VALU_DEP_3) | instskip(NEXT) | instid1(VALU_DEP_3)
	v_add_co_ci_u32_e64 v9, null, 0, v7, vcc_lo
	v_add_co_u32 v71, vcc_lo, s8, v4
	s_wait_alu 0xfffd
	v_add_co_ci_u32_e64 v72, null, s9, v5, vcc_lo
	v_add_co_u32 v73, vcc_lo, s10, v4
	s_wait_alu 0xfffd
	;; [unrolled: 3-line block ×5, first 2 shown]
	v_add_co_ci_u32_e64 v18, null, 0, v7, vcc_lo
	v_add_co_u32 v19, vcc_lo, v6, 40
	v_mad_co_u64_u32 v[40:41], null, s6, v4, s[8:9]
	v_mul_lo_u32 v5, s6, v5
	v_mul_lo_u32 v15, s7, v4
	v_mad_co_u64_u32 v[54:55], null, s6, v4, s[10:11]
	s_wait_alu 0xfffd
	v_add_co_ci_u32_e64 v20, null, 0, v7, vcc_lo
	v_add_co_u32 v22, vcc_lo, v6, 48
	s_wait_alu 0xfffd
	v_add_co_ci_u32_e64 v24, null, 0, v7, vcc_lo
	v_add_co_u32 v6, vcc_lo, v6, 56
	v_mad_co_u64_u32 v[38:39], null, s6, v8, s[8:9]
	v_mul_lo_u32 v9, s6, v9
	v_mul_lo_u32 v12, s7, v8
	v_mad_co_u64_u32 v[52:53], null, s6, v8, s[10:11]
	s_wait_alu 0xfffd
	v_add_co_ci_u32_e64 v7, null, 0, v7, vcc_lo
	v_add_co_u32 v4, vcc_lo, v10, 7
	v_add3_u32 v41, v15, v41, v5
	v_add3_u32 v55, v15, v55, v5
	s_wait_alu 0xfffd
	v_add_co_ci_u32_e64 v5, null, 0, v11, vcc_lo
	v_mul_lo_u32 v26, s6, v7
	v_add_co_u32 v7, vcc_lo, v10, 6
	v_add3_u32 v39, v12, v39, v9
	v_add3_u32 v53, v12, v53, v9
	s_wait_alu 0xfffd
	v_add_co_ci_u32_e64 v12, null, 0, v11, vcc_lo
	v_mul_lo_u32 v8, s7, v4
	v_mul_lo_u32 v9, s6, v5
	v_mad_co_u64_u32 v[4:5], null, s6, v4, 0
	v_mad_co_u64_u32 v[42:43], null, s6, v13, s[8:9]
	v_mul_lo_u32 v17, s7, v13
	v_mad_co_u64_u32 v[50:51], null, s6, v6, s[8:9]
	v_mul_lo_u32 v27, s7, v6
	v_mad_co_u64_u32 v[56:57], null, s6, v13, s[10:11]
	v_mad_co_u64_u32 v[64:65], null, s6, v6, s[10:11]
	v_mul_lo_u32 v13, s7, v7
	v_mul_lo_u32 v12, s6, v12
	v_mad_co_u64_u32 v[6:7], null, s6, v7, 0
	v_add3_u32 v5, v5, v9, v8
	v_add_co_u32 v8, vcc_lo, v10, 5
	s_wait_alu 0xfffd
	v_add_co_ci_u32_e64 v9, null, 0, v11, vcc_lo
	s_delay_alu instid0(VALU_DEP_3) | instskip(SKIP_2) | instid1(VALU_DEP_4)
	v_lshlrev_b64_e32 v[4:5], 3, v[4:5]
	v_add3_u32 v7, v7, v12, v13
	v_mul_lo_u32 v12, s7, v8
	v_mul_lo_u32 v13, s6, v9
	v_mad_co_u64_u32 v[8:9], null, s6, v8, 0
	s_delay_alu instid0(VALU_DEP_4)
	v_lshlrev_b64_e32 v[6:7], 3, v[6:7]
	v_add_co_u32 v75, vcc_lo, s8, v4
	s_wait_alu 0xfffd
	v_add_co_ci_u32_e64 v76, null, s9, v5, vcc_lo
	v_add_co_u32 v77, vcc_lo, s10, v4
	s_wait_alu 0xfffd
	v_add_co_ci_u32_e64 v78, null, s11, v5, vcc_lo
	v_add_co_u32 v79, vcc_lo, s8, v6
	v_mul_lo_u32 v14, s6, v14
	v_add3_u32 v9, v9, v13, v12
	s_wait_alu 0xfffd
	v_add_co_ci_u32_e64 v80, null, s9, v7, vcc_lo
	v_add_co_u32 v12, vcc_lo, v10, 4
	s_wait_kmcnt 0x0
	s_lshl_b32 s16, s2, 8
	v_add_co_u32 v81, s2, s10, v6
	s_wait_alu 0xfffd
	v_add_co_ci_u32_e64 v6, null, 0, v11, vcc_lo
	v_lshlrev_b64_e32 v[4:5], 3, v[8:9]
	v_add_co_u32 v8, vcc_lo, v10, 3
	s_wait_alu 0xfffd
	v_add_co_ci_u32_e64 v9, null, 0, v11, vcc_lo
	v_add3_u32 v43, v17, v43, v14
	v_add3_u32 v57, v17, v57, v14
	s_wait_alu 0xf1ff
	v_add_co_ci_u32_e64 v82, null, s11, v7, s2
	v_mul_lo_u32 v13, s7, v12
	v_mul_lo_u32 v14, s6, v6
	v_mad_co_u64_u32 v[6:7], null, s6, v12, 0
	v_mul_lo_u32 v12, s7, v8
	v_mul_lo_u32 v15, s6, v9
	v_mad_co_u64_u32 v[8:9], null, s6, v8, 0
	v_add_co_u32 v83, vcc_lo, s8, v4
	s_wait_alu 0xfffd
	v_add_co_ci_u32_e64 v84, null, s9, v5, vcc_lo
	v_add3_u32 v7, v7, v14, v13
	v_add_co_u32 v85, vcc_lo, s10, v4
	s_wait_alu 0xfffd
	v_add_co_ci_u32_e64 v86, null, s11, v5, vcc_lo
	v_add_co_u32 v10, vcc_lo, v10, 2
	v_add3_u32 v9, v9, v15, v12
	s_wait_alu 0xfffd
	v_add_co_ci_u32_e64 v11, null, 0, v11, vcc_lo
	v_lshlrev_b64_e32 v[4:5], 3, v[6:7]
	v_mul_lo_u32 v12, s7, v10
	v_lshlrev_b64_e32 v[6:7], 3, v[8:9]
	s_delay_alu instid0(VALU_DEP_4)
	v_mul_lo_u32 v11, s6, v11
	v_mad_co_u64_u32 v[8:9], null, s6, v10, 0
	v_add_co_u32 v87, vcc_lo, s8, v4
	s_wait_alu 0xfffd
	v_add_co_ci_u32_e64 v88, null, s9, v5, vcc_lo
	v_add_co_u32 v89, vcc_lo, s10, v4
	s_wait_alu 0xfffd
	v_add_co_ci_u32_e64 v90, null, s11, v5, vcc_lo
	;; [unrolled: 3-line block ×3, first 2 shown]
	v_add3_u32 v9, v9, v11, v12
	v_add_co_u32 v93, vcc_lo, s10, v6
	s_wait_alu 0xfffd
	v_add_co_ci_u32_e64 v94, null, s11, v7, vcc_lo
	v_add_co_u32 v2, vcc_lo, v2, s6
	s_wait_alu 0xfffd
	v_add_co_ci_u32_e64 v3, null, s7, v3, vcc_lo
	v_lshlrev_b64_e32 v[4:5], 3, v[8:9]
	v_mad_co_u64_u32 v[44:45], null, s6, v16, s[8:9]
	s_delay_alu instid0(VALU_DEP_3)
	v_lshlrev_b64_e32 v[2:3], 3, v[2:3]
	v_mul_lo_u32 v18, s6, v18
	v_mul_lo_u32 v21, s7, v16
	v_mad_co_u64_u32 v[46:47], null, s6, v19, s[8:9]
	v_mul_lo_u32 v20, s6, v20
	v_mul_lo_u32 v23, s7, v19
	v_mad_co_u64_u32 v[48:49], null, s6, v22, s[8:9]
	;; [unrolled: 3-line block ×3, first 2 shown]
	v_mad_co_u64_u32 v[60:61], null, s6, v19, s[10:11]
	v_mad_co_u64_u32 v[62:63], null, s6, v22, s[10:11]
	v_add_co_u32 v95, vcc_lo, s8, v4
	s_wait_alu 0xfffd
	v_add_co_ci_u32_e64 v96, null, s9, v5, vcc_lo
	v_add_co_u32 v97, vcc_lo, s10, v4
	s_wait_alu 0xfffd
	v_add_co_ci_u32_e64 v98, null, s11, v5, vcc_lo
	;; [unrolled: 3-line block ×3, first 2 shown]
	v_add_co_u32 v101, vcc_lo, s10, v2
	v_add3_u32 v45, v21, v45, v18
	v_add3_u32 v47, v23, v47, v20
	;; [unrolled: 1-line block ×8, first 2 shown]
	s_wait_alu 0xfffd
	v_add_co_ci_u32_e64 v102, null, s11, v3, vcc_lo
	s_wait_alu 0xfffe
	s_mul_u64 s[18:19], s[6:7], s[16:17]
	s_add_nc_u64 s[8:9], s[0:1], 64
	s_wait_alu 0xfffe
	s_lshl_b64 s[10:11], s[18:19], 3
	s_add_nc_u64 s[18:19], s[14:15], 0xff
.LBB138_52:                             ; =>This Inner Loop Header: Depth=1
	s_wait_alu 0xfffe
	v_cmp_ge_i64_e64 s2, s[18:19], s[4:5]
	v_add_co_u32 v103, s20, v69, s18
	s_wait_alu 0xf1ff
	v_add_co_ci_u32_e64 v104, null, 0, s19, s20
                                        ; implicit-def: $vgpr36_vgpr37
	s_and_b32 vcc_lo, exec_lo, s2
	s_mov_b32 s2, -1
	s_wait_alu 0xfffe
	s_cbranch_vccz .LBB138_74
; %bb.53:                               ;   in Loop: Header=BB138_52 Depth=1
	s_load_b32 s2, s[8:9], 0xc
	v_mov_b32_e32 v36, 0
	v_mov_b32_e32 v37, 0
	s_wait_kmcnt 0x0
	s_and_b32 s2, s2, 0xffff
	s_wait_alu 0xfffe
	v_mad_u32_u24 v2, v68, s2, v70
	s_mov_b32 s2, exec_lo
	s_delay_alu instid0(VALU_DEP_1) | instskip(NEXT) | instid1(VALU_DEP_1)
	v_and_b32_e32 v2, 31, v2
	v_cmpx_gt_u32_e32 8, v2
	s_cbranch_execz .LBB138_57
; %bb.54:                               ;   in Loop: Header=BB138_52 Depth=1
	v_add_co_u32 v2, vcc_lo, v103, v2
	s_wait_alu 0xfffd
	v_add_co_ci_u32_e64 v3, null, 0, v104, vcc_lo
	v_mov_b32_e32 v36, 0
	s_delay_alu instid0(VALU_DEP_3) | instskip(SKIP_1) | instid1(VALU_DEP_3)
	v_add_co_u32 v2, vcc_lo, 0xffffff01, v2
	s_wait_alu 0xfffd
	v_add_co_ci_u32_e64 v3, null, -1, v3, vcc_lo
	v_mov_b32_e32 v37, 0
	s_mov_b32 s20, exec_lo
	s_delay_alu instid0(VALU_DEP_2)
	v_cmpx_gt_i64_e64 s[4:5], v[2:3]
	s_cbranch_execz .LBB138_56
; %bb.55:                               ;   in Loop: Header=BB138_52 Depth=1
	v_lshlrev_b64_e32 v[2:3], 3, v[2:3]
	s_delay_alu instid0(VALU_DEP_1) | instskip(SKIP_1) | instid1(VALU_DEP_2)
	v_add_co_u32 v2, vcc_lo, s12, v2
	s_wait_alu 0xfffd
	v_add_co_ci_u32_e64 v3, null, s13, v3, vcc_lo
	global_load_b64 v[36:37], v[2:3], off
.LBB138_56:                             ;   in Loop: Header=BB138_52 Depth=1
	s_wait_alu 0xfffe
	s_or_b32 exec_lo, exec_lo, s20
.LBB138_57:                             ;   in Loop: Header=BB138_52 Depth=1
	s_wait_alu 0xfffe
	s_or_b32 exec_lo, exec_lo, s2
	v_add_co_u32 v17, vcc_lo, 0xffffff01, v103
	s_wait_alu 0xfffd
	v_add_co_ci_u32_e64 v18, null, -1, v104, vcc_lo
	v_mov_b32_e32 v16, v1
	v_dual_mov_b32 v2, v1 :: v_dual_mov_b32 v3, v1
	v_dual_mov_b32 v4, v1 :: v_dual_mov_b32 v5, v1
	;; [unrolled: 1-line block ×7, first 2 shown]
	v_cmp_gt_i64_e32 vcc_lo, s[4:5], v[17:18]
	s_delay_alu instid0(VALU_DEP_3) | instskip(NEXT) | instid1(VALU_DEP_3)
	v_dual_mov_b32 v33, v16 :: v_dual_mov_b32 v30, v13
	v_dual_mov_b32 v31, v14 :: v_dual_mov_b32 v32, v15
	;; [unrolled: 1-line block ×8, first 2 shown]
	v_mov_b32_e32 v17, v16
	v_mov_b32_e32 v16, v15
	;; [unrolled: 1-line block ×16, first 2 shown]
	s_and_saveexec_b32 s2, vcc_lo
	s_cbranch_execz .LBB138_59
; %bb.58:                               ;   in Loop: Header=BB138_52 Depth=1
	v_add_co_u32 v2, vcc_lo, v71, v34
	s_wait_alu 0xfffd
	v_add_co_ci_u32_e64 v3, null, v72, v35, vcc_lo
	v_add_co_u32 v4, vcc_lo, v73, v34
	s_wait_alu 0xfffd
	v_add_co_ci_u32_e64 v5, null, v74, v35, vcc_lo
	global_load_b64 v[2:3], v[2:3], off
	global_load_b64 v[18:19], v[4:5], off
	v_dual_mov_b32 v4, v1 :: v_dual_mov_b32 v5, v1
	v_dual_mov_b32 v6, v1 :: v_dual_mov_b32 v7, v1
	;; [unrolled: 1-line block ×14, first 2 shown]
.LBB138_59:                             ;   in Loop: Header=BB138_52 Depth=1
	s_wait_alu 0xfffe
	s_or_b32 exec_lo, exec_lo, s2
	v_add_co_u32 v105, vcc_lo, 0xffffff02, v103
	s_wait_alu 0xfffd
	v_add_co_ci_u32_e64 v106, null, -1, v104, vcc_lo
	s_mov_b32 s2, exec_lo
	v_cmpx_gt_i64_e64 s[4:5], v[105:106]
	s_cbranch_execz .LBB138_61
; %bb.60:                               ;   in Loop: Header=BB138_52 Depth=1
	v_add_co_u32 v4, vcc_lo, v99, v34
	s_wait_alu 0xfffd
	v_add_co_ci_u32_e64 v5, null, v100, v35, vcc_lo
	v_add_co_u32 v20, vcc_lo, v101, v34
	s_wait_alu 0xfffd
	v_add_co_ci_u32_e64 v21, null, v102, v35, vcc_lo
	global_load_b64 v[4:5], v[4:5], off
	global_load_b64 v[20:21], v[20:21], off
.LBB138_61:                             ;   in Loop: Header=BB138_52 Depth=1
	s_wait_alu 0xfffe
	s_or_b32 exec_lo, exec_lo, s2
	v_add_co_u32 v105, vcc_lo, 0xffffff03, v103
	s_wait_alu 0xfffd
	v_add_co_ci_u32_e64 v106, null, -1, v104, vcc_lo
	s_mov_b32 s2, exec_lo
	v_cmpx_gt_i64_e64 s[4:5], v[105:106]
	s_cbranch_execz .LBB138_63
; %bb.62:                               ;   in Loop: Header=BB138_52 Depth=1
	v_add_co_u32 v6, vcc_lo, v95, v34
	s_wait_alu 0xfffd
	v_add_co_ci_u32_e64 v7, null, v96, v35, vcc_lo
	v_add_co_u32 v22, vcc_lo, v97, v34
	s_wait_alu 0xfffd
	v_add_co_ci_u32_e64 v23, null, v98, v35, vcc_lo
	global_load_b64 v[6:7], v[6:7], off
	global_load_b64 v[22:23], v[22:23], off
.LBB138_63:                             ;   in Loop: Header=BB138_52 Depth=1
	;; [unrolled: 18-line block ×7, first 2 shown]
	s_wait_alu 0xfffe
	s_or_b32 exec_lo, exec_lo, s2
	s_wait_loadcnt 0x0
	v_mul_f64_e32 v[2:3], v[18:19], v[2:3]
	ds_bpermute_b32 v18, v1, v36
	ds_bpermute_b32 v19, v1, v37
	v_mul_f64_e32 v[4:5], v[20:21], v[4:5]
	v_mul_f64_e32 v[6:7], v[22:23], v[6:7]
	;; [unrolled: 1-line block ×3, first 2 shown]
	s_mov_b32 s2, 0
	s_wait_dscnt 0x0
	v_fma_f64 v[2:3], v[2:3], v[18:19], v[66:67]
	ds_bpermute_b32 v18, v1, v36 offset:4
	ds_bpermute_b32 v19, v1, v37 offset:4
	s_wait_dscnt 0x0
	v_fma_f64 v[2:3], v[4:5], v[18:19], v[2:3]
	ds_bpermute_b32 v4, v1, v36 offset:8
	ds_bpermute_b32 v5, v1, v37 offset:8
	;; [unrolled: 4-line block ×3, first 2 shown]
	v_mul_f64_e32 v[6:7], v[26:27], v[10:11]
	s_wait_dscnt 0x0
	v_fma_f64 v[2:3], v[8:9], v[4:5], v[2:3]
	ds_bpermute_b32 v4, v1, v36 offset:16
	ds_bpermute_b32 v5, v1, v37 offset:16
	v_mul_f64_e32 v[8:9], v[28:29], v[12:13]
	s_wait_dscnt 0x0
	v_fma_f64 v[2:3], v[6:7], v[4:5], v[2:3]
	ds_bpermute_b32 v4, v1, v36 offset:20
	ds_bpermute_b32 v5, v1, v37 offset:20
	;; [unrolled: 5-line block ×3, first 2 shown]
	s_wait_dscnt 0x0
	v_fma_f64 v[2:3], v[6:7], v[4:5], v[2:3]
	v_mul_f64_e32 v[4:5], v[32:33], v[16:17]
	ds_bpermute_b32 v6, v1, v36 offset:28
	ds_bpermute_b32 v7, v1, v37 offset:28
	s_wait_dscnt 0x0
	v_fma_f64 v[36:37], v[4:5], v[6:7], v[2:3]
.LBB138_74:                             ;   in Loop: Header=BB138_52 Depth=1
	s_wait_alu 0xfffe
	s_and_b32 vcc_lo, exec_lo, s2
	s_wait_alu 0xfffe
	s_cbranch_vccz .LBB138_80
; %bb.75:                               ;   in Loop: Header=BB138_52 Depth=1
	s_load_b32 s2, s[8:9], 0x0
	s_wait_kmcnt 0x0
	s_cmp_lt_u32 ttmp9, s2
	s_cselect_b32 s2, 12, 18
	s_wait_alu 0xfffe
	s_add_nc_u64 s[20:21], s[8:9], s[2:3]
	s_load_u16 s2, s[20:21], 0x0
	s_wait_kmcnt 0x0
	v_mad_u32_u24 v2, v68, s2, v70
	s_mov_b32 s2, exec_lo
	s_delay_alu instid0(VALU_DEP_1) | instskip(SKIP_2) | instid1(VALU_DEP_3)
	v_and_b32_e32 v4, 31, v2
	v_mov_b32_e32 v2, 0
	v_mov_b32_e32 v3, 0
	v_cmpx_gt_u32_e32 8, v4
	s_cbranch_execz .LBB138_79
; %bb.76:                               ;   in Loop: Header=BB138_52 Depth=1
	v_add_co_u32 v2, vcc_lo, v103, v4
	s_wait_alu 0xfffd
	v_add_co_ci_u32_e64 v3, null, 0, v104, vcc_lo
	s_mov_b32 s20, exec_lo
	v_add_co_u32 v4, vcc_lo, 0xffffff01, v2
	s_wait_alu 0xfffd
	v_add_co_ci_u32_e64 v5, null, -1, v3, vcc_lo
	v_mov_b32_e32 v2, 0
	v_mov_b32_e32 v3, 0
	s_delay_alu instid0(VALU_DEP_3)
	v_cmpx_gt_i64_e64 s[4:5], v[4:5]
	s_cbranch_execz .LBB138_78
; %bb.77:                               ;   in Loop: Header=BB138_52 Depth=1
	v_lshlrev_b64_e32 v[2:3], 3, v[4:5]
	s_delay_alu instid0(VALU_DEP_1) | instskip(SKIP_1) | instid1(VALU_DEP_2)
	v_add_co_u32 v2, vcc_lo, s12, v2
	s_wait_alu 0xfffd
	v_add_co_ci_u32_e64 v3, null, s13, v3, vcc_lo
	global_load_b64 v[2:3], v[2:3], off
.LBB138_78:                             ;   in Loop: Header=BB138_52 Depth=1
	s_wait_alu 0xfffe
	s_or_b32 exec_lo, exec_lo, s20
.LBB138_79:                             ;   in Loop: Header=BB138_52 Depth=1
	s_wait_alu 0xfffe
	s_or_b32 exec_lo, exec_lo, s2
	v_add_co_u32 v4, vcc_lo, v71, v34
	s_wait_alu 0xfffd
	v_add_co_ci_u32_e64 v5, null, v72, v35, vcc_lo
	v_add_co_u32 v6, vcc_lo, v73, v34
	s_wait_alu 0xfffd
	v_add_co_ci_u32_e64 v7, null, v74, v35, vcc_lo
	global_load_b64 v[4:5], v[4:5], off
	global_load_b64 v[6:7], v[6:7], off
	v_add_co_u32 v8, vcc_lo, v38, v34
	s_wait_alu 0xfffd
	v_add_co_ci_u32_e64 v9, null, v39, v35, vcc_lo
	v_add_co_u32 v10, vcc_lo, v52, v34
	s_wait_alu 0xfffd
	v_add_co_ci_u32_e64 v11, null, v53, v35, vcc_lo
	global_load_b64 v[8:9], v[8:9], off
	global_load_b64 v[10:11], v[10:11], off
	;; [unrolled: 8-line block ×8, first 2 shown]
	s_wait_loadcnt 0xe
	v_mul_f64_e32 v[4:5], v[4:5], v[6:7]
	ds_bpermute_b32 v6, v1, v2
	ds_bpermute_b32 v7, v1, v3
	s_wait_loadcnt 0xc
	v_mul_f64_e32 v[8:9], v[8:9], v[10:11]
	s_wait_loadcnt 0xa
	v_mul_f64_e32 v[10:11], v[12:13], v[14:15]
	s_wait_dscnt 0x0
	v_fma_f64 v[4:5], v[4:5], v[6:7], v[66:67]
	ds_bpermute_b32 v6, v1, v2 offset:4
	ds_bpermute_b32 v7, v1, v3 offset:4
	s_wait_dscnt 0x0
	v_fma_f64 v[4:5], v[8:9], v[6:7], v[4:5]
	ds_bpermute_b32 v6, v1, v2 offset:8
	ds_bpermute_b32 v7, v1, v3 offset:8
	s_wait_loadcnt 0x8
	v_mul_f64_e32 v[8:9], v[16:17], v[18:19]
	s_wait_dscnt 0x0
	v_fma_f64 v[4:5], v[10:11], v[6:7], v[4:5]
	ds_bpermute_b32 v6, v1, v2 offset:12
	ds_bpermute_b32 v7, v1, v3 offset:12
	s_wait_loadcnt 0x6
	v_mul_f64_e32 v[10:11], v[20:21], v[22:23]
	;; [unrolled: 6-line block ×4, first 2 shown]
	s_wait_dscnt 0x0
	v_fma_f64 v[4:5], v[8:9], v[6:7], v[4:5]
	ds_bpermute_b32 v6, v1, v2 offset:24
	ds_bpermute_b32 v7, v1, v3 offset:24
	;; [unrolled: 1-line block ×4, first 2 shown]
	s_wait_dscnt 0x2
	v_fma_f64 v[4:5], v[10:11], v[6:7], v[4:5]
	s_wait_loadcnt 0x0
	v_mul_f64_e32 v[6:7], v[32:33], v[36:37]
	s_wait_dscnt 0x0
	s_delay_alu instid0(VALU_DEP_1)
	v_fma_f64 v[36:37], v[6:7], v[2:3], v[4:5]
.LBB138_80:                             ;   in Loop: Header=BB138_52 Depth=1
	v_add_co_u32 v71, vcc_lo, v71, s10
	s_wait_alu 0xfffd
	v_add_co_ci_u32_e64 v72, null, s11, v72, vcc_lo
	v_add_co_u32 v73, vcc_lo, v73, s10
	s_wait_alu 0xfffd
	v_add_co_ci_u32_e64 v74, null, s11, v74, vcc_lo
	;; [unrolled: 3-line block ×27, first 2 shown]
	v_add_co_u32 v97, vcc_lo, v97, s10
	s_add_nc_u64 s[14:15], s[14:15], s[16:17]
	s_wait_alu 0xfffd
	v_add_co_ci_u32_e64 v98, null, s11, v98, vcc_lo
	v_add_co_u32 v99, vcc_lo, v99, s10
	s_wait_alu 0xfffe
	v_cmp_ge_i64_e64 s2, s[14:15], s[4:5]
	s_wait_alu 0xfffd
	v_add_co_ci_u32_e64 v100, null, s11, v100, vcc_lo
	v_add_co_u32 v101, vcc_lo, v101, s10
	s_wait_alu 0xfffd
	v_add_co_ci_u32_e64 v102, null, s11, v102, vcc_lo
	s_and_b32 vcc_lo, exec_lo, s2
	s_add_nc_u64 s[18:19], s[18:19], s[16:17]
	s_wait_alu 0xfffe
	s_cbranch_vccnz .LBB138_82
; %bb.81:                               ;   in Loop: Header=BB138_52 Depth=1
	v_dual_mov_b32 v67, v37 :: v_dual_mov_b32 v66, v36
	s_branch .LBB138_52
.LBB138_82:
	v_and_b32_e32 v6, 0x3ff, v0
	v_bfe_u32 v1, v0, 10, 10
	v_bfe_u32 v2, v0, 5, 5
	v_mov_b32_e32 v0, 0
	s_mov_b32 s3, 0
	s_mov_b32 s2, exec_lo
	v_mad_u32_u24 v3, v1, 33, v6
	s_delay_alu instid0(VALU_DEP_2) | instskip(NEXT) | instid1(VALU_DEP_2)
	v_dual_mov_b32 v1, v0 :: v_dual_add_nc_u32 v4, v2, v1
	v_lshl_add_u32 v2, v3, 3, 0
	ds_store_b64 v2, v[36:37]
	ds_store_b64 v2, v[0:1] offset:8448
	s_wait_dscnt 0x0
	s_barrier_signal -1
	s_barrier_wait -1
	global_inv scope:SCOPE_SE
	v_cmpx_gt_u32_e32 32, v4
	s_cbranch_execz .LBB138_85
; %bb.83:
	v_mbcnt_lo_u32_b32 v5, -1, 0
	s_mov_b32 s2, ttmp9
	s_load_b64 s[4:5], s[0:1], 0x30
	s_lshl_b64 s[0:1], s[2:3], 5
	v_and_b32_e32 v0, 31, v6
	v_xor_b32_e32 v2, 16, v5
	s_delay_alu instid0(VALU_DEP_2) | instskip(NEXT) | instid1(VALU_DEP_2)
	v_mul_u32_u24_e32 v0, 0x108, v0
	v_cmp_gt_i32_e32 vcc_lo, 32, v2
	v_lshlrev_b32_e32 v1, 3, v4
	v_or_b32_e32 v4, s0, v4
	v_cmp_eq_u32_e64 s0, 0, v6
	s_wait_alu 0xfffd
	v_cndmask_b32_e32 v2, v5, v2, vcc_lo
	v_add3_u32 v0, 0, v1, v0
	s_delay_alu instid0(VALU_DEP_2)
	v_lshlrev_b32_e32 v3, 2, v2
	ds_load_b64 v[0:1], v0
	s_wait_kmcnt 0x0
	s_cmp_lg_u64 s[4:5], 0
	s_wait_dscnt 0x0
	ds_bpermute_b32 v2, v3, v0
	ds_bpermute_b32 v3, v3, v1
	s_wait_dscnt 0x0
	v_add_f64_e32 v[0:1], v[0:1], v[2:3]
	v_xor_b32_e32 v2, 8, v5
	s_delay_alu instid0(VALU_DEP_1) | instskip(SKIP_2) | instid1(VALU_DEP_1)
	v_cmp_gt_i32_e32 vcc_lo, 32, v2
	s_wait_alu 0xfffd
	v_cndmask_b32_e32 v2, v5, v2, vcc_lo
	v_lshlrev_b32_e32 v3, 2, v2
	ds_bpermute_b32 v2, v3, v0
	ds_bpermute_b32 v3, v3, v1
	s_wait_dscnt 0x0
	v_add_f64_e32 v[0:1], v[0:1], v[2:3]
	v_xor_b32_e32 v2, 4, v5
	s_delay_alu instid0(VALU_DEP_1) | instskip(SKIP_2) | instid1(VALU_DEP_1)
	v_cmp_gt_i32_e32 vcc_lo, 32, v2
	s_wait_alu 0xfffd
	v_cndmask_b32_e32 v2, v5, v2, vcc_lo
	v_lshlrev_b32_e32 v3, 2, v2
	;; [unrolled: 10-line block ×3, first 2 shown]
	ds_bpermute_b32 v2, v3, v0
	ds_bpermute_b32 v3, v3, v1
	s_wait_dscnt 0x0
	v_add_f64_e32 v[0:1], v[0:1], v[2:3]
	v_xor_b32_e32 v2, 1, v5
	s_delay_alu instid0(VALU_DEP_1) | instskip(SKIP_3) | instid1(VALU_DEP_1)
	v_cmp_gt_i32_e32 vcc_lo, 32, v2
	s_wait_alu 0xfffd
	v_dual_cndmask_b32 v2, v5, v2 :: v_dual_mov_b32 v5, s1
	s_cselect_b32 s1, -1, 0
	v_lshlrev_b32_e32 v3, 2, v2
	s_delay_alu instid0(VALU_DEP_2)
	v_cmp_gt_i64_e32 vcc_lo, s[6:7], v[4:5]
	s_and_b32 s0, s0, vcc_lo
	s_wait_alu 0xfffe
	s_and_b32 s0, s1, s0
	ds_bpermute_b32 v2, v3, v0
	ds_bpermute_b32 v3, v3, v1
	s_wait_alu 0xfffe
	s_and_b32 exec_lo, exec_lo, s0
	s_cbranch_execz .LBB138_85
; %bb.84:
	s_wait_dscnt 0x0
	v_add_f64_e32 v[0:1], v[0:1], v[2:3]
	v_lshlrev_b64_e32 v[2:3], 3, v[4:5]
	s_delay_alu instid0(VALU_DEP_1) | instskip(SKIP_1) | instid1(VALU_DEP_2)
	v_add_co_u32 v2, vcc_lo, s4, v2
	s_wait_alu 0xfffd
	v_add_co_ci_u32_e64 v3, null, s5, v3, vcc_lo
	global_store_b64 v[2:3], v[0:1], off
.LBB138_85:
	s_nop 0
	s_sendmsg sendmsg(MSG_DEALLOC_VGPRS)
	s_endpgm
	.section	.rodata,"a",@progbits
	.p2align	6, 0x0
	.amdhsa_kernel _ZN2at6native12_GLOBAL__N_135GammaBetaBackwardCUDAKernelTemplateIddLj32ELj32ELj256ELb0ELb0ELb1EEEvllPKT_S5_PKT0_S8_PS3_S9_
		.amdhsa_group_segment_fixed_size 0
		.amdhsa_private_segment_fixed_size 0
		.amdhsa_kernarg_size 320
		.amdhsa_user_sgpr_count 2
		.amdhsa_user_sgpr_dispatch_ptr 0
		.amdhsa_user_sgpr_queue_ptr 0
		.amdhsa_user_sgpr_kernarg_segment_ptr 1
		.amdhsa_user_sgpr_dispatch_id 0
		.amdhsa_user_sgpr_private_segment_size 0
		.amdhsa_wavefront_size32 1
		.amdhsa_uses_dynamic_stack 0
		.amdhsa_enable_private_segment 0
		.amdhsa_system_sgpr_workgroup_id_x 1
		.amdhsa_system_sgpr_workgroup_id_y 1
		.amdhsa_system_sgpr_workgroup_id_z 0
		.amdhsa_system_sgpr_workgroup_info 0
		.amdhsa_system_vgpr_workitem_id 1
		.amdhsa_next_free_vgpr 107
		.amdhsa_next_free_sgpr 32
		.amdhsa_reserve_vcc 1
		.amdhsa_float_round_mode_32 0
		.amdhsa_float_round_mode_16_64 0
		.amdhsa_float_denorm_mode_32 3
		.amdhsa_float_denorm_mode_16_64 3
		.amdhsa_fp16_overflow 0
		.amdhsa_workgroup_processor_mode 1
		.amdhsa_memory_ordered 1
		.amdhsa_forward_progress 1
		.amdhsa_inst_pref_size 78
		.amdhsa_round_robin_scheduling 0
		.amdhsa_exception_fp_ieee_invalid_op 0
		.amdhsa_exception_fp_denorm_src 0
		.amdhsa_exception_fp_ieee_div_zero 0
		.amdhsa_exception_fp_ieee_overflow 0
		.amdhsa_exception_fp_ieee_underflow 0
		.amdhsa_exception_fp_ieee_inexact 0
		.amdhsa_exception_int_div_zero 0
	.end_amdhsa_kernel
	.section	.text._ZN2at6native12_GLOBAL__N_135GammaBetaBackwardCUDAKernelTemplateIddLj32ELj32ELj256ELb0ELb0ELb1EEEvllPKT_S5_PKT0_S8_PS3_S9_,"axG",@progbits,_ZN2at6native12_GLOBAL__N_135GammaBetaBackwardCUDAKernelTemplateIddLj32ELj32ELj256ELb0ELb0ELb1EEEvllPKT_S5_PKT0_S8_PS3_S9_,comdat
.Lfunc_end138:
	.size	_ZN2at6native12_GLOBAL__N_135GammaBetaBackwardCUDAKernelTemplateIddLj32ELj32ELj256ELb0ELb0ELb1EEEvllPKT_S5_PKT0_S8_PS3_S9_, .Lfunc_end138-_ZN2at6native12_GLOBAL__N_135GammaBetaBackwardCUDAKernelTemplateIddLj32ELj32ELj256ELb0ELb0ELb1EEEvllPKT_S5_PKT0_S8_PS3_S9_
                                        ; -- End function
	.set _ZN2at6native12_GLOBAL__N_135GammaBetaBackwardCUDAKernelTemplateIddLj32ELj32ELj256ELb0ELb0ELb1EEEvllPKT_S5_PKT0_S8_PS3_S9_.num_vgpr, 107
	.set _ZN2at6native12_GLOBAL__N_135GammaBetaBackwardCUDAKernelTemplateIddLj32ELj32ELj256ELb0ELb0ELb1EEEvllPKT_S5_PKT0_S8_PS3_S9_.num_agpr, 0
	.set _ZN2at6native12_GLOBAL__N_135GammaBetaBackwardCUDAKernelTemplateIddLj32ELj32ELj256ELb0ELb0ELb1EEEvllPKT_S5_PKT0_S8_PS3_S9_.numbered_sgpr, 32
	.set _ZN2at6native12_GLOBAL__N_135GammaBetaBackwardCUDAKernelTemplateIddLj32ELj32ELj256ELb0ELb0ELb1EEEvllPKT_S5_PKT0_S8_PS3_S9_.num_named_barrier, 0
	.set _ZN2at6native12_GLOBAL__N_135GammaBetaBackwardCUDAKernelTemplateIddLj32ELj32ELj256ELb0ELb0ELb1EEEvllPKT_S5_PKT0_S8_PS3_S9_.private_seg_size, 0
	.set _ZN2at6native12_GLOBAL__N_135GammaBetaBackwardCUDAKernelTemplateIddLj32ELj32ELj256ELb0ELb0ELb1EEEvllPKT_S5_PKT0_S8_PS3_S9_.uses_vcc, 1
	.set _ZN2at6native12_GLOBAL__N_135GammaBetaBackwardCUDAKernelTemplateIddLj32ELj32ELj256ELb0ELb0ELb1EEEvllPKT_S5_PKT0_S8_PS3_S9_.uses_flat_scratch, 0
	.set _ZN2at6native12_GLOBAL__N_135GammaBetaBackwardCUDAKernelTemplateIddLj32ELj32ELj256ELb0ELb0ELb1EEEvllPKT_S5_PKT0_S8_PS3_S9_.has_dyn_sized_stack, 0
	.set _ZN2at6native12_GLOBAL__N_135GammaBetaBackwardCUDAKernelTemplateIddLj32ELj32ELj256ELb0ELb0ELb1EEEvllPKT_S5_PKT0_S8_PS3_S9_.has_recursion, 0
	.set _ZN2at6native12_GLOBAL__N_135GammaBetaBackwardCUDAKernelTemplateIddLj32ELj32ELj256ELb0ELb0ELb1EEEvllPKT_S5_PKT0_S8_PS3_S9_.has_indirect_call, 0
	.section	.AMDGPU.csdata,"",@progbits
; Kernel info:
; codeLenInByte = 9932
; TotalNumSgprs: 34
; NumVgprs: 107
; ScratchSize: 0
; MemoryBound: 1
; FloatMode: 240
; IeeeMode: 1
; LDSByteSize: 0 bytes/workgroup (compile time only)
; SGPRBlocks: 0
; VGPRBlocks: 13
; NumSGPRsForWavesPerEU: 34
; NumVGPRsForWavesPerEU: 107
; Occupancy: 12
; WaveLimiterHint : 0
; COMPUTE_PGM_RSRC2:SCRATCH_EN: 0
; COMPUTE_PGM_RSRC2:USER_SGPR: 2
; COMPUTE_PGM_RSRC2:TRAP_HANDLER: 0
; COMPUTE_PGM_RSRC2:TGID_X_EN: 1
; COMPUTE_PGM_RSRC2:TGID_Y_EN: 1
; COMPUTE_PGM_RSRC2:TGID_Z_EN: 0
; COMPUTE_PGM_RSRC2:TIDIG_COMP_CNT: 1
	.section	.text._ZN2at6native12_GLOBAL__N_118cuComputeGradInputIffLb1EEEvPKT_S5_llPKT0_S8_S5_PS3_,"axG",@progbits,_ZN2at6native12_GLOBAL__N_118cuComputeGradInputIffLb1EEEvPKT_S5_llPKT0_S8_S5_PS3_,comdat
	.globl	_ZN2at6native12_GLOBAL__N_118cuComputeGradInputIffLb1EEEvPKT_S5_llPKT0_S8_S5_PS3_ ; -- Begin function _ZN2at6native12_GLOBAL__N_118cuComputeGradInputIffLb1EEEvPKT_S5_llPKT0_S8_S5_PS3_
	.p2align	8
	.type	_ZN2at6native12_GLOBAL__N_118cuComputeGradInputIffLb1EEEvPKT_S5_llPKT0_S8_S5_PS3_,@function
_ZN2at6native12_GLOBAL__N_118cuComputeGradInputIffLb1EEEvPKT_S5_llPKT0_S8_S5_PS3_: ; @_ZN2at6native12_GLOBAL__N_118cuComputeGradInputIffLb1EEEvPKT_S5_llPKT0_S8_S5_PS3_
; %bb.0:
	s_load_b128 s[8:11], s[0:1], 0x10
	s_mov_b32 s4, ttmp7
	s_ashr_i32 s5, ttmp7, 31
	s_wait_kmcnt 0x0
	v_cmp_le_i64_e64 s2, s[8:9], s[4:5]
	s_and_b32 vcc_lo, exec_lo, s2
	s_cbranch_vccnz .LBB139_47
; %bb.1:
	s_clause 0x2
	s_load_b32 s2, s[0:1], 0x4c
	s_load_b128 s[12:15], s[0:1], 0x30
	s_load_b32 s27, s[0:1], 0x44
	s_cls_i32 s3, s11
	v_bfe_u32 v10, v0, 10, 10
	v_cmp_gt_i64_e64 s34, s[10:11], 0
	v_mbcnt_lo_u32_b32 v12, -1, 0
	s_mov_b32 s26, ttmp7
	v_cndmask_b32_e64 v11, 0, 1, s34
	s_wait_kmcnt 0x0
	s_lshr_b32 s28, s2, 16
	s_and_b32 s29, s2, 0xffff
	s_cmp_lg_u64 s[12:13], 0
	s_mul_i32 s35, s28, s29
	s_cselect_b32 s30, -1, 0
	s_cmp_gt_u32 s29, 1
	s_cselect_b32 s31, -1, 0
	s_cmp_gt_u32 s28, 1
	s_cselect_b32 s33, -1, 0
	s_xor_b32 s2, s10, s11
	s_add_co_i32 s3, s3, -1
	s_ashr_i32 s2, s2, 31
	s_wait_alu 0xfffe
	s_ashr_i32 s36, s35, 31
	s_add_co_i32 s2, s2, 32
	s_delay_alu instid0(SALU_CYCLE_1) | instskip(NEXT) | instid1(SALU_CYCLE_1)
	s_min_u32 s6, s3, s2
	s_lshl_b64 s[2:3], s[10:11], s6
	s_delay_alu instid0(SALU_CYCLE_1) | instskip(NEXT) | instid1(SALU_CYCLE_1)
	s_min_u32 s2, s2, 1
	s_or_b32 s2, s3, s2
	s_sub_co_i32 s3, 32, s6
	s_cvt_f32_i32 s2, s2
	s_clause 0x1
	s_load_b128 s[16:19], s[0:1], 0x0
	s_load_b64 s[6:7], s[0:1], 0x28
	v_cmp_eq_u32_e64 s0, 0, v10
	v_cmp_ne_u32_e64 s1, 0, v10
	v_ldexp_f32 v8, s2, s3
	s_delay_alu instid0(VALU_DEP_1) | instskip(SKIP_1) | instid1(VALU_DEP_2)
	v_div_scale_f32 v1, null, v8, v8, 1.0
	v_div_scale_f32 v4, vcc_lo, 1.0, v8, 1.0
	v_rcp_f32_e32 v2, v1
	v_xor_b32_e32 v3, 0x80000000, v1
	s_delay_alu instid0(TRANS32_DEP_1) | instid1(VALU_DEP_1)
	v_fma_f32 v1, v3, v2, 1.0
	s_delay_alu instid0(VALU_DEP_1) | instskip(NEXT) | instid1(VALU_DEP_1)
	v_dual_fmac_f32 v2, v1, v2 :: v_dual_and_b32 v9, 0x3ff, v0
	v_mad_u32_u24 v0, v10, s29, v9
	v_dual_mov_b32 v1, 0 :: v_dual_lshlrev_b32 v6, 3, v9
	s_delay_alu instid0(VALU_DEP_3) | instskip(NEXT) | instid1(VALU_DEP_2)
	v_mul_f32_e32 v5, v4, v2
	v_cmp_gt_i64_e64 s2, s[10:11], v[0:1]
	s_delay_alu instid0(VALU_DEP_3) | instskip(NEXT) | instid1(VALU_DEP_3)
	v_add_nc_u32_e32 v15, 0, v6
	v_fma_f32 v7, v3, v5, v4
	s_delay_alu instid0(VALU_DEP_1) | instskip(SKIP_1) | instid1(VALU_DEP_2)
	v_fmac_f32_e32 v5, v7, v2
	v_lshlrev_b32_e32 v13, 3, v0
	v_dual_fmac_f32 v4, v3, v5 :: v_dual_add_nc_u32 v7, s35, v0
	s_delay_alu instid0(VALU_DEP_2) | instskip(NEXT) | instid1(VALU_DEP_2)
	v_add_nc_u32_e32 v13, 0, v13
	v_ashrrev_i32_e32 v3, 31, v7
	s_delay_alu instid0(VALU_DEP_3) | instskip(SKIP_2) | instid1(VALU_DEP_3)
	v_div_fmas_f32 v4, v4, v2, v5
	v_sub_co_u32 v2, vcc_lo, v7, s35
	s_wait_alu 0xfffd
	v_subrev_co_ci_u32_e64 v3, null, s36, v3, vcc_lo
	s_delay_alu instid0(VALU_DEP_3)
	v_div_fixup_f32 v14, v4, v8, 1.0
	s_branch .LBB139_4
.LBB139_2:                              ;   in Loop: Header=BB139_4 Depth=1
	s_or_b32 exec_lo, exec_lo, s24
.LBB139_3:                              ;   in Loop: Header=BB139_4 Depth=1
	s_add_co_i32 s4, s27, s26
	s_wait_storecnt 0x0
	s_wait_loadcnt_dscnt 0x0
	s_wait_alu 0xfffe
	s_ashr_i32 s5, s4, 31
	s_mov_b32 s26, s4
	s_wait_alu 0xfffe
	v_cmp_le_i64_e64 s3, s[8:9], s[4:5]
	s_barrier_signal -1
	s_barrier_wait -1
	global_inv scope:SCOPE_SE
	s_and_b32 vcc_lo, exec_lo, s3
	s_wait_alu 0xfffe
	s_cbranch_vccnz .LBB139_47
.LBB139_4:                              ; =>This Loop Header: Depth=1
                                        ;     Child Loop BB139_8 Depth 2
                                        ;     Child Loop BB139_19 Depth 2
	;; [unrolled: 1-line block ×6, first 2 shown]
	s_lshl_b64 s[20:21], s[4:5], 2
	s_mul_u64 s[4:5], s[4:5], s[10:11]
	s_wait_kmcnt 0x0
	s_wait_alu 0xfffe
	s_add_nc_u64 s[20:21], s[6:7], s[20:21]
	v_cmp_ne_u32_e64 s3, 1, v11
	s_load_b32 s37, s[20:21], 0x0
	s_lshl_b64 s[24:25], s[4:5], 2
	s_and_not1_b32 vcc_lo, exec_lo, s30
	s_add_nc_u64 s[20:21], s[18:19], s[24:25]
	s_add_nc_u64 s[22:23], s[16:17], s[24:25]
	s_mov_b32 s4, -1
                                        ; implicit-def: $vgpr16
	s_wait_alu 0xfffe
	s_cbranch_vccnz .LBB139_15
; %bb.5:                                ;   in Loop: Header=BB139_4 Depth=1
	v_mov_b32_e32 v16, 0
	s_and_b32 vcc_lo, exec_lo, s3
	s_wait_alu 0xfffe
	s_cbranch_vccnz .LBB139_14
; %bb.6:                                ;   in Loop: Header=BB139_4 Depth=1
	s_mov_b32 s4, 0
	s_branch .LBB139_8
.LBB139_7:                              ;   in Loop: Header=BB139_8 Depth=2
	s_wait_alu 0xfffe
	s_or_b32 exec_lo, exec_lo, s3
	s_wait_loadcnt 0x0
	v_mul_f32_e32 v4, v6, v17
	s_add_co_i32 s4, s4, s35
	s_wait_alu 0xfffe
	s_ashr_i32 s5, s4, 31
	s_wait_alu 0xfffe
	v_cmp_le_i64_e64 s3, s[10:11], s[4:5]
	v_mul_f32_e32 v4, v7, v4
	s_wait_kmcnt 0x0
	s_delay_alu instid0(VALU_DEP_1)
	v_fmac_f32_e32 v16, s37, v4
	s_and_b32 vcc_lo, exec_lo, s3
	s_wait_alu 0xfffe
	s_cbranch_vccnz .LBB139_14
.LBB139_8:                              ;   Parent Loop BB139_4 Depth=1
                                        ; =>  This Inner Loop Header: Depth=2
	s_wait_alu 0xfffe
	v_add_nc_u32_e32 v4, s4, v0
	v_mov_b32_e32 v6, 0
	s_delay_alu instid0(VALU_DEP_2) | instskip(NEXT) | instid1(VALU_DEP_1)
	v_ashrrev_i32_e32 v5, 31, v4
	v_cmp_gt_i64_e32 vcc_lo, s[10:11], v[4:5]
	v_lshlrev_b64_e32 v[4:5], 2, v[4:5]
	s_and_saveexec_b32 s5, vcc_lo
	s_cbranch_execz .LBB139_10
; %bb.9:                                ;   in Loop: Header=BB139_8 Depth=2
	s_delay_alu instid0(VALU_DEP_1) | instskip(SKIP_1) | instid1(VALU_DEP_2)
	v_add_co_u32 v6, s3, s12, v4
	s_wait_alu 0xf1ff
	v_add_co_ci_u32_e64 v7, null, s13, v5, s3
	global_load_b32 v6, v[6:7], off
.LBB139_10:                             ;   in Loop: Header=BB139_8 Depth=2
	s_wait_alu 0xfffe
	s_or_b32 exec_lo, exec_lo, s5
	v_mov_b32_e32 v17, 0
	v_mov_b32_e32 v7, 0
	s_and_saveexec_b32 s5, vcc_lo
	s_cbranch_execz .LBB139_12
; %bb.11:                               ;   in Loop: Header=BB139_8 Depth=2
	v_add_co_u32 v18, s3, s20, v4
	s_wait_alu 0xf1ff
	v_add_co_ci_u32_e64 v19, null, s21, v5, s3
	global_load_b32 v7, v[18:19], off
.LBB139_12:                             ;   in Loop: Header=BB139_8 Depth=2
	s_wait_alu 0xfffe
	s_or_b32 exec_lo, exec_lo, s5
	s_and_saveexec_b32 s3, vcc_lo
	s_cbranch_execz .LBB139_7
; %bb.13:                               ;   in Loop: Header=BB139_8 Depth=2
	v_add_co_u32 v4, vcc_lo, s22, v4
	s_wait_alu 0xfffd
	v_add_co_ci_u32_e64 v5, null, s23, v5, vcc_lo
	global_load_b32 v17, v[4:5], off
	s_branch .LBB139_7
.LBB139_14:                             ;   in Loop: Header=BB139_4 Depth=1
	s_mov_b32 s4, 0
.LBB139_15:                             ;   in Loop: Header=BB139_4 Depth=1
	s_wait_alu 0xfffe
	s_and_not1_b32 vcc_lo, exec_lo, s4
	s_wait_alu 0xfffe
	s_cbranch_vccnz .LBB139_23
; %bb.16:                               ;   in Loop: Header=BB139_4 Depth=1
	v_mov_b32_e32 v16, 0
	s_and_not1_b32 vcc_lo, exec_lo, s34
	s_wait_alu 0xfffe
	s_cbranch_vccnz .LBB139_23
; %bb.17:                               ;   in Loop: Header=BB139_4 Depth=1
	s_mov_b32 s4, 0
	s_branch .LBB139_19
.LBB139_18:                             ;   in Loop: Header=BB139_19 Depth=2
	s_wait_alu 0xfffe
	s_or_b32 exec_lo, exec_lo, s3
	s_add_co_i32 s4, s4, s35
	s_wait_loadcnt 0x0
	v_mul_f32_e32 v4, v6, v7
	s_wait_alu 0xfffe
	s_ashr_i32 s5, s4, 31
	s_wait_alu 0xfffe
	v_cmp_le_i64_e64 s3, s[10:11], s[4:5]
	s_wait_kmcnt 0x0
	v_fmac_f32_e32 v16, s37, v4
	s_and_b32 vcc_lo, exec_lo, s3
	s_wait_alu 0xfffe
	s_cbranch_vccnz .LBB139_23
.LBB139_19:                             ;   Parent Loop BB139_4 Depth=1
                                        ; =>  This Inner Loop Header: Depth=2
	s_wait_alu 0xfffe
	v_add_nc_u32_e32 v4, s4, v0
	v_mov_b32_e32 v6, 0
	s_delay_alu instid0(VALU_DEP_2) | instskip(NEXT) | instid1(VALU_DEP_1)
	v_ashrrev_i32_e32 v5, 31, v4
	v_cmp_gt_i64_e32 vcc_lo, s[10:11], v[4:5]
	v_lshlrev_b64_e32 v[4:5], 2, v[4:5]
	s_and_saveexec_b32 s5, vcc_lo
	s_cbranch_execz .LBB139_21
; %bb.20:                               ;   in Loop: Header=BB139_19 Depth=2
	s_delay_alu instid0(VALU_DEP_1) | instskip(SKIP_1) | instid1(VALU_DEP_2)
	v_add_co_u32 v6, s3, s20, v4
	s_wait_alu 0xf1ff
	v_add_co_ci_u32_e64 v7, null, s21, v5, s3
	global_load_b32 v6, v[6:7], off
.LBB139_21:                             ;   in Loop: Header=BB139_19 Depth=2
	s_wait_alu 0xfffe
	s_or_b32 exec_lo, exec_lo, s5
	v_mov_b32_e32 v7, 0
	s_and_saveexec_b32 s3, vcc_lo
	s_cbranch_execz .LBB139_18
; %bb.22:                               ;   in Loop: Header=BB139_19 Depth=2
	v_add_co_u32 v4, vcc_lo, s22, v4
	s_wait_alu 0xfffd
	v_add_co_ci_u32_e64 v5, null, s23, v5, vcc_lo
	global_load_b32 v7, v[4:5], off
	s_branch .LBB139_18
.LBB139_23:                             ;   in Loop: Header=BB139_4 Depth=1
	s_and_not1_b32 vcc_lo, exec_lo, s31
	s_wait_alu 0xfffe
	s_cbranch_vccnz .LBB139_26
; %bb.24:                               ;   in Loop: Header=BB139_4 Depth=1
	s_mov_b32 s3, s29
.LBB139_25:                             ;   Parent Loop BB139_4 Depth=1
                                        ; =>  This Inner Loop Header: Depth=2
	s_wait_alu 0xfffe
	s_lshr_b32 s4, s3, 1
	s_cmp_lt_u32 s3, 4
	s_wait_alu 0xfffe
	v_xor_b32_e32 v4, s4, v12
	s_mov_b32 s3, s4
	s_delay_alu instid0(VALU_DEP_1) | instskip(SKIP_2) | instid1(VALU_DEP_1)
	v_cmp_gt_i32_e32 vcc_lo, 32, v4
	s_wait_alu 0xfffd
	v_cndmask_b32_e32 v4, v12, v4, vcc_lo
	v_lshlrev_b32_e32 v4, 2, v4
	ds_bpermute_b32 v4, v4, v16
	s_wait_dscnt 0x0
	v_add_f32_e32 v16, v16, v4
	s_cbranch_scc0 .LBB139_25
.LBB139_26:                             ;   in Loop: Header=BB139_4 Depth=1
	s_and_not1_b32 vcc_lo, exec_lo, s33
	s_mov_b32 s5, s28
	s_wait_alu 0xfffe
	s_cbranch_vccnz .LBB139_38
.LBB139_27:                             ;   Parent Loop BB139_4 Depth=1
                                        ; =>  This Inner Loop Header: Depth=2
	s_wait_alu 0xfffe
	s_lshr_b32 s38, s5, 1
	s_and_b32 s4, s5, 0xfffe
	s_wait_alu 0xfffe
	v_cmp_le_u32_e64 s3, s38, v10
	v_cmp_gt_u32_e64 s4, s4, v10
	v_cmp_gt_u32_e32 vcc_lo, s38, v10
	s_and_b32 s4, s3, s4
	s_wait_alu 0xfffe
	s_and_saveexec_b32 s3, s4
	s_cbranch_execz .LBB139_29
; %bb.28:                               ;   in Loop: Header=BB139_27 Depth=2
	v_subrev_nc_u32_e32 v4, s38, v10
	s_delay_alu instid0(VALU_DEP_1) | instskip(NEXT) | instid1(VALU_DEP_1)
	v_mad_u32_u24 v4, v4, s29, v9
	v_lshl_add_u32 v4, v4, 3, 0
	ds_store_b32 v4, v16 offset:4
.LBB139_29:                             ;   in Loop: Header=BB139_27 Depth=2
	s_wait_alu 0xfffe
	s_or_b32 exec_lo, exec_lo, s3
	s_wait_dscnt 0x0
	s_barrier_signal -1
	s_barrier_wait -1
	global_inv scope:SCOPE_SE
	s_and_saveexec_b32 s3, vcc_lo
	s_cbranch_execz .LBB139_31
; %bb.30:                               ;   in Loop: Header=BB139_27 Depth=2
	ds_load_b32 v4, v13 offset:4
	s_wait_dscnt 0x0
	v_add_f32_e32 v16, v16, v4
.LBB139_31:                             ;   in Loop: Header=BB139_27 Depth=2
	s_wait_alu 0xfffe
	s_or_b32 exec_lo, exec_lo, s3
	s_cmp_lt_u32 s5, 4
	s_wait_loadcnt 0x0
	s_barrier_signal -1
	s_barrier_wait -1
	global_inv scope:SCOPE_SE
	s_cbranch_scc1 .LBB139_33
; %bb.32:                               ;   in Loop: Header=BB139_27 Depth=2
	s_mov_b32 s5, s38
	s_branch .LBB139_27
.LBB139_33:                             ;   in Loop: Header=BB139_4 Depth=1
	s_and_saveexec_b32 s3, s0
; %bb.34:                               ;   in Loop: Header=BB139_4 Depth=1
	ds_store_b32 v15, v16 offset:4
; %bb.35:                               ;   in Loop: Header=BB139_4 Depth=1
	s_wait_alu 0xfffe
	s_or_b32 exec_lo, exec_lo, s3
	s_wait_loadcnt_dscnt 0x0
	s_barrier_signal -1
	s_barrier_wait -1
	global_inv scope:SCOPE_SE
	s_and_saveexec_b32 s3, s1
; %bb.36:                               ;   in Loop: Header=BB139_4 Depth=1
	ds_load_b32 v16, v15 offset:4
; %bb.37:                               ;   in Loop: Header=BB139_4 Depth=1
	s_wait_alu 0xfffe
	s_or_b32 exec_lo, exec_lo, s3
.LBB139_38:                             ;   in Loop: Header=BB139_4 Depth=1
	s_wait_kmcnt 0x0
	v_mul_f32_e32 v17, s37, v14
	s_and_not1_b32 vcc_lo, exec_lo, s30
	s_add_nc_u64 s[4:5], s[14:15], s[24:25]
	s_wait_alu 0xfffe
	s_cbranch_vccnz .LBB139_43
; %bb.39:                               ;   in Loop: Header=BB139_4 Depth=1
	s_and_saveexec_b32 s24, s2
	s_cbranch_execz .LBB139_42
; %bb.40:                               ;   in Loop: Header=BB139_4 Depth=1
	v_dual_mov_b32 v5, v3 :: v_dual_mov_b32 v4, v2
	v_dual_mov_b32 v7, v1 :: v_dual_mov_b32 v6, v0
	s_mov_b32 s25, 0
.LBB139_41:                             ;   Parent Loop BB139_4 Depth=1
                                        ; =>  This Inner Loop Header: Depth=2
	s_delay_alu instid0(VALU_DEP_1) | instskip(NEXT) | instid1(VALU_DEP_1)
	v_lshlrev_b64_e32 v[18:19], 2, v[6:7]
	v_add_co_u32 v6, vcc_lo, s20, v18
	s_wait_alu 0xfffd
	s_delay_alu instid0(VALU_DEP_2)
	v_add_co_ci_u32_e64 v7, null, s21, v19, vcc_lo
	v_add_co_u32 v20, vcc_lo, s22, v18
	s_wait_alu 0xfffd
	v_add_co_ci_u32_e64 v21, null, s23, v19, vcc_lo
	v_add_co_u32 v22, vcc_lo, s12, v18
	s_wait_alu 0xfffd
	v_add_co_ci_u32_e64 v23, null, s13, v19, vcc_lo
	global_load_b32 v6, v[6:7], off
	global_load_b32 v7, v[20:21], off
	;; [unrolled: 1-line block ×3, first 2 shown]
	v_add_co_u32 v4, vcc_lo, v4, s35
	s_wait_alu 0xfffd
	v_add_co_ci_u32_e64 v5, null, s36, v5, vcc_lo
	v_add_co_u32 v18, s3, s4, v18
	s_wait_alu 0xf1ff
	v_add_co_ci_u32_e64 v19, null, s5, v19, s3
	s_delay_alu instid0(VALU_DEP_3)
	v_cmp_le_i64_e32 vcc_lo, s[10:11], v[4:5]
	s_or_b32 s25, vcc_lo, s25
	s_wait_loadcnt 0x1
	v_dual_mul_f32 v6, s37, v6 :: v_dual_mul_f32 v21, v7, v8
	v_ashrrev_i32_e32 v7, 31, v4
	s_wait_dscnt 0x0
	s_delay_alu instid0(VALU_DEP_2) | instskip(SKIP_1) | instid1(VALU_DEP_1)
	v_mul_f32_e32 v6, v16, v6
	s_wait_loadcnt 0x0
	v_fma_f32 v6, v21, v20, -v6
	s_delay_alu instid0(VALU_DEP_1)
	v_mul_f32_e32 v20, v17, v6
	v_mov_b32_e32 v6, v4
	global_store_b32 v[18:19], v20, off
	s_and_not1_b32 exec_lo, exec_lo, s25
	s_cbranch_execnz .LBB139_41
.LBB139_42:                             ;   in Loop: Header=BB139_4 Depth=1
	s_or_b32 exec_lo, exec_lo, s24
	s_cbranch_execnz .LBB139_3
	s_branch .LBB139_44
.LBB139_43:                             ;   in Loop: Header=BB139_4 Depth=1
.LBB139_44:                             ;   in Loop: Header=BB139_4 Depth=1
	s_and_saveexec_b32 s24, s2
	s_cbranch_execz .LBB139_2
; %bb.45:                               ;   in Loop: Header=BB139_4 Depth=1
	v_dual_mov_b32 v5, v3 :: v_dual_mov_b32 v4, v2
	v_dual_mov_b32 v7, v1 :: v_dual_mov_b32 v6, v0
	s_mov_b32 s25, 0
.LBB139_46:                             ;   Parent Loop BB139_4 Depth=1
                                        ; =>  This Inner Loop Header: Depth=2
	s_delay_alu instid0(VALU_DEP_1) | instskip(NEXT) | instid1(VALU_DEP_1)
	v_lshlrev_b64_e32 v[18:19], 2, v[6:7]
	v_add_co_u32 v6, vcc_lo, s20, v18
	s_wait_alu 0xfffd
	s_delay_alu instid0(VALU_DEP_2)
	v_add_co_ci_u32_e64 v7, null, s21, v19, vcc_lo
	global_load_b32 v20, v[6:7], off
	v_add_co_u32 v6, vcc_lo, s22, v18
	s_wait_alu 0xfffd
	v_add_co_ci_u32_e64 v7, null, s23, v19, vcc_lo
	v_add_co_u32 v4, vcc_lo, v4, s35
	s_wait_alu 0xfffd
	v_add_co_ci_u32_e64 v5, null, s36, v5, vcc_lo
	global_load_b32 v6, v[6:7], off
	v_add_co_u32 v18, s3, s4, v18
	v_cmp_le_i64_e32 vcc_lo, s[10:11], v[4:5]
	s_wait_alu 0xf1ff
	v_add_co_ci_u32_e64 v19, null, s5, v19, s3
	s_or_b32 s25, vcc_lo, s25
	s_wait_loadcnt 0x1
	v_mul_f32_e32 v7, s37, v20
	s_wait_dscnt 0x0
	s_delay_alu instid0(VALU_DEP_1) | instskip(SKIP_2) | instid1(VALU_DEP_2)
	v_mul_f32_e32 v20, v16, v7
	v_ashrrev_i32_e32 v7, 31, v4
	s_wait_loadcnt 0x0
	v_fma_f32 v6, v6, v8, -v20
	s_delay_alu instid0(VALU_DEP_1)
	v_mul_f32_e32 v20, v17, v6
	v_mov_b32_e32 v6, v4
	global_store_b32 v[18:19], v20, off
	s_and_not1_b32 exec_lo, exec_lo, s25
	s_cbranch_execnz .LBB139_46
	s_branch .LBB139_2
.LBB139_47:
	s_endpgm
	.section	.rodata,"a",@progbits
	.p2align	6, 0x0
	.amdhsa_kernel _ZN2at6native12_GLOBAL__N_118cuComputeGradInputIffLb1EEEvPKT_S5_llPKT0_S8_S5_PS3_
		.amdhsa_group_segment_fixed_size 0
		.amdhsa_private_segment_fixed_size 0
		.amdhsa_kernarg_size 320
		.amdhsa_user_sgpr_count 2
		.amdhsa_user_sgpr_dispatch_ptr 0
		.amdhsa_user_sgpr_queue_ptr 0
		.amdhsa_user_sgpr_kernarg_segment_ptr 1
		.amdhsa_user_sgpr_dispatch_id 0
		.amdhsa_user_sgpr_private_segment_size 0
		.amdhsa_wavefront_size32 1
		.amdhsa_uses_dynamic_stack 0
		.amdhsa_enable_private_segment 0
		.amdhsa_system_sgpr_workgroup_id_x 1
		.amdhsa_system_sgpr_workgroup_id_y 1
		.amdhsa_system_sgpr_workgroup_id_z 0
		.amdhsa_system_sgpr_workgroup_info 0
		.amdhsa_system_vgpr_workitem_id 1
		.amdhsa_next_free_vgpr 24
		.amdhsa_next_free_sgpr 39
		.amdhsa_reserve_vcc 1
		.amdhsa_float_round_mode_32 0
		.amdhsa_float_round_mode_16_64 0
		.amdhsa_float_denorm_mode_32 3
		.amdhsa_float_denorm_mode_16_64 3
		.amdhsa_fp16_overflow 0
		.amdhsa_workgroup_processor_mode 1
		.amdhsa_memory_ordered 1
		.amdhsa_forward_progress 1
		.amdhsa_inst_pref_size 16
		.amdhsa_round_robin_scheduling 0
		.amdhsa_exception_fp_ieee_invalid_op 0
		.amdhsa_exception_fp_denorm_src 0
		.amdhsa_exception_fp_ieee_div_zero 0
		.amdhsa_exception_fp_ieee_overflow 0
		.amdhsa_exception_fp_ieee_underflow 0
		.amdhsa_exception_fp_ieee_inexact 0
		.amdhsa_exception_int_div_zero 0
	.end_amdhsa_kernel
	.section	.text._ZN2at6native12_GLOBAL__N_118cuComputeGradInputIffLb1EEEvPKT_S5_llPKT0_S8_S5_PS3_,"axG",@progbits,_ZN2at6native12_GLOBAL__N_118cuComputeGradInputIffLb1EEEvPKT_S5_llPKT0_S8_S5_PS3_,comdat
.Lfunc_end139:
	.size	_ZN2at6native12_GLOBAL__N_118cuComputeGradInputIffLb1EEEvPKT_S5_llPKT0_S8_S5_PS3_, .Lfunc_end139-_ZN2at6native12_GLOBAL__N_118cuComputeGradInputIffLb1EEEvPKT_S5_llPKT0_S8_S5_PS3_
                                        ; -- End function
	.set _ZN2at6native12_GLOBAL__N_118cuComputeGradInputIffLb1EEEvPKT_S5_llPKT0_S8_S5_PS3_.num_vgpr, 24
	.set _ZN2at6native12_GLOBAL__N_118cuComputeGradInputIffLb1EEEvPKT_S5_llPKT0_S8_S5_PS3_.num_agpr, 0
	.set _ZN2at6native12_GLOBAL__N_118cuComputeGradInputIffLb1EEEvPKT_S5_llPKT0_S8_S5_PS3_.numbered_sgpr, 39
	.set _ZN2at6native12_GLOBAL__N_118cuComputeGradInputIffLb1EEEvPKT_S5_llPKT0_S8_S5_PS3_.num_named_barrier, 0
	.set _ZN2at6native12_GLOBAL__N_118cuComputeGradInputIffLb1EEEvPKT_S5_llPKT0_S8_S5_PS3_.private_seg_size, 0
	.set _ZN2at6native12_GLOBAL__N_118cuComputeGradInputIffLb1EEEvPKT_S5_llPKT0_S8_S5_PS3_.uses_vcc, 1
	.set _ZN2at6native12_GLOBAL__N_118cuComputeGradInputIffLb1EEEvPKT_S5_llPKT0_S8_S5_PS3_.uses_flat_scratch, 0
	.set _ZN2at6native12_GLOBAL__N_118cuComputeGradInputIffLb1EEEvPKT_S5_llPKT0_S8_S5_PS3_.has_dyn_sized_stack, 0
	.set _ZN2at6native12_GLOBAL__N_118cuComputeGradInputIffLb1EEEvPKT_S5_llPKT0_S8_S5_PS3_.has_recursion, 0
	.set _ZN2at6native12_GLOBAL__N_118cuComputeGradInputIffLb1EEEvPKT_S5_llPKT0_S8_S5_PS3_.has_indirect_call, 0
	.section	.AMDGPU.csdata,"",@progbits
; Kernel info:
; codeLenInByte = 1952
; TotalNumSgprs: 41
; NumVgprs: 24
; ScratchSize: 0
; MemoryBound: 0
; FloatMode: 240
; IeeeMode: 1
; LDSByteSize: 0 bytes/workgroup (compile time only)
; SGPRBlocks: 0
; VGPRBlocks: 2
; NumSGPRsForWavesPerEU: 41
; NumVGPRsForWavesPerEU: 24
; Occupancy: 16
; WaveLimiterHint : 0
; COMPUTE_PGM_RSRC2:SCRATCH_EN: 0
; COMPUTE_PGM_RSRC2:USER_SGPR: 2
; COMPUTE_PGM_RSRC2:TRAP_HANDLER: 0
; COMPUTE_PGM_RSRC2:TGID_X_EN: 1
; COMPUTE_PGM_RSRC2:TGID_Y_EN: 1
; COMPUTE_PGM_RSRC2:TGID_Z_EN: 0
; COMPUTE_PGM_RSRC2:TIDIG_COMP_CNT: 1
	.section	.text._ZN2at6native12_GLOBAL__N_128layer_norm_grad_input_kernelIffLb1EEEvPKT_S5_PKT0_S8_S5_PS3_i,"axG",@progbits,_ZN2at6native12_GLOBAL__N_128layer_norm_grad_input_kernelIffLb1EEEvPKT_S5_PKT0_S8_S5_PS3_i,comdat
	.globl	_ZN2at6native12_GLOBAL__N_128layer_norm_grad_input_kernelIffLb1EEEvPKT_S5_PKT0_S8_S5_PS3_i ; -- Begin function _ZN2at6native12_GLOBAL__N_128layer_norm_grad_input_kernelIffLb1EEEvPKT_S5_PKT0_S8_S5_PS3_i
	.p2align	8
	.type	_ZN2at6native12_GLOBAL__N_128layer_norm_grad_input_kernelIffLb1EEEvPKT_S5_PKT0_S8_S5_PS3_i,@function
_ZN2at6native12_GLOBAL__N_128layer_norm_grad_input_kernelIffLb1EEEvPKT_S5_PKT0_S8_S5_PS3_i: ; @_ZN2at6native12_GLOBAL__N_128layer_norm_grad_input_kernelIffLb1EEEvPKT_S5_PKT0_S8_S5_PS3_i
; %bb.0:
	s_clause 0x1
	s_load_b128 s[4:7], s[0:1], 0x18
	s_load_b32 s12, s[0:1], 0x30
	s_mov_b32 s2, ttmp9
	s_mov_b32 s3, 0
	s_load_b128 s[8:11], s[0:1], 0x0
	s_lshl_b64 s[14:15], s[2:3], 2
	v_lshlrev_b32_e32 v1, 2, v0
	v_mov_b32_e32 v9, 0
	s_delay_alu instid0(VALU_DEP_2)
	v_or_b32_e32 v2, 3, v1
	s_wait_kmcnt 0x0
	s_add_nc_u64 s[4:5], s[4:5], s[14:15]
	s_ashr_i32 s13, s12, 31
	s_load_b32 s18, s[4:5], 0x0
	s_mul_u64 s[4:5], s[12:13], s[2:3]
	s_mov_b32 s2, exec_lo
	s_lshl_b64 s[16:17], s[4:5], 2
	s_delay_alu instid0(SALU_CYCLE_1)
	s_add_nc_u64 s[4:5], s[10:11], s[16:17]
	s_add_nc_u64 s[14:15], s[8:9], s[16:17]
	v_cmpx_gt_u32_e64 s12, v2
	s_cbranch_execz .LBB140_12
; %bb.1:
	s_load_b32 s19, s[0:1], 0x44
	s_cmp_lg_u64 s[6:7], 0
	v_dual_mov_b32 v2, 0 :: v_dual_mov_b32 v9, 0
	s_cselect_b32 s13, -1, 0
	s_wait_kmcnt 0x0
	s_and_b32 s19, s19, 0xffff
	s_delay_alu instid0(SALU_CYCLE_1)
	s_lshl_b32 s19, s19, 2
	s_branch .LBB140_3
.LBB140_2:                              ;   in Loop: Header=BB140_3 Depth=1
	global_load_b32 v5, v[5:6], off offset:12
	global_load_b32 v3, v[3:4], off offset:12
	v_add_nc_u32_e32 v1, s19, v1
	s_wait_loadcnt 0x1
	v_mul_f32_e32 v5, v14, v5
	s_wait_loadcnt 0x0
	s_delay_alu instid0(VALU_DEP_1) | instskip(SKIP_1) | instid1(VALU_DEP_1)
	v_dual_mul_f32 v6, v10, v16 :: v_dual_mul_f32 v3, v3, v5
	v_mul_f32_e32 v4, v11, v13
	v_mul_f32_e32 v4, v12, v4
	s_delay_alu instid0(VALU_DEP_1) | instskip(NEXT) | instid1(VALU_DEP_1)
	v_dual_fmac_f32 v9, s18, v4 :: v_dual_mul_f32 v4, v15, v6
	v_dual_mul_f32 v6, v18, v19 :: v_dual_fmac_f32 v9, s18, v4
	s_delay_alu instid0(VALU_DEP_1) | instskip(NEXT) | instid1(VALU_DEP_1)
	v_mul_f32_e32 v4, v17, v6
	v_dual_fmac_f32 v9, s18, v4 :: v_dual_add_nc_u32 v6, 3, v1
	s_delay_alu instid0(VALU_DEP_1) | instskip(NEXT) | instid1(VALU_DEP_2)
	v_cmp_le_u32_e32 vcc_lo, s12, v6
	v_fmac_f32_e32 v9, s18, v3
	s_or_b32 s3, vcc_lo, s3
	s_delay_alu instid0(SALU_CYCLE_1)
	s_and_not1_b32 exec_lo, exec_lo, s3
	s_cbranch_execz .LBB140_11
.LBB140_3:                              ; =>This Inner Loop Header: Depth=1
	v_lshlrev_b64_e32 v[7:8], 2, v[1:2]
	v_dual_mov_b32 v10, 1.0 :: v_dual_mov_b32 v11, 1.0
	s_wait_alu 0xfffe
	s_and_b32 vcc_lo, exec_lo, s13
	s_wait_alu 0xfffe
	s_cbranch_vccz .LBB140_5
; %bb.4:                                ;   in Loop: Header=BB140_3 Depth=1
	v_add_co_u32 v3, vcc_lo, s6, v7
	s_wait_alu 0xfffd
	v_add_co_ci_u32_e64 v4, null, s7, v8, vcc_lo
	global_load_b32 v11, v[3:4], off
.LBB140_5:                              ;   in Loop: Header=BB140_3 Depth=1
	v_add_co_u32 v3, vcc_lo, s4, v7
	s_wait_alu 0xfffd
	v_add_co_ci_u32_e64 v4, null, s5, v8, vcc_lo
	v_add_co_u32 v5, vcc_lo, s14, v7
	s_wait_alu 0xfffd
	v_add_co_ci_u32_e64 v6, null, s15, v8, vcc_lo
	global_load_b32 v12, v[3:4], off
	global_load_b32 v13, v[5:6], off
	s_and_not1_b32 vcc_lo, exec_lo, s13
	s_wait_alu 0xfffe
	s_cbranch_vccnz .LBB140_7
; %bb.6:                                ;   in Loop: Header=BB140_3 Depth=1
	v_add_co_u32 v14, vcc_lo, s6, v7
	s_wait_alu 0xfffd
	v_add_co_ci_u32_e64 v15, null, s7, v8, vcc_lo
	global_load_b32 v10, v[14:15], off offset:4
.LBB140_7:                              ;   in Loop: Header=BB140_3 Depth=1
	global_load_b32 v15, v[3:4], off offset:4
	global_load_b32 v16, v[5:6], off offset:4
	v_mov_b32_e32 v14, 1.0
	v_mov_b32_e32 v18, 1.0
	s_and_not1_b32 vcc_lo, exec_lo, s13
	s_wait_alu 0xfffe
	s_cbranch_vccnz .LBB140_9
; %bb.8:                                ;   in Loop: Header=BB140_3 Depth=1
	v_add_co_u32 v17, vcc_lo, s6, v7
	s_wait_alu 0xfffd
	v_add_co_ci_u32_e64 v18, null, s7, v8, vcc_lo
	global_load_b32 v18, v[17:18], off offset:8
.LBB140_9:                              ;   in Loop: Header=BB140_3 Depth=1
	global_load_b32 v17, v[3:4], off offset:8
	global_load_b32 v19, v[5:6], off offset:8
	s_and_not1_b32 vcc_lo, exec_lo, s13
	s_wait_alu 0xfffe
	s_cbranch_vccnz .LBB140_2
; %bb.10:                               ;   in Loop: Header=BB140_3 Depth=1
	v_add_co_u32 v7, vcc_lo, s6, v7
	s_wait_alu 0xfffd
	v_add_co_ci_u32_e64 v8, null, s7, v8, vcc_lo
	global_load_b32 v14, v[7:8], off offset:12
	s_branch .LBB140_2
.LBB140_11:
	s_or_b32 exec_lo, exec_lo, s3
.LBB140_12:
	s_delay_alu instid0(SALU_CYCLE_1) | instskip(NEXT) | instid1(SALU_CYCLE_1)
	s_or_b32 exec_lo, exec_lo, s2
	s_mov_b32 s3, exec_lo
	v_cmpx_gt_u32_e64 s12, v1
	s_cbranch_execz .LBB140_19
; %bb.13:
	v_mov_b32_e32 v2, 0
	s_cmp_lg_u64 s[6:7], 0
	s_delay_alu instid0(VALU_DEP_1) | instskip(NEXT) | instid1(VALU_DEP_1)
	v_lshlrev_b64_e32 v[2:3], 2, v[1:2]
	v_add_co_u32 v6, vcc_lo, s16, v2
	s_wait_alu 0xfffd
	s_delay_alu instid0(VALU_DEP_2)
	v_add_co_ci_u32_e64 v7, null, s17, v3, vcc_lo
	v_add_co_u32 v2, vcc_lo, s6, v2
	s_wait_alu 0xfffd
	v_add_co_ci_u32_e64 v3, null, s7, v3, vcc_lo
	v_add_co_u32 v4, vcc_lo, s10, v6
	s_wait_alu 0xfffd
	;; [unrolled: 3-line block ×3, first 2 shown]
	v_add_co_ci_u32_e64 v7, null, s9, v7, vcc_lo
	s_cselect_b32 s8, -1, 0
	s_mov_b32 s9, 0
	s_branch .LBB140_16
.LBB140_14:                             ;   in Loop: Header=BB140_16 Depth=1
	global_load_b32 v8, v[2:3], off
.LBB140_15:                             ;   in Loop: Header=BB140_16 Depth=1
	global_load_b32 v10, v[6:7], off
	global_load_b32 v11, v[4:5], off
	v_add_nc_u32_e32 v1, 1, v1
	v_add_co_u32 v2, vcc_lo, v2, 4
	s_wait_alu 0xfffd
	v_add_co_ci_u32_e64 v3, null, 0, v3, vcc_lo
	v_add_co_u32 v4, vcc_lo, v4, 4
	s_wait_alu 0xfffd
	v_add_co_ci_u32_e64 v5, null, 0, v5, vcc_lo
	v_add_co_u32 v6, s2, v6, 4
	s_wait_alu 0xf1ff
	v_add_co_ci_u32_e64 v7, null, 0, v7, s2
	s_wait_loadcnt 0x1
	v_mul_f32_e32 v8, v8, v10
	v_cmp_le_u32_e32 vcc_lo, s12, v1
	s_wait_loadcnt 0x0
	s_delay_alu instid0(VALU_DEP_2) | instskip(SKIP_2) | instid1(VALU_DEP_1)
	v_mul_f32_e32 v8, v11, v8
	s_or_b32 s9, vcc_lo, s9
	s_wait_kmcnt 0x0
	v_fmac_f32_e32 v9, s18, v8
	s_wait_alu 0xfffe
	s_and_not1_b32 exec_lo, exec_lo, s9
	s_cbranch_execz .LBB140_18
.LBB140_16:                             ; =>This Inner Loop Header: Depth=1
	s_wait_alu 0xfffe
	s_and_not1_b32 vcc_lo, exec_lo, s8
	s_wait_alu 0xfffe
	s_cbranch_vccz .LBB140_14
; %bb.17:                               ;   in Loop: Header=BB140_16 Depth=1
	v_mov_b32_e32 v8, 1.0
	s_branch .LBB140_15
.LBB140_18:
	s_or_b32 exec_lo, exec_lo, s9
.LBB140_19:
	s_delay_alu instid0(SALU_CYCLE_1) | instskip(SKIP_4) | instid1(VALU_DEP_1)
	s_or_b32 exec_lo, exec_lo, s3
	v_mbcnt_lo_u32_b32 v5, -1, 0
	s_mov_b32 s2, exec_lo
	s_barrier_signal -1
	s_barrier_wait -1
	v_lshl_or_b32 v1, v5, 2, 64
	v_cmp_gt_u32_e32 vcc_lo, 24, v5
	global_inv scope:SCOPE_SE
	ds_bpermute_b32 v3, v1, v9
	s_wait_alu 0xfffd
	v_cndmask_b32_e64 v2, 0, 8, vcc_lo
	v_cmp_gt_u32_e32 vcc_lo, 28, v5
	s_delay_alu instid0(VALU_DEP_2)
	v_add_lshl_u32 v2, v2, v5, 2
	s_wait_dscnt 0x0
	v_add_f32_e32 v4, v9, v3
	s_wait_alu 0xfffd
	v_cndmask_b32_e64 v3, 0, 4, vcc_lo
	v_cmp_gt_u32_e32 vcc_lo, 30, v5
	ds_bpermute_b32 v6, v2, v4
	v_add_lshl_u32 v3, v3, v5, 2
	s_wait_dscnt 0x0
	v_add_f32_e32 v6, v4, v6
	s_wait_alu 0xfffd
	v_cndmask_b32_e64 v4, 0, 2, vcc_lo
	v_cmp_ne_u32_e32 vcc_lo, 31, v5
	ds_bpermute_b32 v7, v3, v6
	v_add_lshl_u32 v4, v4, v5, 2
	s_wait_alu 0xfffd
	v_add_co_ci_u32_e64 v5, null, 0, v5, vcc_lo
	s_wait_dscnt 0x0
	s_delay_alu instid0(VALU_DEP_1)
	v_dual_add_f32 v6, v6, v7 :: v_dual_lshlrev_b32 v5, 2, v5
	ds_bpermute_b32 v7, v4, v6
	s_wait_dscnt 0x0
	v_dual_add_f32 v7, v6, v7 :: v_dual_and_b32 v6, 31, v0
	ds_bpermute_b32 v8, v5, v7
	v_cmpx_eq_u32_e32 0, v6
	s_cbranch_execz .LBB140_21
; %bb.20:
	v_lshrrev_b32_e32 v9, 3, v0
	s_wait_dscnt 0x0
	v_add_f32_e32 v7, v7, v8
	s_delay_alu instid0(VALU_DEP_2)
	v_add_nc_u32_e32 v9, 0, v9
	ds_store_b32 v9, v7
.LBB140_21:
	s_wait_alu 0xfffe
	s_or_b32 exec_lo, exec_lo, s2
	s_wait_loadcnt_dscnt 0x0
	s_barrier_signal -1
	s_barrier_wait -1
	global_inv scope:SCOPE_SE
	s_load_b32 s2, s[0:1], 0x44
	v_mov_b32_e32 v7, 0
	s_wait_kmcnt 0x0
	s_bfe_u32 s3, s2, 0xb0005
	s_wait_alu 0xfffe
	v_cmp_gt_u32_e32 vcc_lo, s3, v0
	s_and_saveexec_b32 s3, vcc_lo
; %bb.22:
	v_lshl_add_u32 v6, v6, 2, 0
	ds_load_b32 v7, v6
; %bb.23:
	s_wait_alu 0xfffe
	s_or_b32 exec_lo, exec_lo, s3
	s_delay_alu instid0(SALU_CYCLE_1)
	s_mov_b32 s3, exec_lo
	v_cmpx_gt_u32_e32 32, v0
	s_cbranch_execz .LBB140_25
; %bb.24:
	s_wait_dscnt 0x0
	ds_bpermute_b32 v1, v1, v7
	s_wait_dscnt 0x0
	v_add_f32_e32 v1, v7, v1
	ds_bpermute_b32 v2, v2, v1
	s_wait_dscnt 0x0
	v_add_f32_e32 v1, v1, v2
	;; [unrolled: 3-line block ×5, first 2 shown]
.LBB140_25:
	s_wait_alu 0xfffe
	s_or_b32 exec_lo, exec_lo, s3
	s_delay_alu instid0(SALU_CYCLE_1)
	s_mov_b32 s3, exec_lo
	v_cmpx_eq_u32_e32 0, v0
	s_cbranch_execz .LBB140_27
; %bb.26:
	v_mov_b32_e32 v1, 0
	s_wait_dscnt 0x0
	ds_store_b32 v1, v7 offset:4
.LBB140_27:
	s_wait_alu 0xfffe
	s_or_b32 exec_lo, exec_lo, s3
	s_wait_loadcnt_dscnt 0x0
	s_barrier_signal -1
	s_barrier_wait -1
	global_inv scope:SCOPE_SE
	s_mov_b32 s3, exec_lo
	v_cmpx_gt_i32_e64 s12, v0
	s_cbranch_execz .LBB140_33
; %bb.28:
	s_cvt_f32_i32 s8, s12
	s_load_b64 s[20:21], s[0:1], 0x28
	s_and_b32 s1, 0xffff, s2
	s_cmp_lg_u64 s[6:7], 0
	v_div_scale_f32 v1, null, s8, s8, 1.0
	v_div_scale_f32 v4, vcc_lo, 1.0, s8, 1.0
	s_cselect_b32 s9, -1, 0
	v_rcp_f32_e32 v2, v1
	v_xor_b32_e32 v1, 0x80000000, v1
	s_mov_b32 s10, 0
	s_delay_alu instid0(TRANS32_DEP_1) | instid1(VALU_DEP_1)
	v_fma_f32 v3, v1, v2, 1.0
	s_wait_kmcnt 0x0
	s_add_nc_u64 s[2:3], s[20:21], s[16:17]
	s_delay_alu instid0(VALU_DEP_1) | instskip(NEXT) | instid1(VALU_DEP_1)
	v_fmac_f32_e32 v2, v3, v2
	v_mul_f32_e32 v5, v4, v2
	s_delay_alu instid0(VALU_DEP_1) | instskip(NEXT) | instid1(VALU_DEP_1)
	v_fma_f32 v3, v1, v5, v4
	v_fmac_f32_e32 v5, v3, v2
	s_delay_alu instid0(VALU_DEP_1) | instskip(SKIP_3) | instid1(VALU_DEP_1)
	v_dual_mov_b32 v3, 0 :: v_dual_fmac_f32 v4, v1, v5
	ds_load_b32 v3, v3 offset:4
	s_wait_alu 0xfffd
	v_div_fmas_f32 v1, v4, v2, v5
	v_div_fixup_f32 v1, v1, s8, 1.0
	s_delay_alu instid0(VALU_DEP_1)
	v_mul_f32_e32 v4, s18, v1
	s_branch .LBB140_31
.LBB140_29:                             ;   in Loop: Header=BB140_31 Depth=1
	v_add_co_u32 v7, vcc_lo, s6, v1
	s_wait_alu 0xfffd
	v_add_co_ci_u32_e64 v8, null, s7, v2, vcc_lo
	global_load_b32 v7, v[7:8], off
.LBB140_30:                             ;   in Loop: Header=BB140_31 Depth=1
	s_wait_loadcnt 0x0
	s_delay_alu instid0(VALU_DEP_1) | instskip(SKIP_3) | instid1(VALU_DEP_3)
	v_dual_mul_f32 v6, s18, v6 :: v_dual_mul_f32 v7, s8, v7
	v_add_nc_u32_e32 v0, s1, v0
	v_add_co_u32 v1, s0, s2, v1
	s_wait_dscnt 0x0
	v_mul_f32_e32 v6, v3, v6
	s_wait_alu 0xf1ff
	v_add_co_ci_u32_e64 v2, null, s3, v2, s0
	v_cmp_le_i32_e32 vcc_lo, s12, v0
	s_delay_alu instid0(VALU_DEP_3) | instskip(SKIP_1) | instid1(VALU_DEP_1)
	v_fma_f32 v5, v5, v7, -v6
	s_or_b32 s10, vcc_lo, s10
	v_mul_f32_e32 v5, v4, v5
	global_store_b32 v[1:2], v5, off
	s_wait_alu 0xfffe
	s_and_not1_b32 exec_lo, exec_lo, s10
	s_cbranch_execz .LBB140_33
.LBB140_31:                             ; =>This Inner Loop Header: Depth=1
	v_ashrrev_i32_e32 v1, 31, v0
	s_delay_alu instid0(VALU_DEP_1) | instskip(NEXT) | instid1(VALU_DEP_1)
	v_lshlrev_b64_e32 v[1:2], 2, v[0:1]
	v_add_co_u32 v5, vcc_lo, s4, v1
	s_wait_alu 0xfffd
	s_delay_alu instid0(VALU_DEP_2)
	v_add_co_ci_u32_e64 v6, null, s5, v2, vcc_lo
	v_add_co_u32 v7, vcc_lo, s14, v1
	s_wait_alu 0xfffd
	v_add_co_ci_u32_e64 v8, null, s15, v2, vcc_lo
	global_load_b32 v6, v[5:6], off
	global_load_b32 v5, v[7:8], off
	s_wait_alu 0xfffe
	s_and_not1_b32 vcc_lo, exec_lo, s9
	s_wait_alu 0xfffe
	s_cbranch_vccz .LBB140_29
; %bb.32:                               ;   in Loop: Header=BB140_31 Depth=1
	v_mov_b32_e32 v7, 1.0
	s_branch .LBB140_30
.LBB140_33:
	s_endpgm
	.section	.rodata,"a",@progbits
	.p2align	6, 0x0
	.amdhsa_kernel _ZN2at6native12_GLOBAL__N_128layer_norm_grad_input_kernelIffLb1EEEvPKT_S5_PKT0_S8_S5_PS3_i
		.amdhsa_group_segment_fixed_size 0
		.amdhsa_private_segment_fixed_size 0
		.amdhsa_kernarg_size 312
		.amdhsa_user_sgpr_count 2
		.amdhsa_user_sgpr_dispatch_ptr 0
		.amdhsa_user_sgpr_queue_ptr 0
		.amdhsa_user_sgpr_kernarg_segment_ptr 1
		.amdhsa_user_sgpr_dispatch_id 0
		.amdhsa_user_sgpr_private_segment_size 0
		.amdhsa_wavefront_size32 1
		.amdhsa_uses_dynamic_stack 0
		.amdhsa_enable_private_segment 0
		.amdhsa_system_sgpr_workgroup_id_x 1
		.amdhsa_system_sgpr_workgroup_id_y 0
		.amdhsa_system_sgpr_workgroup_id_z 0
		.amdhsa_system_sgpr_workgroup_info 0
		.amdhsa_system_vgpr_workitem_id 0
		.amdhsa_next_free_vgpr 20
		.amdhsa_next_free_sgpr 22
		.amdhsa_reserve_vcc 1
		.amdhsa_float_round_mode_32 0
		.amdhsa_float_round_mode_16_64 0
		.amdhsa_float_denorm_mode_32 3
		.amdhsa_float_denorm_mode_16_64 3
		.amdhsa_fp16_overflow 0
		.amdhsa_workgroup_processor_mode 1
		.amdhsa_memory_ordered 1
		.amdhsa_forward_progress 1
		.amdhsa_inst_pref_size 15
		.amdhsa_round_robin_scheduling 0
		.amdhsa_exception_fp_ieee_invalid_op 0
		.amdhsa_exception_fp_denorm_src 0
		.amdhsa_exception_fp_ieee_div_zero 0
		.amdhsa_exception_fp_ieee_overflow 0
		.amdhsa_exception_fp_ieee_underflow 0
		.amdhsa_exception_fp_ieee_inexact 0
		.amdhsa_exception_int_div_zero 0
	.end_amdhsa_kernel
	.section	.text._ZN2at6native12_GLOBAL__N_128layer_norm_grad_input_kernelIffLb1EEEvPKT_S5_PKT0_S8_S5_PS3_i,"axG",@progbits,_ZN2at6native12_GLOBAL__N_128layer_norm_grad_input_kernelIffLb1EEEvPKT_S5_PKT0_S8_S5_PS3_i,comdat
.Lfunc_end140:
	.size	_ZN2at6native12_GLOBAL__N_128layer_norm_grad_input_kernelIffLb1EEEvPKT_S5_PKT0_S8_S5_PS3_i, .Lfunc_end140-_ZN2at6native12_GLOBAL__N_128layer_norm_grad_input_kernelIffLb1EEEvPKT_S5_PKT0_S8_S5_PS3_i
                                        ; -- End function
	.set _ZN2at6native12_GLOBAL__N_128layer_norm_grad_input_kernelIffLb1EEEvPKT_S5_PKT0_S8_S5_PS3_i.num_vgpr, 20
	.set _ZN2at6native12_GLOBAL__N_128layer_norm_grad_input_kernelIffLb1EEEvPKT_S5_PKT0_S8_S5_PS3_i.num_agpr, 0
	.set _ZN2at6native12_GLOBAL__N_128layer_norm_grad_input_kernelIffLb1EEEvPKT_S5_PKT0_S8_S5_PS3_i.numbered_sgpr, 22
	.set _ZN2at6native12_GLOBAL__N_128layer_norm_grad_input_kernelIffLb1EEEvPKT_S5_PKT0_S8_S5_PS3_i.num_named_barrier, 0
	.set _ZN2at6native12_GLOBAL__N_128layer_norm_grad_input_kernelIffLb1EEEvPKT_S5_PKT0_S8_S5_PS3_i.private_seg_size, 0
	.set _ZN2at6native12_GLOBAL__N_128layer_norm_grad_input_kernelIffLb1EEEvPKT_S5_PKT0_S8_S5_PS3_i.uses_vcc, 1
	.set _ZN2at6native12_GLOBAL__N_128layer_norm_grad_input_kernelIffLb1EEEvPKT_S5_PKT0_S8_S5_PS3_i.uses_flat_scratch, 0
	.set _ZN2at6native12_GLOBAL__N_128layer_norm_grad_input_kernelIffLb1EEEvPKT_S5_PKT0_S8_S5_PS3_i.has_dyn_sized_stack, 0
	.set _ZN2at6native12_GLOBAL__N_128layer_norm_grad_input_kernelIffLb1EEEvPKT_S5_PKT0_S8_S5_PS3_i.has_recursion, 0
	.set _ZN2at6native12_GLOBAL__N_128layer_norm_grad_input_kernelIffLb1EEEvPKT_S5_PKT0_S8_S5_PS3_i.has_indirect_call, 0
	.section	.AMDGPU.csdata,"",@progbits
; Kernel info:
; codeLenInByte = 1852
; TotalNumSgprs: 24
; NumVgprs: 20
; ScratchSize: 0
; MemoryBound: 0
; FloatMode: 240
; IeeeMode: 1
; LDSByteSize: 0 bytes/workgroup (compile time only)
; SGPRBlocks: 0
; VGPRBlocks: 2
; NumSGPRsForWavesPerEU: 24
; NumVGPRsForWavesPerEU: 20
; Occupancy: 16
; WaveLimiterHint : 0
; COMPUTE_PGM_RSRC2:SCRATCH_EN: 0
; COMPUTE_PGM_RSRC2:USER_SGPR: 2
; COMPUTE_PGM_RSRC2:TRAP_HANDLER: 0
; COMPUTE_PGM_RSRC2:TGID_X_EN: 1
; COMPUTE_PGM_RSRC2:TGID_Y_EN: 0
; COMPUTE_PGM_RSRC2:TGID_Z_EN: 0
; COMPUTE_PGM_RSRC2:TIDIG_COMP_CNT: 0
	.section	.text._ZN2at6native12_GLOBAL__N_133GammaBetaBackwardSimpleCUDAKernelIffLb1EEEvllPKT_S5_PKT0_S8_PS3_S9_,"axG",@progbits,_ZN2at6native12_GLOBAL__N_133GammaBetaBackwardSimpleCUDAKernelIffLb1EEEvllPKT_S5_PKT0_S8_PS3_S9_,comdat
	.globl	_ZN2at6native12_GLOBAL__N_133GammaBetaBackwardSimpleCUDAKernelIffLb1EEEvllPKT_S5_PKT0_S8_PS3_S9_ ; -- Begin function _ZN2at6native12_GLOBAL__N_133GammaBetaBackwardSimpleCUDAKernelIffLb1EEEvllPKT_S5_PKT0_S8_PS3_S9_
	.p2align	8
	.type	_ZN2at6native12_GLOBAL__N_133GammaBetaBackwardSimpleCUDAKernelIffLb1EEEvllPKT_S5_PKT0_S8_PS3_S9_,@function
_ZN2at6native12_GLOBAL__N_133GammaBetaBackwardSimpleCUDAKernelIffLb1EEEvllPKT_S5_PKT0_S8_PS3_S9_: ; @_ZN2at6native12_GLOBAL__N_133GammaBetaBackwardSimpleCUDAKernelIffLb1EEEvllPKT_S5_PKT0_S8_PS3_S9_
; %bb.0:
	s_clause 0x1
	s_load_b32 s2, s[0:1], 0x4c
	s_load_b256 s[4:11], s[0:1], 0x0
	v_mov_b32_e32 v1, 0
	s_wait_kmcnt 0x0
	s_and_b32 s2, s2, 0xffff
	s_delay_alu instid0(VALU_DEP_1) | instid1(SALU_CYCLE_1)
	v_mad_co_u64_u32 v[2:3], null, s2, ttmp9, v[0:1]
	s_mov_b32 s2, exec_lo
	v_cmpx_gt_i64_e64 s[6:7], v[2:3]
	s_cbranch_execz .LBB141_8
; %bb.1:
	s_load_b128 s[0:3], s[0:1], 0x28
	v_cmp_lt_i64_e64 s12, s[4:5], 1
	v_lshlrev_b64_e32 v[2:3], 2, v[2:3]
	s_and_b32 vcc_lo, exec_lo, s12
	s_cbranch_vccnz .LBB141_6
; %bb.2:
	s_delay_alu instid0(VALU_DEP_1) | instskip(NEXT) | instid1(VALU_DEP_2)
	v_mov_b32_e32 v5, v3
	v_dual_mov_b32 v1, 0 :: v_dual_mov_b32 v4, v2
	s_wait_kmcnt 0x0
	s_cmp_lg_u64 s[2:3], 0
	s_cselect_b32 s12, -1, 0
	s_lshl_b64 s[6:7], s[6:7], 2
	s_branch .LBB141_4
.LBB141_3:                              ;   in Loop: Header=BB141_4 Depth=1
	v_add_co_u32 v4, vcc_lo, v4, s6
	s_delay_alu instid0(VALU_DEP_2)
	v_add_f32_e32 v1, v1, v0
	s_wait_alu 0xfffd
	v_add_co_ci_u32_e64 v5, null, s7, v5, vcc_lo
	s_add_nc_u64 s[4:5], s[4:5], -1
	s_add_nc_u64 s[0:1], s[0:1], 4
	s_wait_alu 0xfffe
	s_cmp_eq_u64 s[4:5], 0
	s_cbranch_scc1 .LBB141_6
.LBB141_4:                              ; =>This Inner Loop Header: Depth=1
	v_mov_b32_e32 v0, 0
	s_and_not1_b32 vcc_lo, exec_lo, s12
	s_wait_alu 0xfffe
	s_cbranch_vccnz .LBB141_3
; %bb.5:                                ;   in Loop: Header=BB141_4 Depth=1
	v_add_co_u32 v6, vcc_lo, s8, v4
	s_wait_alu 0xfffd
	v_add_co_ci_u32_e64 v7, null, s9, v5, vcc_lo
	v_add_co_u32 v8, vcc_lo, s10, v4
	s_wait_alu 0xfffd
	v_add_co_ci_u32_e64 v9, null, s11, v5, vcc_lo
	global_load_b32 v0, v[6:7], off
	global_load_b32 v6, v[8:9], off
	s_load_b32 s13, s[0:1], 0x0
	s_wait_loadcnt 0x0
	v_mul_f32_e32 v0, v0, v6
	s_wait_kmcnt 0x0
	s_delay_alu instid0(VALU_DEP_1)
	v_mul_f32_e32 v0, s13, v0
	s_branch .LBB141_3
.LBB141_6:
	s_wait_kmcnt 0x0
	s_cmp_lg_u64 s[2:3], 0
	s_cbranch_scc0 .LBB141_8
; %bb.7:
	v_add_co_u32 v2, vcc_lo, s2, v2
	s_wait_alu 0xfffd
	v_add_co_ci_u32_e64 v3, null, s3, v3, vcc_lo
	global_store_b32 v[2:3], v1, off
.LBB141_8:
	s_endpgm
	.section	.rodata,"a",@progbits
	.p2align	6, 0x0
	.amdhsa_kernel _ZN2at6native12_GLOBAL__N_133GammaBetaBackwardSimpleCUDAKernelIffLb1EEEvllPKT_S5_PKT0_S8_PS3_S9_
		.amdhsa_group_segment_fixed_size 0
		.amdhsa_private_segment_fixed_size 0
		.amdhsa_kernarg_size 320
		.amdhsa_user_sgpr_count 2
		.amdhsa_user_sgpr_dispatch_ptr 0
		.amdhsa_user_sgpr_queue_ptr 0
		.amdhsa_user_sgpr_kernarg_segment_ptr 1
		.amdhsa_user_sgpr_dispatch_id 0
		.amdhsa_user_sgpr_private_segment_size 0
		.amdhsa_wavefront_size32 1
		.amdhsa_uses_dynamic_stack 0
		.amdhsa_enable_private_segment 0
		.amdhsa_system_sgpr_workgroup_id_x 1
		.amdhsa_system_sgpr_workgroup_id_y 0
		.amdhsa_system_sgpr_workgroup_id_z 0
		.amdhsa_system_sgpr_workgroup_info 0
		.amdhsa_system_vgpr_workitem_id 0
		.amdhsa_next_free_vgpr 10
		.amdhsa_next_free_sgpr 14
		.amdhsa_reserve_vcc 1
		.amdhsa_float_round_mode_32 0
		.amdhsa_float_round_mode_16_64 0
		.amdhsa_float_denorm_mode_32 3
		.amdhsa_float_denorm_mode_16_64 3
		.amdhsa_fp16_overflow 0
		.amdhsa_workgroup_processor_mode 1
		.amdhsa_memory_ordered 1
		.amdhsa_forward_progress 1
		.amdhsa_inst_pref_size 3
		.amdhsa_round_robin_scheduling 0
		.amdhsa_exception_fp_ieee_invalid_op 0
		.amdhsa_exception_fp_denorm_src 0
		.amdhsa_exception_fp_ieee_div_zero 0
		.amdhsa_exception_fp_ieee_overflow 0
		.amdhsa_exception_fp_ieee_underflow 0
		.amdhsa_exception_fp_ieee_inexact 0
		.amdhsa_exception_int_div_zero 0
	.end_amdhsa_kernel
	.section	.text._ZN2at6native12_GLOBAL__N_133GammaBetaBackwardSimpleCUDAKernelIffLb1EEEvllPKT_S5_PKT0_S8_PS3_S9_,"axG",@progbits,_ZN2at6native12_GLOBAL__N_133GammaBetaBackwardSimpleCUDAKernelIffLb1EEEvllPKT_S5_PKT0_S8_PS3_S9_,comdat
.Lfunc_end141:
	.size	_ZN2at6native12_GLOBAL__N_133GammaBetaBackwardSimpleCUDAKernelIffLb1EEEvllPKT_S5_PKT0_S8_PS3_S9_, .Lfunc_end141-_ZN2at6native12_GLOBAL__N_133GammaBetaBackwardSimpleCUDAKernelIffLb1EEEvllPKT_S5_PKT0_S8_PS3_S9_
                                        ; -- End function
	.set _ZN2at6native12_GLOBAL__N_133GammaBetaBackwardSimpleCUDAKernelIffLb1EEEvllPKT_S5_PKT0_S8_PS3_S9_.num_vgpr, 10
	.set _ZN2at6native12_GLOBAL__N_133GammaBetaBackwardSimpleCUDAKernelIffLb1EEEvllPKT_S5_PKT0_S8_PS3_S9_.num_agpr, 0
	.set _ZN2at6native12_GLOBAL__N_133GammaBetaBackwardSimpleCUDAKernelIffLb1EEEvllPKT_S5_PKT0_S8_PS3_S9_.numbered_sgpr, 14
	.set _ZN2at6native12_GLOBAL__N_133GammaBetaBackwardSimpleCUDAKernelIffLb1EEEvllPKT_S5_PKT0_S8_PS3_S9_.num_named_barrier, 0
	.set _ZN2at6native12_GLOBAL__N_133GammaBetaBackwardSimpleCUDAKernelIffLb1EEEvllPKT_S5_PKT0_S8_PS3_S9_.private_seg_size, 0
	.set _ZN2at6native12_GLOBAL__N_133GammaBetaBackwardSimpleCUDAKernelIffLb1EEEvllPKT_S5_PKT0_S8_PS3_S9_.uses_vcc, 1
	.set _ZN2at6native12_GLOBAL__N_133GammaBetaBackwardSimpleCUDAKernelIffLb1EEEvllPKT_S5_PKT0_S8_PS3_S9_.uses_flat_scratch, 0
	.set _ZN2at6native12_GLOBAL__N_133GammaBetaBackwardSimpleCUDAKernelIffLb1EEEvllPKT_S5_PKT0_S8_PS3_S9_.has_dyn_sized_stack, 0
	.set _ZN2at6native12_GLOBAL__N_133GammaBetaBackwardSimpleCUDAKernelIffLb1EEEvllPKT_S5_PKT0_S8_PS3_S9_.has_recursion, 0
	.set _ZN2at6native12_GLOBAL__N_133GammaBetaBackwardSimpleCUDAKernelIffLb1EEEvllPKT_S5_PKT0_S8_PS3_S9_.has_indirect_call, 0
	.section	.AMDGPU.csdata,"",@progbits
; Kernel info:
; codeLenInByte = 336
; TotalNumSgprs: 16
; NumVgprs: 10
; ScratchSize: 0
; MemoryBound: 0
; FloatMode: 240
; IeeeMode: 1
; LDSByteSize: 0 bytes/workgroup (compile time only)
; SGPRBlocks: 0
; VGPRBlocks: 1
; NumSGPRsForWavesPerEU: 16
; NumVGPRsForWavesPerEU: 10
; Occupancy: 16
; WaveLimiterHint : 0
; COMPUTE_PGM_RSRC2:SCRATCH_EN: 0
; COMPUTE_PGM_RSRC2:USER_SGPR: 2
; COMPUTE_PGM_RSRC2:TRAP_HANDLER: 0
; COMPUTE_PGM_RSRC2:TGID_X_EN: 1
; COMPUTE_PGM_RSRC2:TGID_Y_EN: 0
; COMPUTE_PGM_RSRC2:TGID_Z_EN: 0
; COMPUTE_PGM_RSRC2:TIDIG_COMP_CNT: 0
	.section	.text._ZN2at6native12_GLOBAL__N_135GammaBetaBackwardCUDAKernelTemplateIffLj64ELj1ELj32ELb1ELb1ELb1EEEvllPKT_S5_PKT0_S8_PS3_S9_,"axG",@progbits,_ZN2at6native12_GLOBAL__N_135GammaBetaBackwardCUDAKernelTemplateIffLj64ELj1ELj32ELb1ELb1ELb1EEEvllPKT_S5_PKT0_S8_PS3_S9_,comdat
	.globl	_ZN2at6native12_GLOBAL__N_135GammaBetaBackwardCUDAKernelTemplateIffLj64ELj1ELj32ELb1ELb1ELb1EEEvllPKT_S5_PKT0_S8_PS3_S9_ ; -- Begin function _ZN2at6native12_GLOBAL__N_135GammaBetaBackwardCUDAKernelTemplateIffLj64ELj1ELj32ELb1ELb1ELb1EEEvllPKT_S5_PKT0_S8_PS3_S9_
	.p2align	8
	.type	_ZN2at6native12_GLOBAL__N_135GammaBetaBackwardCUDAKernelTemplateIffLj64ELj1ELj32ELb1ELb1ELb1EEEvllPKT_S5_PKT0_S8_PS3_S9_,@function
_ZN2at6native12_GLOBAL__N_135GammaBetaBackwardCUDAKernelTemplateIffLj64ELj1ELj32ELb1ELb1ELb1EEEvllPKT_S5_PKT0_S8_PS3_S9_: ; @_ZN2at6native12_GLOBAL__N_135GammaBetaBackwardCUDAKernelTemplateIffLj64ELj1ELj32ELb1ELb1ELb1EEEvllPKT_S5_PKT0_S8_PS3_S9_
; %bb.0:
	s_clause 0x1
	s_load_b128 s[4:7], s[0:1], 0x0
	s_load_b64 s[2:3], s[0:1], 0x30
	s_lshl_b32 s12, ttmp7, 5
	s_mov_b32 s13, 0
	v_mov_b32_e32 v24, 0
	v_bfe_u32 v1, v0, 10, 10
	v_and_b32_e32 v0, 0x3ff, v0
	s_wait_kmcnt 0x0
	v_cmp_le_i64_e64 s8, s[4:5], s[12:13]
	s_and_b32 vcc_lo, exec_lo, s8
	s_cbranch_vccnz .LBB142_5
; %bb.1:
	s_clause 0x3
	s_load_b32 s14, s[0:1], 0x4c
	s_load_b32 s15, s[0:1], 0x44
	s_load_b128 s[8:11], s[0:1], 0x10
	s_load_b64 s[16:17], s[0:1], 0x28
	v_dual_mov_b32 v3, 0 :: v_dual_lshlrev_b32 v4, 5, v1
	v_lshl_or_b32 v2, ttmp9, 6, v0
	v_dual_mov_b32 v8, 4 :: v_dual_mov_b32 v9, 8
	v_dual_mov_b32 v10, 12 :: v_dual_mov_b32 v11, 16
	;; [unrolled: 1-line block ×7, first 2 shown]
	s_wait_kmcnt 0x0
	s_and_b32 s14, s14, 0xffff
	v_dual_mov_b32 v22, 60 :: v_dual_mov_b32 v23, 64
	v_mad_u32_u24 v5, v1, s14, v0
	v_add_co_u32 v39, s14, v4, s12
	s_wait_alu 0xf1ff
	v_add_co_ci_u32_e64 v40, null, 0, 0, s14
	s_delay_alu instid0(VALU_DEP_3) | instskip(NEXT) | instid1(VALU_DEP_3)
	v_dual_mov_b32 v25, 0x44 :: v_dual_and_b32 v24, 31, v5
	v_mul_lo_u32 v6, s7, v39
	s_delay_alu instid0(VALU_DEP_3)
	v_mul_lo_u32 v7, s6, v40
	v_mad_co_u64_u32 v[4:5], null, s6, v39, 0
	s_lshl_b32 s14, s15, 5
	s_mov_b32 s15, s13
	v_mov_b32_e32 v26, 0x48
	v_mov_b32_e32 v27, 0x4c
	;; [unrolled: 1-line block ×4, first 2 shown]
	v_add3_u32 v5, v5, v7, v6
	v_mov_b32_e32 v30, 0x58
	v_mov_b32_e32 v31, 0x5c
	;; [unrolled: 1-line block ×4, first 2 shown]
	v_lshlrev_b64_e32 v[6:7], 2, v[4:5]
	v_add_co_u32 v4, vcc_lo, v39, v24
	s_delay_alu instid0(VALU_DEP_1) | instskip(SKIP_3) | instid1(VALU_DEP_4)
	v_add_co_ci_u32_e64 v5, null, 0, v40, vcc_lo
	v_lshlrev_b64_e32 v[39:40], 2, v[2:3]
	v_mov_b32_e32 v34, 0x68
	v_mov_b32_e32 v35, 0x6c
	v_lshlrev_b64_e32 v[41:42], 2, v[4:5]
	v_mov_b32_e32 v36, 0x70
	v_mov_b32_e32 v37, 0x74
	v_add_co_u32 v39, vcc_lo, v6, v39
	s_wait_alu 0xfffd
	v_add_co_ci_u32_e64 v40, null, v7, v40, vcc_lo
	v_add_co_u32 v6, vcc_lo, s16, v41
	v_mov_b32_e32 v38, 0x78
	v_mov_b32_e32 v2, 0x7c
	s_wait_alu 0xfffd
	v_add_co_ci_u32_e64 v7, null, s17, v42, vcc_lo
	v_mov_b32_e32 v24, 0
	s_wait_alu 0xfffe
	s_mul_u64 s[18:19], s[6:7], s[14:15]
	s_lshl_b64 s[20:21], s[6:7], 2
	s_lshl_b64 s[16:17], s[18:19], 2
	;; [unrolled: 1-line block ×3, first 2 shown]
	s_branch .LBB142_3
.LBB142_2:                              ;   in Loop: Header=BB142_3 Depth=1
	s_or_b32 exec_lo, exec_lo, s22
	v_add_co_u32 v42, vcc_lo, s8, v39
	s_wait_alu 0xfffd
	v_add_co_ci_u32_e64 v43, null, s9, v40, vcc_lo
	v_add_co_u32 v44, vcc_lo, s10, v39
	s_wait_alu 0xfffd
	v_add_co_ci_u32_e64 v45, null, s11, v40, vcc_lo
	global_load_b32 v52, v[42:43], off
	global_load_b32 v53, v[44:45], off
	v_add_co_u32 v42, vcc_lo, v42, s20
	s_wait_alu 0xfffd
	v_add_co_ci_u32_e64 v43, null, s21, v43, vcc_lo
	v_add_co_u32 v44, vcc_lo, v44, s20
	s_wait_alu 0xfffd
	v_add_co_ci_u32_e64 v45, null, s21, v45, vcc_lo
	global_load_b32 v54, v[42:43], off
	global_load_b32 v55, v[44:45], off
	;; [unrolled: 8-line block ×5, first 2 shown]
	v_add_co_u32 v42, vcc_lo, v42, s20
	s_wait_alu 0xfffd
	v_add_co_ci_u32_e64 v43, null, s21, v43, vcc_lo
	v_add_co_u32 v44, vcc_lo, v44, s20
	s_wait_alu 0xfffd
	v_add_co_ci_u32_e64 v45, null, s21, v45, vcc_lo
	;; [unrolled: 3-line block ×4, first 2 shown]
	global_load_b32 v62, v[42:43], off
	global_load_b32 v63, v[44:45], off
	global_load_b32 v64, v[46:47], off
	global_load_b32 v65, v[48:49], off
	v_add_co_u32 v42, vcc_lo, v46, s20
	s_wait_alu 0xfffd
	v_add_co_ci_u32_e64 v43, null, s21, v47, vcc_lo
	v_add_co_u32 v44, vcc_lo, v48, s20
	s_wait_alu 0xfffd
	v_add_co_ci_u32_e64 v45, null, s21, v49, vcc_lo
	global_load_b32 v66, v[42:43], off
	v_add_co_u32 v42, vcc_lo, v42, s20
	s_wait_alu 0xfffd
	v_add_co_ci_u32_e64 v43, null, s21, v43, vcc_lo
	v_add_co_u32 v46, vcc_lo, v44, s20
	s_wait_alu 0xfffd
	v_add_co_ci_u32_e64 v47, null, s21, v45, vcc_lo
	v_add_co_u32 v48, vcc_lo, v42, s20
	s_wait_alu 0xfffd
	v_add_co_ci_u32_e64 v49, null, s21, v43, vcc_lo
	v_add_co_u32 v50, vcc_lo, v46, s20
	s_wait_alu 0xfffd
	v_add_co_ci_u32_e64 v51, null, s21, v47, vcc_lo
	global_load_b32 v67, v[44:45], off
	global_load_b32 v68, v[42:43], off
	global_load_b32 v69, v[46:47], off
	global_load_b32 v70, v[48:49], off
	global_load_b32 v71, v[50:51], off
	v_add_co_u32 v42, vcc_lo, v48, s20
	s_wait_alu 0xfffd
	v_add_co_ci_u32_e64 v43, null, s21, v49, vcc_lo
	v_add_co_u32 v44, vcc_lo, v50, s20
	s_wait_alu 0xfffd
	v_add_co_ci_u32_e64 v45, null, s21, v51, vcc_lo
	global_load_b32 v72, v[42:43], off
	v_add_co_u32 v42, vcc_lo, v42, s20
	s_wait_alu 0xfffd
	v_add_co_ci_u32_e64 v43, null, s21, v43, vcc_lo
	v_add_co_u32 v46, vcc_lo, v44, s20
	s_wait_alu 0xfffd
	v_add_co_ci_u32_e64 v47, null, s21, v45, vcc_lo
	v_add_co_u32 v48, vcc_lo, v42, s20
	s_wait_alu 0xfffd
	v_add_co_ci_u32_e64 v49, null, s21, v43, vcc_lo
	v_add_co_u32 v50, vcc_lo, v46, s20
	s_wait_alu 0xfffd
	v_add_co_ci_u32_e64 v51, null, s21, v47, vcc_lo
	global_load_b32 v73, v[44:45], off
	;; [unrolled: 24-line block ×5, first 2 shown]
	global_load_b32 v92, v[42:43], off
	global_load_b32 v93, v[46:47], off
	;; [unrolled: 1-line block ×4, first 2 shown]
	v_add_co_u32 v42, vcc_lo, v48, s20
	s_wait_alu 0xfffd
	v_add_co_ci_u32_e64 v43, null, s21, v49, vcc_lo
	v_add_co_u32 v44, vcc_lo, v50, s20
	s_wait_alu 0xfffd
	v_add_co_ci_u32_e64 v45, null, s21, v51, vcc_lo
	global_load_b32 v48, v[42:43], off
	v_add_co_u32 v42, vcc_lo, v42, s20
	s_wait_alu 0xfffd
	v_add_co_ci_u32_e64 v43, null, s21, v43, vcc_lo
	v_add_co_u32 v46, vcc_lo, v44, s20
	s_wait_alu 0xfffd
	v_add_co_ci_u32_e64 v47, null, s21, v45, vcc_lo
	global_load_b32 v49, v[44:45], off
	v_add_co_u32 v44, vcc_lo, v42, s20
	s_wait_alu 0xfffd
	v_add_co_ci_u32_e64 v45, null, s21, v43, vcc_lo
	global_load_b32 v50, v[42:43], off
	s_wait_loadcnt 0x2f
	ds_bpermute_b32 v43, v3, v41
	global_load_b32 v51, v[46:47], off
	s_add_nc_u64 s[12:13], s[12:13], s[14:15]
	s_wait_alu 0xfffe
	v_cmp_lt_i64_e64 s22, s[12:13], s[4:5]
	s_wait_loadcnt 0x2e
	v_mul_f32_e32 v42, v52, v53
	global_load_b32 v52, v[44:45], off
	s_wait_dscnt 0x0
	v_fmac_f32_e32 v24, v42, v43
	v_add_co_u32 v42, vcc_lo, v46, s20
	s_wait_alu 0xfffd
	v_add_co_ci_u32_e64 v43, null, s21, v47, vcc_lo
	v_add_co_u32 v46, vcc_lo, v44, s20
	s_wait_alu 0xfffd
	v_add_co_ci_u32_e64 v47, null, s21, v45, vcc_lo
	ds_bpermute_b32 v45, v8, v41
	s_wait_loadcnt 0x2d
	v_mul_f32_e32 v44, v54, v55
	global_load_b32 v53, v[42:43], off
	global_load_b32 v54, v[46:47], off
	s_wait_dscnt 0x0
	v_fmac_f32_e32 v24, v44, v45
	v_add_co_u32 v44, vcc_lo, v42, s20
	s_wait_alu 0xfffd
	v_add_co_ci_u32_e64 v45, null, s21, v43, vcc_lo
	v_add_co_u32 v42, vcc_lo, v46, s20
	s_wait_alu 0xfffd
	v_add_co_ci_u32_e64 v43, null, s21, v47, vcc_lo
	ds_bpermute_b32 v47, v9, v41
	s_wait_loadcnt 0x2d
	v_mul_f32_e32 v46, v56, v57
	global_load_b32 v55, v[44:45], off
	;; [unrolled: 13-line block ×6, first 2 shown]
	global_load_b32 v64, v[44:45], off
	s_wait_loadcnt_dscnt 0x2b00
	v_dual_mul_f32 v65, v68, v69 :: v_dual_fmac_f32 v24, v42, v43
	v_add_co_u32 v42, vcc_lo, v46, s20
	s_wait_alu 0xfffd
	v_add_co_ci_u32_e64 v43, null, s21, v47, vcc_lo
	v_add_co_u32 v46, vcc_lo, v44, s20
	s_wait_alu 0xfffd
	v_add_co_ci_u32_e64 v47, null, s21, v45, vcc_lo
	;; [unrolled: 3-line block ×3, first 2 shown]
	global_load_b32 v42, v[42:43], off
	global_load_b32 v43, v[46:47], off
	;; [unrolled: 1-line block ×3, first 2 shown]
	ds_bpermute_b32 v45, v14, v41
	v_mul_f32_e32 v46, v66, v67
	ds_bpermute_b32 v47, v15, v41
	ds_bpermute_b32 v66, v18, v41
	v_add_co_u32 v39, vcc_lo, v39, s16
	s_wait_alu 0xfffd
	v_add_co_ci_u32_e64 v40, null, s17, v40, vcc_lo
	v_add_co_u32 v6, vcc_lo, v6, s18
	s_wait_alu 0xfffd
	v_add_co_ci_u32_e64 v7, null, s19, v7, vcc_lo
	;; [unrolled: 3-line block ×3, first 2 shown]
	s_and_b32 vcc_lo, exec_lo, s22
	s_wait_dscnt 0x2
	v_fmac_f32_e32 v24, v46, v45
	ds_bpermute_b32 v45, v16, v41
	ds_bpermute_b32 v46, v17, v41
	s_wait_dscnt 0x3
	v_fmac_f32_e32 v24, v65, v47
	s_wait_loadcnt 0x2c
	v_mul_f32_e32 v47, v70, v71
	ds_bpermute_b32 v65, v19, v41
	s_wait_dscnt 0x2
	v_fmac_f32_e32 v24, v47, v45
	s_wait_loadcnt 0x2a
	v_mul_f32_e32 v45, v72, v73
	ds_bpermute_b32 v47, v20, v41
	s_wait_loadcnt_dscnt 0x2802
	v_dual_fmac_f32 v24, v45, v46 :: v_dual_mul_f32 v45, v74, v75
	ds_bpermute_b32 v46, v21, v41
	s_wait_loadcnt 0x26
	v_dual_fmac_f32 v24, v45, v66 :: v_dual_mul_f32 v45, v76, v77
	ds_bpermute_b32 v66, v22, v41
	s_wait_loadcnt_dscnt 0x2403
	v_dual_fmac_f32 v24, v45, v65 :: v_dual_mul_f32 v45, v78, v79
	ds_bpermute_b32 v65, v23, v41
	s_wait_loadcnt_dscnt 0x2203
	v_dual_fmac_f32 v24, v45, v47 :: v_dual_mul_f32 v45, v80, v81
	ds_bpermute_b32 v47, v25, v41
	s_wait_loadcnt_dscnt 0x2003
	v_dual_fmac_f32 v24, v45, v46 :: v_dual_mul_f32 v45, v82, v83
	ds_bpermute_b32 v46, v26, v41
	s_wait_loadcnt_dscnt 0x1e03
	v_dual_fmac_f32 v24, v45, v66 :: v_dual_mul_f32 v45, v84, v85
	ds_bpermute_b32 v66, v27, v41
	s_wait_loadcnt_dscnt 0x1c03
	v_dual_fmac_f32 v24, v45, v65 :: v_dual_mul_f32 v45, v86, v87
	ds_bpermute_b32 v65, v28, v41
	s_wait_loadcnt_dscnt 0x1a03
	v_dual_fmac_f32 v24, v45, v47 :: v_dual_mul_f32 v45, v88, v89
	ds_bpermute_b32 v47, v29, v41
	s_wait_loadcnt_dscnt 0x1803
	v_dual_fmac_f32 v24, v45, v46 :: v_dual_mul_f32 v45, v90, v91
	ds_bpermute_b32 v46, v30, v41
	s_wait_loadcnt_dscnt 0x1603
	v_dual_fmac_f32 v24, v45, v66 :: v_dual_mul_f32 v45, v92, v93
	ds_bpermute_b32 v66, v31, v41
	s_wait_loadcnt_dscnt 0x1403
	v_dual_fmac_f32 v24, v45, v65 :: v_dual_mul_f32 v45, v94, v95
	ds_bpermute_b32 v65, v32, v41
	s_wait_loadcnt_dscnt 0x1203
	v_dual_fmac_f32 v24, v45, v47 :: v_dual_mul_f32 v45, v48, v49
	ds_bpermute_b32 v47, v33, v41
	ds_bpermute_b32 v48, v35, v41
	;; [unrolled: 1-line block ×3, first 2 shown]
	s_wait_loadcnt_dscnt 0x1005
	v_dual_fmac_f32 v24, v45, v46 :: v_dual_mul_f32 v45, v50, v51
	ds_bpermute_b32 v46, v34, v41
	s_wait_loadcnt_dscnt 0xe05
	v_dual_fmac_f32 v24, v45, v66 :: v_dual_mul_f32 v45, v52, v53
	s_wait_loadcnt_dscnt 0xc04
	s_delay_alu instid0(VALU_DEP_1) | instskip(SKIP_1) | instid1(VALU_DEP_1)
	v_dual_fmac_f32 v24, v45, v65 :: v_dual_mul_f32 v45, v54, v55
	s_wait_dscnt 0x3
	v_fmac_f32_e32 v24, v45, v47
	ds_bpermute_b32 v47, v37, v41
	s_wait_loadcnt 0xa
	v_mul_f32_e32 v45, v56, v57
	s_wait_dscnt 0x1
	s_delay_alu instid0(VALU_DEP_1)
	v_fmac_f32_e32 v24, v45, v46
	ds_bpermute_b32 v46, v38, v41
	ds_bpermute_b32 v41, v2, v41
	s_wait_loadcnt 0x8
	v_mul_f32_e32 v45, v58, v59
	s_wait_loadcnt 0x6
	s_delay_alu instid0(VALU_DEP_1) | instskip(SKIP_1) | instid1(VALU_DEP_1)
	v_dual_fmac_f32 v24, v45, v48 :: v_dual_mul_f32 v45, v60, v61
	s_wait_loadcnt 0x4
	v_dual_fmac_f32 v24, v45, v49 :: v_dual_mul_f32 v45, v62, v63
	s_wait_dscnt 0x2
	s_delay_alu instid0(VALU_DEP_1) | instskip(SKIP_3) | instid1(VALU_DEP_1)
	v_fmac_f32_e32 v24, v45, v47
	s_wait_loadcnt 0x2
	v_mul_f32_e32 v42, v64, v42
	s_wait_dscnt 0x1
	v_fmac_f32_e32 v24, v42, v46
	s_wait_loadcnt 0x0
	v_mul_f32_e32 v42, v43, v44
	s_wait_dscnt 0x0
	s_delay_alu instid0(VALU_DEP_1)
	v_fmac_f32_e32 v24, v42, v41
	s_wait_alu 0xfffe
	s_cbranch_vccz .LBB142_5
.LBB142_3:                              ; =>This Inner Loop Header: Depth=1
	v_mov_b32_e32 v41, 0
	s_mov_b32 s22, exec_lo
	v_cmpx_gt_i64_e64 s[4:5], v[4:5]
	s_cbranch_execz .LBB142_2
; %bb.4:                                ;   in Loop: Header=BB142_3 Depth=1
	global_load_b32 v41, v[6:7], off
	s_branch .LBB142_2
.LBB142_5:
	s_cmp_eq_u64 s[2:3], 0
	s_cbranch_scc1 .LBB142_7
; %bb.6:
	s_load_u16 s0, s[0:1], 0x4e
	v_mov_b32_e32 v2, 0
	s_mov_b32 s4, ttmp9
	s_mov_b32 s5, 0
	v_lshlrev_b32_e32 v0, 2, v0
	s_wait_kmcnt 0x0
	v_mad_co_u64_u32 v[1:2], null, s0, ttmp7, v[1:2]
	s_wait_alu 0xfffe
	s_lshl_b64 s[0:1], s[4:5], 8
	s_delay_alu instid0(VALU_DEP_1) | instskip(NEXT) | instid1(VALU_DEP_2)
	v_mul_lo_u32 v3, v2, s6
	v_mul_lo_u32 v4, v1, s7
	v_mad_co_u64_u32 v[1:2], null, v1, s6, 0
	s_delay_alu instid0(VALU_DEP_1) | instskip(NEXT) | instid1(VALU_DEP_1)
	v_add3_u32 v2, v2, v4, v3
	v_lshlrev_b64_e32 v[1:2], 2, v[1:2]
	s_delay_alu instid0(VALU_DEP_1) | instskip(SKIP_1) | instid1(VALU_DEP_2)
	v_add_co_u32 v1, vcc_lo, s2, v1
	s_wait_alu 0xfffd
	v_add_co_ci_u32_e64 v2, null, s3, v2, vcc_lo
	s_wait_alu 0xfffe
	s_delay_alu instid0(VALU_DEP_2) | instskip(SKIP_1) | instid1(VALU_DEP_2)
	v_add_co_u32 v1, vcc_lo, v1, s0
	s_wait_alu 0xfffd
	v_add_co_ci_u32_e64 v2, null, s1, v2, vcc_lo
	s_delay_alu instid0(VALU_DEP_2) | instskip(SKIP_1) | instid1(VALU_DEP_2)
	v_add_co_u32 v0, vcc_lo, v1, v0
	s_wait_alu 0xfffd
	v_add_co_ci_u32_e64 v1, null, 0, v2, vcc_lo
	global_store_b32 v[0:1], v24, off
.LBB142_7:
	s_endpgm
	.section	.rodata,"a",@progbits
	.p2align	6, 0x0
	.amdhsa_kernel _ZN2at6native12_GLOBAL__N_135GammaBetaBackwardCUDAKernelTemplateIffLj64ELj1ELj32ELb1ELb1ELb1EEEvllPKT_S5_PKT0_S8_PS3_S9_
		.amdhsa_group_segment_fixed_size 0
		.amdhsa_private_segment_fixed_size 0
		.amdhsa_kernarg_size 320
		.amdhsa_user_sgpr_count 2
		.amdhsa_user_sgpr_dispatch_ptr 0
		.amdhsa_user_sgpr_queue_ptr 0
		.amdhsa_user_sgpr_kernarg_segment_ptr 1
		.amdhsa_user_sgpr_dispatch_id 0
		.amdhsa_user_sgpr_private_segment_size 0
		.amdhsa_wavefront_size32 1
		.amdhsa_uses_dynamic_stack 0
		.amdhsa_enable_private_segment 0
		.amdhsa_system_sgpr_workgroup_id_x 1
		.amdhsa_system_sgpr_workgroup_id_y 1
		.amdhsa_system_sgpr_workgroup_id_z 0
		.amdhsa_system_sgpr_workgroup_info 0
		.amdhsa_system_vgpr_workitem_id 1
		.amdhsa_next_free_vgpr 96
		.amdhsa_next_free_sgpr 23
		.amdhsa_reserve_vcc 1
		.amdhsa_float_round_mode_32 0
		.amdhsa_float_round_mode_16_64 0
		.amdhsa_float_denorm_mode_32 3
		.amdhsa_float_denorm_mode_16_64 3
		.amdhsa_fp16_overflow 0
		.amdhsa_workgroup_processor_mode 1
		.amdhsa_memory_ordered 1
		.amdhsa_forward_progress 1
		.amdhsa_inst_pref_size 28
		.amdhsa_round_robin_scheduling 0
		.amdhsa_exception_fp_ieee_invalid_op 0
		.amdhsa_exception_fp_denorm_src 0
		.amdhsa_exception_fp_ieee_div_zero 0
		.amdhsa_exception_fp_ieee_overflow 0
		.amdhsa_exception_fp_ieee_underflow 0
		.amdhsa_exception_fp_ieee_inexact 0
		.amdhsa_exception_int_div_zero 0
	.end_amdhsa_kernel
	.section	.text._ZN2at6native12_GLOBAL__N_135GammaBetaBackwardCUDAKernelTemplateIffLj64ELj1ELj32ELb1ELb1ELb1EEEvllPKT_S5_PKT0_S8_PS3_S9_,"axG",@progbits,_ZN2at6native12_GLOBAL__N_135GammaBetaBackwardCUDAKernelTemplateIffLj64ELj1ELj32ELb1ELb1ELb1EEEvllPKT_S5_PKT0_S8_PS3_S9_,comdat
.Lfunc_end142:
	.size	_ZN2at6native12_GLOBAL__N_135GammaBetaBackwardCUDAKernelTemplateIffLj64ELj1ELj32ELb1ELb1ELb1EEEvllPKT_S5_PKT0_S8_PS3_S9_, .Lfunc_end142-_ZN2at6native12_GLOBAL__N_135GammaBetaBackwardCUDAKernelTemplateIffLj64ELj1ELj32ELb1ELb1ELb1EEEvllPKT_S5_PKT0_S8_PS3_S9_
                                        ; -- End function
	.set _ZN2at6native12_GLOBAL__N_135GammaBetaBackwardCUDAKernelTemplateIffLj64ELj1ELj32ELb1ELb1ELb1EEEvllPKT_S5_PKT0_S8_PS3_S9_.num_vgpr, 96
	.set _ZN2at6native12_GLOBAL__N_135GammaBetaBackwardCUDAKernelTemplateIffLj64ELj1ELj32ELb1ELb1ELb1EEEvllPKT_S5_PKT0_S8_PS3_S9_.num_agpr, 0
	.set _ZN2at6native12_GLOBAL__N_135GammaBetaBackwardCUDAKernelTemplateIffLj64ELj1ELj32ELb1ELb1ELb1EEEvllPKT_S5_PKT0_S8_PS3_S9_.numbered_sgpr, 23
	.set _ZN2at6native12_GLOBAL__N_135GammaBetaBackwardCUDAKernelTemplateIffLj64ELj1ELj32ELb1ELb1ELb1EEEvllPKT_S5_PKT0_S8_PS3_S9_.num_named_barrier, 0
	.set _ZN2at6native12_GLOBAL__N_135GammaBetaBackwardCUDAKernelTemplateIffLj64ELj1ELj32ELb1ELb1ELb1EEEvllPKT_S5_PKT0_S8_PS3_S9_.private_seg_size, 0
	.set _ZN2at6native12_GLOBAL__N_135GammaBetaBackwardCUDAKernelTemplateIffLj64ELj1ELj32ELb1ELb1ELb1EEEvllPKT_S5_PKT0_S8_PS3_S9_.uses_vcc, 1
	.set _ZN2at6native12_GLOBAL__N_135GammaBetaBackwardCUDAKernelTemplateIffLj64ELj1ELj32ELb1ELb1ELb1EEEvllPKT_S5_PKT0_S8_PS3_S9_.uses_flat_scratch, 0
	.set _ZN2at6native12_GLOBAL__N_135GammaBetaBackwardCUDAKernelTemplateIffLj64ELj1ELj32ELb1ELb1ELb1EEEvllPKT_S5_PKT0_S8_PS3_S9_.has_dyn_sized_stack, 0
	.set _ZN2at6native12_GLOBAL__N_135GammaBetaBackwardCUDAKernelTemplateIffLj64ELj1ELj32ELb1ELb1ELb1EEEvllPKT_S5_PKT0_S8_PS3_S9_.has_recursion, 0
	.set _ZN2at6native12_GLOBAL__N_135GammaBetaBackwardCUDAKernelTemplateIffLj64ELj1ELj32ELb1ELb1ELb1EEEvllPKT_S5_PKT0_S8_PS3_S9_.has_indirect_call, 0
	.section	.AMDGPU.csdata,"",@progbits
; Kernel info:
; codeLenInByte = 3576
; TotalNumSgprs: 25
; NumVgprs: 96
; ScratchSize: 0
; MemoryBound: 0
; FloatMode: 240
; IeeeMode: 1
; LDSByteSize: 0 bytes/workgroup (compile time only)
; SGPRBlocks: 0
; VGPRBlocks: 11
; NumSGPRsForWavesPerEU: 25
; NumVGPRsForWavesPerEU: 96
; Occupancy: 16
; WaveLimiterHint : 0
; COMPUTE_PGM_RSRC2:SCRATCH_EN: 0
; COMPUTE_PGM_RSRC2:USER_SGPR: 2
; COMPUTE_PGM_RSRC2:TRAP_HANDLER: 0
; COMPUTE_PGM_RSRC2:TGID_X_EN: 1
; COMPUTE_PGM_RSRC2:TGID_Y_EN: 1
; COMPUTE_PGM_RSRC2:TGID_Z_EN: 0
; COMPUTE_PGM_RSRC2:TIDIG_COMP_CNT: 1
	.section	.text._ZN2at6native12_GLOBAL__N_135GammaBetaBackwardCUDAKernelTemplateIffLj64ELj1ELj32ELb1ELb0ELb1EEEvllPKT_S5_PKT0_S8_PS3_S9_,"axG",@progbits,_ZN2at6native12_GLOBAL__N_135GammaBetaBackwardCUDAKernelTemplateIffLj64ELj1ELj32ELb1ELb0ELb1EEEvllPKT_S5_PKT0_S8_PS3_S9_,comdat
	.globl	_ZN2at6native12_GLOBAL__N_135GammaBetaBackwardCUDAKernelTemplateIffLj64ELj1ELj32ELb1ELb0ELb1EEEvllPKT_S5_PKT0_S8_PS3_S9_ ; -- Begin function _ZN2at6native12_GLOBAL__N_135GammaBetaBackwardCUDAKernelTemplateIffLj64ELj1ELj32ELb1ELb0ELb1EEEvllPKT_S5_PKT0_S8_PS3_S9_
	.p2align	8
	.type	_ZN2at6native12_GLOBAL__N_135GammaBetaBackwardCUDAKernelTemplateIffLj64ELj1ELj32ELb1ELb0ELb1EEEvllPKT_S5_PKT0_S8_PS3_S9_,@function
_ZN2at6native12_GLOBAL__N_135GammaBetaBackwardCUDAKernelTemplateIffLj64ELj1ELj32ELb1ELb0ELb1EEEvllPKT_S5_PKT0_S8_PS3_S9_: ; @_ZN2at6native12_GLOBAL__N_135GammaBetaBackwardCUDAKernelTemplateIffLj64ELj1ELj32ELb1ELb0ELb1EEEvllPKT_S5_PKT0_S8_PS3_S9_
; %bb.0:
	s_clause 0x1
	s_load_b256 s[4:11], s[0:1], 0x0
	s_load_b64 s[12:13], s[0:1], 0x28
	s_lshl_b32 s28, ttmp9, 6
	s_mov_b32 s15, 0
	s_or_b32 s14, s28, 63
	v_mov_b32_e32 v208, v0
	s_wait_kmcnt 0x0
	v_cmp_le_i64_e64 s2, s[6:7], s[14:15]
	s_lshl_b32 s14, ttmp7, 5
	s_wait_alu 0xfffe
	v_cmp_gt_i64_e64 s29, s[4:5], s[14:15]
	s_and_b32 vcc_lo, exec_lo, s2
	v_cndmask_b32_e64 v0, 0, 1, s29
	s_delay_alu instid0(VALU_DEP_1)
	v_cmp_ne_u32_e64 s2, 1, v0
	s_cbranch_vccz .LBB143_141
; %bb.1:
	v_mov_b32_e32 v202, 0
	s_and_b32 vcc_lo, exec_lo, s2
	s_cbranch_vccnz .LBB143_142
; %bb.2:
	v_bfe_u32 v38, v208, 10, 10
	v_dual_mov_b32 v1, 0 :: v_dual_and_b32 v40, 0x3ff, v208
	s_load_b32 s3, s[0:1], 0x44
	s_mov_b32 s17, 0
	s_delay_alu instid0(VALU_DEP_2) | instskip(NEXT) | instid1(VALU_DEP_2)
	v_lshlrev_b32_e32 v39, 5, v38
	v_dual_mov_b32 v7, v1 :: v_dual_add_nc_u32 v6, s28, v40
	s_mov_b32 s21, s17
	v_mov_b32_e32 v41, v1
	s_delay_alu instid0(VALU_DEP_3) | instskip(NEXT) | instid1(VALU_DEP_1)
	v_add_co_u32 v4, s2, v39, s14
	v_add_co_ci_u32_e64 v5, null, 0, 0, s2
	v_cmp_gt_i64_e64 s2, s[6:7], v[6:7]
	s_delay_alu instid0(VALU_DEP_3) | instskip(SKIP_1) | instid1(VALU_DEP_4)
	v_mul_lo_u32 v0, s7, v4
	v_mad_co_u64_u32 v[2:3], null, s6, v4, 0
	v_mul_lo_u32 v8, s6, v5
	v_lshlrev_b64_e32 v[34:35], 2, v[6:7]
	v_mov_b32_e32 v169, 0
	s_add_nc_u64 s[18:19], s[0:1], 64
	s_mov_b64 s[24:25], 31
	s_wait_kmcnt 0x0
	s_lshl_b32 s20, s3, 5
	s_mov_b64 s[26:27], s[14:15]
	s_mul_u64 s[22:23], s[6:7], s[20:21]
	v_add3_u32 v3, v3, v8, v0
	v_add_co_u32 v0, vcc_lo, v4, 31
	s_delay_alu instid0(VALU_DEP_1) | instskip(NEXT) | instid1(VALU_DEP_3)
	v_add_co_ci_u32_e64 v8, null, 0, v5, vcc_lo
	v_lshlrev_b64_e32 v[6:7], 2, v[2:3]
	s_delay_alu instid0(VALU_DEP_3) | instskip(SKIP_1) | instid1(VALU_DEP_3)
	v_mul_lo_u32 v12, s7, v0
	s_lshl_b64 s[22:23], s[22:23], 2
	v_mul_lo_u32 v13, s6, v8
	v_mad_co_u64_u32 v[8:9], null, s6, v0, 0
	v_add_co_u32 v0, vcc_lo, v4, 30
	s_wait_alu 0xfffd
	v_add_co_ci_u32_e64 v10, null, 0, v5, vcc_lo
	v_add_co_u32 v42, vcc_lo, s8, v6
	s_delay_alu instid0(VALU_DEP_3) | instskip(NEXT) | instid1(VALU_DEP_3)
	v_mul_lo_u32 v14, s7, v0
	v_mul_lo_u32 v15, s6, v10
	v_mad_co_u64_u32 v[10:11], null, s6, v0, 0
	s_wait_alu 0xfffd
	v_add_co_ci_u32_e64 v43, null, s9, v7, vcc_lo
	v_add_co_u32 v44, vcc_lo, s10, v6
	s_wait_alu 0xfffd
	v_add_co_ci_u32_e64 v45, null, s11, v7, vcc_lo
	v_add_co_u32 v0, vcc_lo, v4, 29
	v_add3_u32 v9, v9, v13, v12
	v_add3_u32 v11, v11, v15, v14
	s_wait_alu 0xfffd
	v_add_co_ci_u32_e64 v12, null, 0, v5, vcc_lo
	v_mul_lo_u32 v13, s7, v0
	v_lshlrev_b64_e32 v[6:7], 2, v[8:9]
	v_lshlrev_b64_e32 v[8:9], 2, v[10:11]
	s_delay_alu instid0(VALU_DEP_4) | instskip(SKIP_1) | instid1(VALU_DEP_4)
	v_mul_lo_u32 v12, s6, v12
	v_mad_co_u64_u32 v[10:11], null, s6, v0, 0
	v_add_co_u32 v46, vcc_lo, s8, v6
	s_wait_alu 0xfffd
	v_add_co_ci_u32_e64 v47, null, s9, v7, vcc_lo
	v_add_co_u32 v48, vcc_lo, s10, v6
	s_delay_alu instid0(VALU_DEP_4)
	v_add3_u32 v11, v11, v12, v13
	s_wait_alu 0xfffd
	v_add_co_ci_u32_e64 v49, null, s11, v7, vcc_lo
	v_add_co_u32 v50, vcc_lo, s8, v8
	s_wait_alu 0xfffd
	v_add_co_ci_u32_e64 v51, null, s9, v9, vcc_lo
	v_add_co_u32 v0, vcc_lo, v4, 28
	v_add_co_u32 v52, s3, s10, v8
	v_lshlrev_b64_e32 v[6:7], 2, v[10:11]
	s_wait_alu 0xfffd
	v_add_co_ci_u32_e64 v8, null, 0, v5, vcc_lo
	v_add_co_u32 v10, vcc_lo, v4, 27
	s_wait_alu 0xfffd
	v_add_co_ci_u32_e64 v11, null, 0, v5, vcc_lo
	s_wait_alu 0xf1ff
	v_add_co_ci_u32_e64 v53, null, s11, v9, s3
	v_mul_lo_u32 v12, s7, v0
	v_mul_lo_u32 v13, s6, v8
	v_mad_co_u64_u32 v[8:9], null, s6, v0, 0
	v_mul_lo_u32 v0, s7, v10
	v_mul_lo_u32 v14, s6, v11
	v_mad_co_u64_u32 v[10:11], null, s6, v10, 0
	v_add_co_u32 v54, vcc_lo, s8, v6
	s_wait_alu 0xfffd
	v_add_co_ci_u32_e64 v55, null, s9, v7, vcc_lo
	v_add_co_u32 v56, vcc_lo, s10, v6
	s_wait_alu 0xfffd
	v_add_co_ci_u32_e64 v57, null, s11, v7, vcc_lo
	v_add3_u32 v11, v11, v14, v0
	v_add_co_u32 v0, vcc_lo, v4, 26
	v_add3_u32 v9, v9, v13, v12
	s_wait_alu 0xfffd
	v_add_co_ci_u32_e64 v12, null, 0, v5, vcc_lo
	s_delay_alu instid0(VALU_DEP_3) | instskip(NEXT) | instid1(VALU_DEP_3)
	v_mul_lo_u32 v13, s7, v0
	v_lshlrev_b64_e32 v[6:7], 2, v[8:9]
	v_lshlrev_b64_e32 v[8:9], 2, v[10:11]
	s_delay_alu instid0(VALU_DEP_4) | instskip(SKIP_1) | instid1(VALU_DEP_4)
	v_mul_lo_u32 v12, s6, v12
	v_mad_co_u64_u32 v[10:11], null, s6, v0, 0
	v_add_co_u32 v58, vcc_lo, s8, v6
	s_wait_alu 0xfffd
	v_add_co_ci_u32_e64 v59, null, s9, v7, vcc_lo
	v_add_co_u32 v60, vcc_lo, s10, v6
	s_delay_alu instid0(VALU_DEP_4)
	v_add3_u32 v11, v11, v12, v13
	s_wait_alu 0xfffd
	v_add_co_ci_u32_e64 v61, null, s11, v7, vcc_lo
	v_add_co_u32 v62, vcc_lo, s8, v8
	s_wait_alu 0xfffd
	v_add_co_ci_u32_e64 v63, null, s9, v9, vcc_lo
	v_add_co_u32 v0, vcc_lo, v4, 25
	v_add_co_u32 v64, s3, s10, v8
	v_lshlrev_b64_e32 v[6:7], 2, v[10:11]
	s_wait_alu 0xfffd
	v_add_co_ci_u32_e64 v8, null, 0, v5, vcc_lo
	v_add_co_u32 v10, vcc_lo, v4, 24
	s_wait_alu 0xfffd
	v_add_co_ci_u32_e64 v11, null, 0, v5, vcc_lo
	s_wait_alu 0xf1ff
	v_add_co_ci_u32_e64 v65, null, s11, v9, s3
	v_mul_lo_u32 v12, s7, v0
	v_mul_lo_u32 v13, s6, v8
	v_mad_co_u64_u32 v[8:9], null, s6, v0, 0
	v_mul_lo_u32 v0, s7, v10
	v_mul_lo_u32 v14, s6, v11
	v_mad_co_u64_u32 v[10:11], null, s6, v10, 0
	v_add_co_u32 v66, vcc_lo, s8, v6
	s_wait_alu 0xfffd
	v_add_co_ci_u32_e64 v67, null, s9, v7, vcc_lo
	v_add_co_u32 v68, vcc_lo, s10, v6
	s_wait_alu 0xfffd
	v_add_co_ci_u32_e64 v69, null, s11, v7, vcc_lo
	v_add3_u32 v11, v11, v14, v0
	v_add_co_u32 v0, vcc_lo, v4, 23
	v_add3_u32 v9, v9, v13, v12
	s_wait_alu 0xfffd
	v_add_co_ci_u32_e64 v12, null, 0, v5, vcc_lo
	s_delay_alu instid0(VALU_DEP_3) | instskip(NEXT) | instid1(VALU_DEP_3)
	;; [unrolled: 45-line block ×6, first 2 shown]
	v_mul_lo_u32 v13, s7, v0
	v_lshlrev_b64_e32 v[6:7], 2, v[8:9]
	v_lshlrev_b64_e32 v[8:9], 2, v[10:11]
	s_delay_alu instid0(VALU_DEP_4) | instskip(SKIP_1) | instid1(VALU_DEP_4)
	v_mul_lo_u32 v12, s6, v12
	v_mad_co_u64_u32 v[10:11], null, s6, v0, 0
	v_add_co_u32 v118, vcc_lo, s8, v6
	s_wait_alu 0xfffd
	v_add_co_ci_u32_e64 v119, null, s9, v7, vcc_lo
	v_add_co_u32 v0, vcc_lo, s10, v6
	s_delay_alu instid0(VALU_DEP_4)
	v_add3_u32 v11, v11, v12, v13
	s_wait_alu 0xfffd
	v_add_co_ci_u32_e64 v120, null, s11, v7, vcc_lo
	v_add_co_u32 v121, vcc_lo, s8, v8
	s_wait_alu 0xfffd
	v_add_co_ci_u32_e64 v122, null, s9, v9, vcc_lo
	v_add_co_u32 v12, vcc_lo, v4, 10
	v_add_co_u32 v123, s3, s10, v8
	v_lshlrev_b64_e32 v[6:7], 2, v[10:11]
	s_wait_alu 0xfffd
	v_add_co_ci_u32_e64 v8, null, 0, v5, vcc_lo
	v_add_co_u32 v10, vcc_lo, v4, 9
	s_wait_alu 0xfffd
	v_add_co_ci_u32_e64 v11, null, 0, v5, vcc_lo
	s_wait_alu 0xf1ff
	v_add_co_ci_u32_e64 v124, null, s11, v9, s3
	v_mul_lo_u32 v13, s7, v12
	v_mul_lo_u32 v14, s6, v8
	v_mad_co_u64_u32 v[8:9], null, s6, v12, 0
	v_mul_lo_u32 v12, s7, v10
	v_mul_lo_u32 v15, s6, v11
	v_mad_co_u64_u32 v[10:11], null, s6, v10, 0
	v_add_co_u32 v125, vcc_lo, s8, v6
	s_wait_alu 0xfffd
	v_add_co_ci_u32_e64 v126, null, s9, v7, vcc_lo
	v_add_co_u32 v127, vcc_lo, s10, v6
	v_add3_u32 v9, v9, v14, v13
	s_wait_alu 0xfffd
	v_add_co_ci_u32_e64 v128, null, s11, v7, vcc_lo
	v_add3_u32 v11, v11, v15, v12
	v_add_co_u32 v12, vcc_lo, v4, 8
	s_wait_alu 0xfffd
	v_add_co_ci_u32_e64 v13, null, 0, v5, vcc_lo
	v_lshlrev_b64_e32 v[6:7], 2, v[8:9]
	v_lshlrev_b64_e32 v[8:9], 2, v[10:11]
	v_mul_lo_u32 v14, s7, v12
	s_delay_alu instid0(VALU_DEP_4)
	v_mul_lo_u32 v13, s6, v13
	v_mad_co_u64_u32 v[10:11], null, s6, v12, 0
	v_add_co_u32 v129, vcc_lo, s8, v6
	s_wait_alu 0xfffd
	v_add_co_ci_u32_e64 v130, null, s9, v7, vcc_lo
	v_add_co_u32 v131, vcc_lo, s10, v6
	s_wait_alu 0xfffd
	v_add_co_ci_u32_e64 v132, null, s11, v7, vcc_lo
	v_add_co_u32 v133, vcc_lo, s8, v8
	v_add3_u32 v11, v11, v13, v14
	s_wait_alu 0xfffd
	v_add_co_ci_u32_e64 v134, null, s9, v9, vcc_lo
	v_add_co_u32 v12, vcc_lo, v4, 7
	v_add_co_u32 v135, s3, s10, v8
	s_wait_alu 0xfffd
	v_add_co_ci_u32_e64 v8, null, 0, v5, vcc_lo
	v_lshlrev_b64_e32 v[6:7], 2, v[10:11]
	v_add_co_u32 v10, vcc_lo, v4, 6
	s_wait_alu 0xfffd
	v_add_co_ci_u32_e64 v11, null, 0, v5, vcc_lo
	s_wait_alu 0xf1ff
	v_add_co_ci_u32_e64 v136, null, s11, v9, s3
	v_mul_lo_u32 v13, s7, v12
	v_mul_lo_u32 v14, s6, v8
	v_mad_co_u64_u32 v[8:9], null, s6, v12, 0
	v_mul_lo_u32 v12, s7, v10
	v_mul_lo_u32 v15, s6, v11
	v_mad_co_u64_u32 v[10:11], null, s6, v10, 0
	v_add_co_u32 v137, vcc_lo, s8, v6
	v_add3_u32 v9, v9, v14, v13
	s_wait_alu 0xfffd
	v_add_co_ci_u32_e64 v138, null, s9, v7, vcc_lo
	v_add_co_u32 v139, vcc_lo, s10, v6
	s_wait_alu 0xfffd
	v_add_co_ci_u32_e64 v140, null, s11, v7, vcc_lo
	v_add3_u32 v11, v11, v15, v12
	v_add_co_u32 v12, vcc_lo, v4, 5
	v_lshlrev_b64_e32 v[6:7], 2, v[8:9]
	s_wait_alu 0xfffd
	v_add_co_ci_u32_e64 v13, null, 0, v5, vcc_lo
	v_lshlrev_b64_e32 v[8:9], 2, v[10:11]
	v_mul_lo_u32 v14, s7, v12
	v_mad_co_u64_u32 v[10:11], null, s6, v12, 0
	v_add_co_u32 v141, vcc_lo, s8, v6
	v_mul_lo_u32 v13, s6, v13
	s_wait_alu 0xfffd
	v_add_co_ci_u32_e64 v142, null, s9, v7, vcc_lo
	v_add_co_u32 v143, vcc_lo, s10, v6
	s_wait_alu 0xfffd
	v_add_co_ci_u32_e64 v144, null, s11, v7, vcc_lo
	v_add_co_u32 v145, vcc_lo, s8, v8
	;; [unrolled: 3-line block ×3, first 2 shown]
	v_add3_u32 v11, v11, v13, v14
	v_add_co_u32 v147, s3, s10, v8
	s_wait_alu 0xfffd
	v_add_co_ci_u32_e64 v8, null, 0, v5, vcc_lo
	s_wait_alu 0xf1ff
	v_add_co_ci_u32_e64 v148, null, s11, v9, s3
	v_lshlrev_b64_e32 v[6:7], 2, v[10:11]
	v_mul_lo_u32 v13, s7, v12
	v_add_co_u32 v10, vcc_lo, v4, 3
	v_mul_lo_u32 v14, s6, v8
	v_mad_co_u64_u32 v[8:9], null, s6, v12, 0
	s_wait_alu 0xfffd
	v_add_co_ci_u32_e64 v11, null, 0, v5, vcc_lo
	v_mul_lo_u32 v12, s7, v10
	v_add_co_u32 v149, vcc_lo, s8, v6
	s_delay_alu instid0(VALU_DEP_3)
	v_mul_lo_u32 v15, s6, v11
	v_mad_co_u64_u32 v[10:11], null, s6, v10, 0
	v_add3_u32 v9, v9, v14, v13
	s_wait_alu 0xfffd
	v_add_co_ci_u32_e64 v150, null, s9, v7, vcc_lo
	v_add_co_u32 v151, vcc_lo, s10, v6
	s_wait_alu 0xfffd
	v_add_co_ci_u32_e64 v152, null, s11, v7, vcc_lo
	v_lshlrev_b64_e32 v[6:7], 2, v[8:9]
	v_add_co_u32 v8, vcc_lo, v4, 2
	v_add3_u32 v11, v11, v15, v12
	s_wait_alu 0xfffd
	v_add_co_ci_u32_e64 v9, null, 0, v5, vcc_lo
	s_delay_alu instid0(VALU_DEP_4) | instskip(NEXT) | instid1(VALU_DEP_3)
	v_add_co_u32 v153, vcc_lo, s8, v6
	v_lshlrev_b64_e32 v[4:5], 2, v[10:11]
	v_mul_lo_u32 v10, s7, v8
	s_delay_alu instid0(VALU_DEP_4)
	v_mul_lo_u32 v11, s6, v9
	v_mad_co_u64_u32 v[8:9], null, s6, v8, 0
	s_wait_alu 0xfffd
	v_add_co_ci_u32_e64 v154, null, s9, v7, vcc_lo
	v_add_co_u32 v155, vcc_lo, s10, v6
	s_wait_alu 0xfffd
	v_add_co_ci_u32_e64 v156, null, s11, v7, vcc_lo
	v_add_co_u32 v157, vcc_lo, s8, v4
	s_wait_alu 0xfffd
	v_add_co_ci_u32_e64 v158, null, s9, v5, vcc_lo
	v_add3_u32 v9, v9, v11, v10
	v_add_co_u32 v159, vcc_lo, s10, v4
	s_wait_alu 0xfffd
	v_add_co_ci_u32_e64 v160, null, s11, v5, vcc_lo
	v_add_co_u32 v2, vcc_lo, v2, s6
	s_wait_alu 0xfffd
	v_add_co_ci_u32_e64 v3, null, s7, v3, vcc_lo
	v_lshlrev_b64_e32 v[4:5], 2, v[8:9]
	s_delay_alu instid0(VALU_DEP_2) | instskip(NEXT) | instid1(VALU_DEP_2)
	v_lshlrev_b64_e32 v[2:3], 2, v[2:3]
	v_add_co_u32 v161, vcc_lo, s8, v4
	s_wait_alu 0xfffd
	s_delay_alu instid0(VALU_DEP_3)
	v_add_co_ci_u32_e64 v162, null, s9, v5, vcc_lo
	v_add_co_u32 v163, vcc_lo, s10, v4
	s_wait_alu 0xfffd
	v_add_co_ci_u32_e64 v164, null, s11, v5, vcc_lo
	v_add_co_u32 v165, vcc_lo, s8, v2
	s_wait_alu 0xfffd
	;; [unrolled: 3-line block ×3, first 2 shown]
	v_add_co_ci_u32_e64 v168, null, s11, v3, vcc_lo
.LBB143_3:                              ; =>This Inner Loop Header: Depth=1
	s_add_nc_u64 s[30:31], s[14:15], s[24:25]
	v_add_co_u32 v36, vcc_lo, s14, v39
	s_wait_alu 0xfffe
	v_cmp_ge_i64_e64 s3, s[30:31], s[4:5]
	s_wait_alu 0xfffd
	v_add_co_ci_u32_e64 v37, null, 0, v41, vcc_lo
                                        ; implicit-def: $vgpr2_vgpr3_vgpr4_vgpr5_vgpr6_vgpr7_vgpr8_vgpr9_vgpr10_vgpr11_vgpr12_vgpr13_vgpr14_vgpr15_vgpr16_vgpr17_vgpr18_vgpr19_vgpr20_vgpr21_vgpr22_vgpr23_vgpr24_vgpr25_vgpr26_vgpr27_vgpr28_vgpr29_vgpr30_vgpr31_vgpr32_vgpr33
                                        ; implicit-def: $vgpr202
                                        ; implicit-def: $vgpr194
                                        ; implicit-def: $vgpr2
	s_and_b32 vcc_lo, exec_lo, s3
	s_mov_b32 s3, -1
	s_wait_alu 0xfffe
	s_cbranch_vccz .LBB143_71
; %bb.4:                                ;   in Loop: Header=BB143_3 Depth=1
	s_load_b32 s3, s[18:19], 0xc
	v_dual_mov_b32 v170, 0 :: v_dual_mov_b32 v171, 0
	s_wait_kmcnt 0x0
	s_and_b32 s3, s3, 0xffff
	s_wait_alu 0xfffe
	v_mad_u32_u24 v2, v38, s3, v40
	s_mov_b32 s3, exec_lo
	s_delay_alu instid0(VALU_DEP_1) | instskip(NEXT) | instid1(VALU_DEP_1)
	v_and_b32_e32 v2, 31, v2
	v_add_co_u32 v2, vcc_lo, v36, v2
	s_wait_alu 0xfffd
	v_add_co_ci_u32_e64 v3, null, 0, v37, vcc_lo
	s_delay_alu instid0(VALU_DEP_1)
	v_cmpx_gt_i64_e64 s[4:5], v[2:3]
	s_cbranch_execz .LBB143_6
; %bb.5:                                ;   in Loop: Header=BB143_3 Depth=1
	v_lshlrev_b64_e32 v[2:3], 2, v[2:3]
	s_delay_alu instid0(VALU_DEP_1) | instskip(SKIP_1) | instid1(VALU_DEP_2)
	v_add_co_u32 v2, vcc_lo, s12, v2
	s_wait_alu 0xfffd
	v_add_co_ci_u32_e64 v3, null, s13, v3, vcc_lo
	global_load_b32 v170, v[2:3], off
.LBB143_6:                              ;   in Loop: Header=BB143_3 Depth=1
	s_wait_alu 0xfffe
	s_or_b32 exec_lo, exec_lo, s3
	v_mov_b32_e32 v32, v1
	v_cmp_gt_i64_e32 vcc_lo, s[4:5], v[36:37]
	v_dual_mov_b32 v2, v1 :: v_dual_mov_b32 v3, v1
	v_dual_mov_b32 v4, v1 :: v_dual_mov_b32 v5, v1
	;; [unrolled: 1-line block ×15, first 2 shown]
	v_mov_b32_e32 v33, v32
	s_delay_alu instid0(VALU_DEP_2) | instskip(NEXT) | instid1(VALU_DEP_3)
	v_mov_b32_e32 v32, v31
	v_mov_b32_e32 v31, v30
	;; [unrolled: 1-line block ×31, first 2 shown]
	s_and_b32 s16, s2, vcc_lo
	s_delay_alu instid0(SALU_CYCLE_1)
	s_and_saveexec_b32 s3, s16
	s_cbranch_execz .LBB143_8
; %bb.7:                                ;   in Loop: Header=BB143_3 Depth=1
	v_add_co_u32 v2, vcc_lo, v42, v34
	s_wait_alu 0xfffd
	v_add_co_ci_u32_e64 v3, null, v43, v35, vcc_lo
	v_add_co_u32 v4, vcc_lo, v44, v34
	s_wait_alu 0xfffd
	v_add_co_ci_u32_e64 v5, null, v45, v35, vcc_lo
	global_load_b32 v2, v[2:3], off
	global_load_b32 v171, v[4:5], off
	v_dual_mov_b32 v3, v1 :: v_dual_mov_b32 v4, v1
	v_dual_mov_b32 v5, v1 :: v_dual_mov_b32 v6, v1
	;; [unrolled: 1-line block ×15, first 2 shown]
	v_mov_b32_e32 v33, v1
.LBB143_8:                              ;   in Loop: Header=BB143_3 Depth=1
	s_wait_alu 0xfffe
	s_or_b32 exec_lo, exec_lo, s3
	v_add_co_u32 v172, vcc_lo, v36, 1
	s_wait_alu 0xfffd
	v_add_co_ci_u32_e64 v173, null, 0, v37, vcc_lo
	s_delay_alu instid0(VALU_DEP_1) | instskip(SKIP_2) | instid1(SALU_CYCLE_1)
	v_cmp_gt_i64_e32 vcc_lo, s[4:5], v[172:173]
	v_dual_mov_b32 v172, 0 :: v_dual_mov_b32 v173, 0
	s_and_b32 s16, s2, vcc_lo
	s_and_saveexec_b32 s3, s16
	s_cbranch_execz .LBB143_10
; %bb.9:                                ;   in Loop: Header=BB143_3 Depth=1
	v_add_co_u32 v173, vcc_lo, v165, v34
	s_wait_alu 0xfffd
	v_add_co_ci_u32_e64 v174, null, v166, v35, vcc_lo
	v_add_co_u32 v175, vcc_lo, v167, v34
	s_wait_alu 0xfffd
	v_add_co_ci_u32_e64 v176, null, v168, v35, vcc_lo
	global_load_b32 v3, v[173:174], off
	global_load_b32 v173, v[175:176], off
.LBB143_10:                             ;   in Loop: Header=BB143_3 Depth=1
	s_wait_alu 0xfffe
	s_or_b32 exec_lo, exec_lo, s3
	v_add_co_u32 v174, vcc_lo, v36, 2
	s_wait_alu 0xfffd
	v_add_co_ci_u32_e64 v175, null, 0, v37, vcc_lo
	s_delay_alu instid0(VALU_DEP_1) | instskip(SKIP_1) | instid1(SALU_CYCLE_1)
	v_cmp_gt_i64_e32 vcc_lo, s[4:5], v[174:175]
	s_and_b32 s16, s2, vcc_lo
	s_and_saveexec_b32 s3, s16
	s_cbranch_execz .LBB143_12
; %bb.11:                               ;   in Loop: Header=BB143_3 Depth=1
	v_add_co_u32 v174, vcc_lo, v161, v34
	s_wait_alu 0xfffd
	v_add_co_ci_u32_e64 v175, null, v162, v35, vcc_lo
	v_add_co_u32 v176, vcc_lo, v163, v34
	s_wait_alu 0xfffd
	v_add_co_ci_u32_e64 v177, null, v164, v35, vcc_lo
	global_load_b32 v4, v[174:175], off
	global_load_b32 v172, v[176:177], off
.LBB143_12:                             ;   in Loop: Header=BB143_3 Depth=1
	s_wait_alu 0xfffe
	s_or_b32 exec_lo, exec_lo, s3
	v_add_co_u32 v174, vcc_lo, v36, 3
	s_wait_alu 0xfffd
	v_add_co_ci_u32_e64 v175, null, 0, v37, vcc_lo
	s_delay_alu instid0(VALU_DEP_1) | instskip(SKIP_2) | instid1(SALU_CYCLE_1)
	v_cmp_gt_i64_e32 vcc_lo, s[4:5], v[174:175]
	v_dual_mov_b32 v174, 0 :: v_dual_mov_b32 v175, 0
	s_and_b32 s16, s2, vcc_lo
	s_and_saveexec_b32 s3, s16
	s_cbranch_execz .LBB143_14
; %bb.13:                               ;   in Loop: Header=BB143_3 Depth=1
	v_add_co_u32 v175, vcc_lo, v157, v34
	s_wait_alu 0xfffd
	v_add_co_ci_u32_e64 v176, null, v158, v35, vcc_lo
	v_add_co_u32 v177, vcc_lo, v159, v34
	s_wait_alu 0xfffd
	v_add_co_ci_u32_e64 v178, null, v160, v35, vcc_lo
	global_load_b32 v5, v[175:176], off
	global_load_b32 v175, v[177:178], off
.LBB143_14:                             ;   in Loop: Header=BB143_3 Depth=1
	s_wait_alu 0xfffe
	s_or_b32 exec_lo, exec_lo, s3
	v_add_co_u32 v176, vcc_lo, v36, 4
	s_wait_alu 0xfffd
	v_add_co_ci_u32_e64 v177, null, 0, v37, vcc_lo
	s_delay_alu instid0(VALU_DEP_1) | instskip(SKIP_1) | instid1(SALU_CYCLE_1)
	v_cmp_gt_i64_e32 vcc_lo, s[4:5], v[176:177]
	s_and_b32 s16, s2, vcc_lo
	s_and_saveexec_b32 s3, s16
	s_cbranch_execz .LBB143_16
; %bb.15:                               ;   in Loop: Header=BB143_3 Depth=1
	v_add_co_u32 v176, vcc_lo, v153, v34
	s_wait_alu 0xfffd
	v_add_co_ci_u32_e64 v177, null, v154, v35, vcc_lo
	v_add_co_u32 v178, vcc_lo, v155, v34
	s_wait_alu 0xfffd
	v_add_co_ci_u32_e64 v179, null, v156, v35, vcc_lo
	global_load_b32 v6, v[176:177], off
	global_load_b32 v174, v[178:179], off
.LBB143_16:                             ;   in Loop: Header=BB143_3 Depth=1
	s_wait_alu 0xfffe
	s_or_b32 exec_lo, exec_lo, s3
	v_add_co_u32 v176, vcc_lo, v36, 5
	s_wait_alu 0xfffd
	v_add_co_ci_u32_e64 v177, null, 0, v37, vcc_lo
	s_delay_alu instid0(VALU_DEP_1) | instskip(SKIP_2) | instid1(SALU_CYCLE_1)
	v_cmp_gt_i64_e32 vcc_lo, s[4:5], v[176:177]
	v_dual_mov_b32 v176, 0 :: v_dual_mov_b32 v177, 0
	s_and_b32 s16, s2, vcc_lo
	s_and_saveexec_b32 s3, s16
	s_cbranch_execz .LBB143_18
; %bb.17:                               ;   in Loop: Header=BB143_3 Depth=1
	v_add_co_u32 v177, vcc_lo, v149, v34
	s_wait_alu 0xfffd
	v_add_co_ci_u32_e64 v178, null, v150, v35, vcc_lo
	v_add_co_u32 v179, vcc_lo, v151, v34
	s_wait_alu 0xfffd
	v_add_co_ci_u32_e64 v180, null, v152, v35, vcc_lo
	global_load_b32 v7, v[177:178], off
	global_load_b32 v177, v[179:180], off
.LBB143_18:                             ;   in Loop: Header=BB143_3 Depth=1
	;; [unrolled: 41-line block ×10, first 2 shown]
	s_wait_alu 0xfffe
	s_or_b32 exec_lo, exec_lo, s3
	v_add_co_u32 v194, vcc_lo, v36, 22
	s_wait_alu 0xfffd
	v_add_co_ci_u32_e64 v195, null, 0, v37, vcc_lo
	s_delay_alu instid0(VALU_DEP_1) | instskip(SKIP_1) | instid1(SALU_CYCLE_1)
	v_cmp_gt_i64_e32 vcc_lo, s[4:5], v[194:195]
	s_and_b32 s16, s2, vcc_lo
	s_and_saveexec_b32 s3, s16
	s_cbranch_execz .LBB143_52
; %bb.51:                               ;   in Loop: Header=BB143_3 Depth=1
	v_add_co_u32 v194, vcc_lo, v82, v34
	s_wait_alu 0xfffd
	v_add_co_ci_u32_e64 v195, null, v83, v35, vcc_lo
	v_add_co_u32 v196, vcc_lo, v84, v34
	s_wait_alu 0xfffd
	v_add_co_ci_u32_e64 v197, null, v85, v35, vcc_lo
	global_load_b32 v24, v[194:195], off
	global_load_b32 v192, v[196:197], off
.LBB143_52:                             ;   in Loop: Header=BB143_3 Depth=1
	s_wait_alu 0xfffe
	s_or_b32 exec_lo, exec_lo, s3
	v_add_co_u32 v194, vcc_lo, v36, 23
	s_wait_alu 0xfffd
	v_add_co_ci_u32_e64 v195, null, 0, v37, vcc_lo
	v_mov_b32_e32 v196, 0
	s_delay_alu instid0(VALU_DEP_2) | instskip(SKIP_2) | instid1(SALU_CYCLE_1)
	v_cmp_gt_i64_e32 vcc_lo, s[4:5], v[194:195]
	v_mov_b32_e32 v195, 0
	s_and_b32 s16, s2, vcc_lo
	s_and_saveexec_b32 s3, s16
	s_cbranch_execz .LBB143_54
; %bb.53:                               ;   in Loop: Header=BB143_3 Depth=1
	v_add_co_u32 v196, vcc_lo, v78, v34
	s_wait_alu 0xfffd
	v_add_co_ci_u32_e64 v197, null, v79, v35, vcc_lo
	v_add_co_u32 v198, vcc_lo, v80, v34
	s_wait_alu 0xfffd
	v_add_co_ci_u32_e64 v199, null, v81, v35, vcc_lo
	global_load_b32 v25, v[196:197], off
	global_load_b32 v196, v[198:199], off
.LBB143_54:                             ;   in Loop: Header=BB143_3 Depth=1
	s_wait_alu 0xfffe
	s_or_b32 exec_lo, exec_lo, s3
	v_add_co_u32 v197, vcc_lo, v36, 24
	s_wait_alu 0xfffd
	v_add_co_ci_u32_e64 v198, null, 0, v37, vcc_lo
	s_delay_alu instid0(VALU_DEP_1) | instskip(SKIP_1) | instid1(SALU_CYCLE_1)
	v_cmp_gt_i64_e32 vcc_lo, s[4:5], v[197:198]
	s_and_b32 s16, s2, vcc_lo
	s_and_saveexec_b32 s3, s16
	s_cbranch_execz .LBB143_56
; %bb.55:                               ;   in Loop: Header=BB143_3 Depth=1
	v_add_co_u32 v194, vcc_lo, v74, v34
	s_wait_alu 0xfffd
	v_add_co_ci_u32_e64 v195, null, v75, v35, vcc_lo
	v_add_co_u32 v197, vcc_lo, v76, v34
	s_wait_alu 0xfffd
	v_add_co_ci_u32_e64 v198, null, v77, v35, vcc_lo
	global_load_b32 v26, v[194:195], off
	global_load_b32 v195, v[197:198], off
.LBB143_56:                             ;   in Loop: Header=BB143_3 Depth=1
	s_wait_alu 0xfffe
	s_or_b32 exec_lo, exec_lo, s3
	v_add_co_u32 v197, vcc_lo, v36, 25
	s_wait_alu 0xfffd
	v_add_co_ci_u32_e64 v198, null, 0, v37, vcc_lo
	s_delay_alu instid0(VALU_DEP_1) | instskip(SKIP_2) | instid1(SALU_CYCLE_1)
	v_cmp_gt_i64_e32 vcc_lo, s[4:5], v[197:198]
	v_dual_mov_b32 v197, 0 :: v_dual_mov_b32 v198, 0
	s_and_b32 s16, s2, vcc_lo
	s_and_saveexec_b32 s3, s16
	s_cbranch_execz .LBB143_58
; %bb.57:                               ;   in Loop: Header=BB143_3 Depth=1
	v_add_co_u32 v198, vcc_lo, v70, v34
	s_wait_alu 0xfffd
	v_add_co_ci_u32_e64 v199, null, v71, v35, vcc_lo
	v_add_co_u32 v200, vcc_lo, v72, v34
	s_wait_alu 0xfffd
	v_add_co_ci_u32_e64 v201, null, v73, v35, vcc_lo
	global_load_b32 v27, v[198:199], off
	global_load_b32 v198, v[200:201], off
.LBB143_58:                             ;   in Loop: Header=BB143_3 Depth=1
	s_wait_alu 0xfffe
	s_or_b32 exec_lo, exec_lo, s3
	v_add_co_u32 v199, vcc_lo, v36, 26
	s_wait_alu 0xfffd
	v_add_co_ci_u32_e64 v200, null, 0, v37, vcc_lo
	s_delay_alu instid0(VALU_DEP_1) | instskip(SKIP_1) | instid1(SALU_CYCLE_1)
	v_cmp_gt_i64_e32 vcc_lo, s[4:5], v[199:200]
	s_and_b32 s16, s2, vcc_lo
	s_and_saveexec_b32 s3, s16
	s_cbranch_execz .LBB143_60
; %bb.59:                               ;   in Loop: Header=BB143_3 Depth=1
	v_add_co_u32 v199, vcc_lo, v66, v34
	s_wait_alu 0xfffd
	v_add_co_ci_u32_e64 v200, null, v67, v35, vcc_lo
	v_add_co_u32 v201, vcc_lo, v68, v34
	s_wait_alu 0xfffd
	v_add_co_ci_u32_e64 v202, null, v69, v35, vcc_lo
	global_load_b32 v28, v[199:200], off
	global_load_b32 v197, v[201:202], off
.LBB143_60:                             ;   in Loop: Header=BB143_3 Depth=1
	s_wait_alu 0xfffe
	s_or_b32 exec_lo, exec_lo, s3
	v_add_co_u32 v199, vcc_lo, v36, 27
	s_wait_alu 0xfffd
	v_add_co_ci_u32_e64 v200, null, 0, v37, vcc_lo
	s_delay_alu instid0(VALU_DEP_1) | instskip(SKIP_2) | instid1(SALU_CYCLE_1)
	v_cmp_gt_i64_e32 vcc_lo, s[4:5], v[199:200]
	v_dual_mov_b32 v199, 0 :: v_dual_mov_b32 v200, 0
	s_and_b32 s16, s2, vcc_lo
	s_and_saveexec_b32 s3, s16
	s_cbranch_execz .LBB143_62
; %bb.61:                               ;   in Loop: Header=BB143_3 Depth=1
	v_add_co_u32 v200, vcc_lo, v62, v34
	s_wait_alu 0xfffd
	v_add_co_ci_u32_e64 v201, null, v63, v35, vcc_lo
	v_add_co_u32 v202, vcc_lo, v64, v34
	s_wait_alu 0xfffd
	v_add_co_ci_u32_e64 v203, null, v65, v35, vcc_lo
	global_load_b32 v29, v[200:201], off
	global_load_b32 v200, v[202:203], off
.LBB143_62:                             ;   in Loop: Header=BB143_3 Depth=1
	s_wait_alu 0xfffe
	s_or_b32 exec_lo, exec_lo, s3
	v_add_co_u32 v201, vcc_lo, v36, 28
	s_wait_alu 0xfffd
	v_add_co_ci_u32_e64 v202, null, 0, v37, vcc_lo
	s_delay_alu instid0(VALU_DEP_1) | instskip(SKIP_1) | instid1(SALU_CYCLE_1)
	v_cmp_gt_i64_e32 vcc_lo, s[4:5], v[201:202]
	s_and_b32 s16, s2, vcc_lo
	s_and_saveexec_b32 s3, s16
	s_cbranch_execz .LBB143_64
; %bb.63:                               ;   in Loop: Header=BB143_3 Depth=1
	v_add_co_u32 v201, vcc_lo, v58, v34
	s_wait_alu 0xfffd
	v_add_co_ci_u32_e64 v202, null, v59, v35, vcc_lo
	v_add_co_u32 v203, vcc_lo, v60, v34
	s_wait_alu 0xfffd
	v_add_co_ci_u32_e64 v204, null, v61, v35, vcc_lo
	global_load_b32 v30, v[201:202], off
	global_load_b32 v199, v[203:204], off
.LBB143_64:                             ;   in Loop: Header=BB143_3 Depth=1
	s_wait_alu 0xfffe
	s_or_b32 exec_lo, exec_lo, s3
	v_add_co_u32 v201, vcc_lo, v36, 29
	s_wait_alu 0xfffd
	v_add_co_ci_u32_e64 v202, null, 0, v37, vcc_lo
	v_mov_b32_e32 v203, 0
	s_delay_alu instid0(VALU_DEP_2) | instskip(SKIP_2) | instid1(SALU_CYCLE_1)
	v_cmp_gt_i64_e32 vcc_lo, s[4:5], v[201:202]
	v_mov_b32_e32 v201, 0
	s_and_b32 s16, s2, vcc_lo
	s_and_saveexec_b32 s3, s16
	s_cbranch_execz .LBB143_66
; %bb.65:                               ;   in Loop: Header=BB143_3 Depth=1
	v_add_co_u32 v202, vcc_lo, v54, v34
	s_wait_alu 0xfffd
	v_add_co_ci_u32_e64 v203, null, v55, v35, vcc_lo
	v_add_co_u32 v204, vcc_lo, v56, v34
	s_wait_alu 0xfffd
	v_add_co_ci_u32_e64 v205, null, v57, v35, vcc_lo
	global_load_b32 v31, v[202:203], off
	global_load_b32 v203, v[204:205], off
.LBB143_66:                             ;   in Loop: Header=BB143_3 Depth=1
	s_wait_alu 0xfffe
	s_or_b32 exec_lo, exec_lo, s3
	v_add_co_u32 v204, vcc_lo, v36, 30
	s_wait_alu 0xfffd
	v_add_co_ci_u32_e64 v205, null, 0, v37, vcc_lo
	s_delay_alu instid0(VALU_DEP_1) | instskip(SKIP_1) | instid1(SALU_CYCLE_1)
	v_cmp_gt_i64_e32 vcc_lo, s[4:5], v[204:205]
	s_and_b32 s16, s2, vcc_lo
	s_and_saveexec_b32 s3, s16
	s_cbranch_execz .LBB143_68
; %bb.67:                               ;   in Loop: Header=BB143_3 Depth=1
	v_add_co_u32 v201, vcc_lo, v50, v34
	s_wait_alu 0xfffd
	v_add_co_ci_u32_e64 v202, null, v51, v35, vcc_lo
	v_add_co_u32 v204, vcc_lo, v52, v34
	s_wait_alu 0xfffd
	v_add_co_ci_u32_e64 v205, null, v53, v35, vcc_lo
	global_load_b32 v32, v[201:202], off
	global_load_b32 v201, v[204:205], off
.LBB143_68:                             ;   in Loop: Header=BB143_3 Depth=1
	s_wait_alu 0xfffe
	s_or_b32 exec_lo, exec_lo, s3
	v_add_co_u32 v204, vcc_lo, v36, 31
	s_wait_alu 0xfffd
	v_add_co_ci_u32_e64 v205, null, 0, v37, vcc_lo
	v_mov_b32_e32 v194, 0
	s_delay_alu instid0(VALU_DEP_2) | instskip(SKIP_1) | instid1(SALU_CYCLE_1)
	v_cmp_gt_i64_e32 vcc_lo, s[4:5], v[204:205]
	s_and_b32 s16, s2, vcc_lo
	s_and_saveexec_b32 s3, s16
	s_cbranch_execz .LBB143_70
; %bb.69:                               ;   in Loop: Header=BB143_3 Depth=1
	v_add_co_u32 v204, vcc_lo, v46, v34
	s_wait_alu 0xfffd
	v_add_co_ci_u32_e64 v205, null, v47, v35, vcc_lo
	v_add_co_u32 v206, vcc_lo, v48, v34
	s_wait_alu 0xfffd
	v_add_co_ci_u32_e64 v207, null, v49, v35, vcc_lo
	global_load_b32 v33, v[204:205], off
	global_load_b32 v194, v[206:207], off
.LBB143_70:                             ;   in Loop: Header=BB143_3 Depth=1
	s_wait_alu 0xfffe
	s_or_b32 exec_lo, exec_lo, s3
	s_wait_loadcnt 0x0
	ds_bpermute_b32 v202, v1, v170
	ds_bpermute_b32 v204, v1, v170 offset:4
	ds_bpermute_b32 v205, v1, v170 offset:8
	v_dual_mul_f32 v2, v171, v2 :: v_dual_mul_f32 v3, v173, v3
	ds_bpermute_b32 v171, v1, v170 offset:12
	ds_bpermute_b32 v173, v1, v170 offset:16
	s_mov_b32 s3, 0
	s_wait_dscnt 0x4
	v_fma_f32 v202, v2, v202, v169
	v_mul_f32_e32 v2, v172, v4
	ds_bpermute_b32 v4, v1, v170 offset:20
	s_wait_dscnt 0x4
	v_fmac_f32_e32 v202, v3, v204
	v_mul_f32_e32 v3, v175, v5
	ds_bpermute_b32 v5, v1, v170 offset:24
	s_wait_dscnt 0x4
	v_fmac_f32_e32 v202, v2, v205
	;; [unrolled: 4-line block ×6, first 2 shown]
	v_mul_f32_e32 v2, v178, v10
	ds_bpermute_b32 v5, v1, v170 offset:44
	s_wait_dscnt 0x4
	v_dual_fmac_f32 v202, v3, v6 :: v_dual_mul_f32 v3, v181, v11
	ds_bpermute_b32 v6, v1, v170 offset:48
	s_wait_dscnt 0x4
	v_fmac_f32_e32 v202, v2, v7
	v_mul_f32_e32 v2, v180, v12
	ds_bpermute_b32 v7, v1, v170 offset:52
	s_wait_dscnt 0x4
	v_fmac_f32_e32 v202, v3, v8
	v_mul_f32_e32 v3, v183, v13
	ds_bpermute_b32 v8, v1, v170 offset:56
	s_wait_dscnt 0x4
	v_fmac_f32_e32 v202, v2, v4
	v_mul_f32_e32 v2, v182, v14
	ds_bpermute_b32 v4, v1, v170 offset:60
	s_wait_dscnt 0x4
	v_dual_fmac_f32 v202, v3, v5 :: v_dual_mul_f32 v3, v185, v15
	ds_bpermute_b32 v5, v1, v170 offset:64
	s_wait_dscnt 0x4
	v_fmac_f32_e32 v202, v2, v6
	v_mul_f32_e32 v2, v184, v16
	ds_bpermute_b32 v6, v1, v170 offset:68
	s_wait_dscnt 0x4
	v_fmac_f32_e32 v202, v3, v7
	v_mul_f32_e32 v3, v187, v17
	ds_bpermute_b32 v7, v1, v170 offset:72
	s_wait_dscnt 0x4
	v_fmac_f32_e32 v202, v2, v8
	v_mul_f32_e32 v2, v186, v18
	ds_bpermute_b32 v8, v1, v170 offset:76
	s_wait_dscnt 0x4
	v_dual_fmac_f32 v202, v3, v4 :: v_dual_mul_f32 v3, v189, v19
	ds_bpermute_b32 v4, v1, v170 offset:80
	s_wait_dscnt 0x4
	v_fmac_f32_e32 v202, v2, v5
	v_mul_f32_e32 v2, v188, v20
	ds_bpermute_b32 v5, v1, v170 offset:84
	s_wait_dscnt 0x4
	v_fmac_f32_e32 v202, v3, v6
	v_mul_f32_e32 v3, v191, v21
	ds_bpermute_b32 v6, v1, v170 offset:88
	s_wait_dscnt 0x4
	v_fmac_f32_e32 v202, v2, v7
	v_mul_f32_e32 v2, v190, v22
	ds_bpermute_b32 v7, v1, v170 offset:92
	s_wait_dscnt 0x4
	v_dual_fmac_f32 v202, v3, v8 :: v_dual_mul_f32 v3, v193, v23
	ds_bpermute_b32 v8, v1, v170 offset:96
	s_wait_dscnt 0x4
	v_fmac_f32_e32 v202, v2, v4
	v_mul_f32_e32 v2, v192, v24
	ds_bpermute_b32 v4, v1, v170 offset:100
	s_wait_dscnt 0x4
	v_fmac_f32_e32 v202, v3, v5
	v_mul_f32_e32 v3, v196, v25
	ds_bpermute_b32 v5, v1, v170 offset:104
	s_wait_dscnt 0x4
	v_fmac_f32_e32 v202, v2, v6
	v_mul_f32_e32 v2, v195, v26
	ds_bpermute_b32 v6, v1, v170 offset:108
	s_wait_dscnt 0x4
	v_fmac_f32_e32 v202, v3, v7
	v_mul_f32_e32 v3, v198, v27
	ds_bpermute_b32 v7, v1, v170 offset:112
	s_wait_dscnt 0x4
	v_fmac_f32_e32 v202, v2, v8
	v_mul_f32_e32 v2, v197, v28
	ds_bpermute_b32 v8, v1, v170 offset:116
	s_wait_dscnt 0x4
	v_dual_fmac_f32 v202, v3, v4 :: v_dual_mul_f32 v3, v200, v29
	ds_bpermute_b32 v4, v1, v170 offset:120
	s_wait_dscnt 0x4
	v_dual_fmac_f32 v202, v2, v5 :: v_dual_mul_f32 v5, v199, v30
	ds_bpermute_b32 v2, v1, v170 offset:124
	s_wait_dscnt 0x4
	v_fmac_f32_e32 v202, v3, v6
	v_mul_f32_e32 v3, v203, v31
	s_wait_dscnt 0x3
	s_delay_alu instid0(VALU_DEP_2) | instskip(SKIP_1) | instid1(VALU_DEP_1)
	v_fmac_f32_e32 v202, v5, v7
	s_wait_dscnt 0x2
	v_fmac_f32_e32 v202, v3, v8
	v_mul_f32_e32 v3, v201, v32
	s_wait_dscnt 0x1
	s_delay_alu instid0(VALU_DEP_1)
	v_fmac_f32_e32 v202, v3, v4
.LBB143_71:                             ;   in Loop: Header=BB143_3 Depth=1
	s_wait_alu 0xfffe
	s_and_b32 vcc_lo, exec_lo, s3
	s_wait_alu 0xfffe
	s_cbranch_vccz .LBB143_137
; %bb.72:                               ;   in Loop: Header=BB143_3 Depth=1
	s_load_b32 s3, s[18:19], 0x0
	s_wait_kmcnt 0x0
	s_cmp_lt_u32 ttmp9, s3
	s_cselect_b32 s16, 12, 18
	s_delay_alu instid0(SALU_CYCLE_1)
	s_add_nc_u64 s[30:31], s[18:19], s[16:17]
	s_load_u16 s3, s[30:31], 0x0
	s_wait_dscnt 0x0
	s_wait_kmcnt 0x0
	v_mad_u32_u24 v2, v38, s3, v40
	s_mov_b32 s3, exec_lo
	s_delay_alu instid0(VALU_DEP_1) | instskip(NEXT) | instid1(VALU_DEP_1)
	v_and_b32_e32 v2, 31, v2
	v_add_co_u32 v2, vcc_lo, v36, v2
	s_wait_alu 0xfffd
	v_add_co_ci_u32_e64 v3, null, 0, v37, vcc_lo
	v_dual_mov_b32 v37, 0 :: v_dual_mov_b32 v36, 0
	s_delay_alu instid0(VALU_DEP_2)
	v_cmpx_gt_i64_e64 s[4:5], v[2:3]
	s_cbranch_execz .LBB143_74
; %bb.73:                               ;   in Loop: Header=BB143_3 Depth=1
	v_lshlrev_b64_e32 v[2:3], 2, v[2:3]
	s_delay_alu instid0(VALU_DEP_1) | instskip(SKIP_1) | instid1(VALU_DEP_2)
	v_add_co_u32 v2, vcc_lo, s12, v2
	s_wait_alu 0xfffd
	v_add_co_ci_u32_e64 v3, null, s13, v3, vcc_lo
	global_load_b32 v36, v[2:3], off
.LBB143_74:                             ;   in Loop: Header=BB143_3 Depth=1
	s_wait_alu 0xfffe
	s_or_b32 exec_lo, exec_lo, s3
	v_mov_b32_e32 v32, v1
	v_dual_mov_b32 v2, v1 :: v_dual_mov_b32 v3, v1
	v_dual_mov_b32 v4, v1 :: v_dual_mov_b32 v5, v1
	v_dual_mov_b32 v6, v1 :: v_dual_mov_b32 v7, v1
	v_dual_mov_b32 v8, v1 :: v_dual_mov_b32 v9, v1
	v_dual_mov_b32 v10, v1 :: v_dual_mov_b32 v11, v1
	v_dual_mov_b32 v12, v1 :: v_dual_mov_b32 v13, v1
	v_dual_mov_b32 v14, v1 :: v_dual_mov_b32 v15, v1
	v_dual_mov_b32 v16, v1 :: v_dual_mov_b32 v17, v1
	v_dual_mov_b32 v18, v1 :: v_dual_mov_b32 v19, v1
	v_dual_mov_b32 v20, v1 :: v_dual_mov_b32 v21, v1
	v_dual_mov_b32 v22, v1 :: v_dual_mov_b32 v23, v1
	v_dual_mov_b32 v24, v1 :: v_dual_mov_b32 v25, v1
	v_dual_mov_b32 v26, v1 :: v_dual_mov_b32 v27, v1
	v_dual_mov_b32 v28, v1 :: v_dual_mov_b32 v29, v1
	v_dual_mov_b32 v30, v1 :: v_dual_mov_b32 v31, v1
	v_mov_b32_e32 v33, v32
	s_delay_alu instid0(VALU_DEP_2) | instskip(NEXT) | instid1(VALU_DEP_3)
	v_mov_b32_e32 v32, v31
	v_mov_b32_e32 v31, v30
	;; [unrolled: 1-line block ×31, first 2 shown]
	s_and_saveexec_b32 s3, s2
	s_cbranch_execz .LBB143_76
; %bb.75:                               ;   in Loop: Header=BB143_3 Depth=1
	v_add_co_u32 v2, vcc_lo, v42, v34
	s_wait_alu 0xfffd
	v_add_co_ci_u32_e64 v3, null, v43, v35, vcc_lo
	v_add_co_u32 v4, vcc_lo, v44, v34
	s_wait_alu 0xfffd
	v_add_co_ci_u32_e64 v5, null, v45, v35, vcc_lo
	global_load_b32 v2, v[2:3], off
	global_load_b32 v37, v[4:5], off
	v_dual_mov_b32 v3, v1 :: v_dual_mov_b32 v4, v1
	v_dual_mov_b32 v5, v1 :: v_dual_mov_b32 v6, v1
	;; [unrolled: 1-line block ×15, first 2 shown]
	v_mov_b32_e32 v33, v1
.LBB143_76:                             ;   in Loop: Header=BB143_3 Depth=1
	s_wait_alu 0xfffe
	s_or_b32 exec_lo, exec_lo, s3
	v_dual_mov_b32 v170, 0 :: v_dual_mov_b32 v171, 0
	s_and_saveexec_b32 s3, s2
	s_cbranch_execz .LBB143_78
; %bb.77:                               ;   in Loop: Header=BB143_3 Depth=1
	v_add_co_u32 v171, vcc_lo, v165, v34
	s_wait_alu 0xfffd
	v_add_co_ci_u32_e64 v172, null, v166, v35, vcc_lo
	v_add_co_u32 v173, vcc_lo, v167, v34
	s_wait_alu 0xfffd
	v_add_co_ci_u32_e64 v174, null, v168, v35, vcc_lo
	global_load_b32 v3, v[171:172], off
	global_load_b32 v171, v[173:174], off
.LBB143_78:                             ;   in Loop: Header=BB143_3 Depth=1
	s_wait_alu 0xfffe
	s_or_b32 exec_lo, exec_lo, s3
	s_and_saveexec_b32 s3, s2
	s_cbranch_execz .LBB143_80
; %bb.79:                               ;   in Loop: Header=BB143_3 Depth=1
	v_add_co_u32 v172, vcc_lo, v161, v34
	s_wait_alu 0xfffd
	v_add_co_ci_u32_e64 v173, null, v162, v35, vcc_lo
	v_add_co_u32 v174, vcc_lo, v163, v34
	s_wait_alu 0xfffd
	v_add_co_ci_u32_e64 v175, null, v164, v35, vcc_lo
	global_load_b32 v4, v[172:173], off
	global_load_b32 v170, v[174:175], off
.LBB143_80:                             ;   in Loop: Header=BB143_3 Depth=1
	s_wait_alu 0xfffe
	s_or_b32 exec_lo, exec_lo, s3
	v_dual_mov_b32 v172, 0 :: v_dual_mov_b32 v173, 0
	s_and_saveexec_b32 s3, s2
	s_cbranch_execz .LBB143_82
; %bb.81:                               ;   in Loop: Header=BB143_3 Depth=1
	v_add_co_u32 v173, vcc_lo, v157, v34
	s_wait_alu 0xfffd
	v_add_co_ci_u32_e64 v174, null, v158, v35, vcc_lo
	v_add_co_u32 v175, vcc_lo, v159, v34
	s_wait_alu 0xfffd
	v_add_co_ci_u32_e64 v176, null, v160, v35, vcc_lo
	global_load_b32 v5, v[173:174], off
	global_load_b32 v173, v[175:176], off
.LBB143_82:                             ;   in Loop: Header=BB143_3 Depth=1
	s_wait_alu 0xfffe
	s_or_b32 exec_lo, exec_lo, s3
	s_and_saveexec_b32 s3, s2
	s_cbranch_execz .LBB143_84
; %bb.83:                               ;   in Loop: Header=BB143_3 Depth=1
	v_add_co_u32 v174, vcc_lo, v153, v34
	s_wait_alu 0xfffd
	v_add_co_ci_u32_e64 v175, null, v154, v35, vcc_lo
	v_add_co_u32 v176, vcc_lo, v155, v34
	s_wait_alu 0xfffd
	v_add_co_ci_u32_e64 v177, null, v156, v35, vcc_lo
	global_load_b32 v6, v[174:175], off
	global_load_b32 v172, v[176:177], off
.LBB143_84:                             ;   in Loop: Header=BB143_3 Depth=1
	;; [unrolled: 29-line block ×5, first 2 shown]
	s_wait_alu 0xfffe
	s_or_b32 exec_lo, exec_lo, s3
	v_dual_mov_b32 v180, 0 :: v_dual_mov_b32 v181, 0
	s_and_saveexec_b32 s3, s2
	s_cbranch_execz .LBB143_98
; %bb.97:                               ;   in Loop: Header=BB143_3 Depth=1
	v_add_co_u32 v181, vcc_lo, v125, v34
	s_wait_alu 0xfffd
	v_add_co_ci_u32_e64 v182, null, v126, v35, vcc_lo
	v_add_co_u32 v183, vcc_lo, v127, v34
	s_wait_alu 0xfffd
	v_add_co_ci_u32_e64 v184, null, v128, v35, vcc_lo
	global_load_b32 v13, v[181:182], off
	global_load_b32 v181, v[183:184], off
.LBB143_98:                             ;   in Loop: Header=BB143_3 Depth=1
	s_wait_alu 0xfffe
	s_or_b32 exec_lo, exec_lo, s3
	s_and_saveexec_b32 s3, s2
	s_cbranch_execz .LBB143_100
; %bb.99:                               ;   in Loop: Header=BB143_3 Depth=1
	v_add_co_u32 v182, vcc_lo, v121, v34
	s_wait_alu 0xfffd
	v_add_co_ci_u32_e64 v183, null, v122, v35, vcc_lo
	v_add_co_u32 v184, vcc_lo, v123, v34
	s_wait_alu 0xfffd
	v_add_co_ci_u32_e64 v185, null, v124, v35, vcc_lo
	global_load_b32 v14, v[182:183], off
	global_load_b32 v180, v[184:185], off
.LBB143_100:                            ;   in Loop: Header=BB143_3 Depth=1
	s_wait_alu 0xfffe
	s_or_b32 exec_lo, exec_lo, s3
	v_dual_mov_b32 v182, 0 :: v_dual_mov_b32 v183, 0
	s_and_saveexec_b32 s3, s2
	s_cbranch_execz .LBB143_102
; %bb.101:                              ;   in Loop: Header=BB143_3 Depth=1
	v_add_co_u32 v183, vcc_lo, v118, v34
	s_wait_alu 0xfffd
	v_add_co_ci_u32_e64 v184, null, v119, v35, vcc_lo
	v_add_co_u32 v185, vcc_lo, v0, v34
	s_wait_alu 0xfffd
	v_add_co_ci_u32_e64 v186, null, v120, v35, vcc_lo
	global_load_b32 v15, v[183:184], off
	global_load_b32 v183, v[185:186], off
.LBB143_102:                            ;   in Loop: Header=BB143_3 Depth=1
	s_wait_alu 0xfffe
	s_or_b32 exec_lo, exec_lo, s3
	s_and_saveexec_b32 s3, s2
	s_cbranch_execz .LBB143_104
; %bb.103:                              ;   in Loop: Header=BB143_3 Depth=1
	v_add_co_u32 v184, vcc_lo, v114, v34
	s_wait_alu 0xfffd
	v_add_co_ci_u32_e64 v185, null, v115, v35, vcc_lo
	v_add_co_u32 v186, vcc_lo, v116, v34
	s_wait_alu 0xfffd
	v_add_co_ci_u32_e64 v187, null, v117, v35, vcc_lo
	global_load_b32 v16, v[184:185], off
	global_load_b32 v182, v[186:187], off
.LBB143_104:                            ;   in Loop: Header=BB143_3 Depth=1
	s_wait_alu 0xfffe
	s_or_b32 exec_lo, exec_lo, s3
	v_dual_mov_b32 v184, 0 :: v_dual_mov_b32 v185, 0
	s_and_saveexec_b32 s3, s2
	s_cbranch_execz .LBB143_106
; %bb.105:                              ;   in Loop: Header=BB143_3 Depth=1
	v_add_co_u32 v185, vcc_lo, v110, v34
	s_wait_alu 0xfffd
	v_add_co_ci_u32_e64 v186, null, v111, v35, vcc_lo
	v_add_co_u32 v187, vcc_lo, v112, v34
	s_wait_alu 0xfffd
	v_add_co_ci_u32_e64 v188, null, v113, v35, vcc_lo
	global_load_b32 v17, v[185:186], off
	global_load_b32 v185, v[187:188], off
.LBB143_106:                            ;   in Loop: Header=BB143_3 Depth=1
	s_wait_alu 0xfffe
	s_or_b32 exec_lo, exec_lo, s3
	s_and_saveexec_b32 s3, s2
	s_cbranch_execz .LBB143_108
; %bb.107:                              ;   in Loop: Header=BB143_3 Depth=1
	v_add_co_u32 v186, vcc_lo, v106, v34
	s_wait_alu 0xfffd
	v_add_co_ci_u32_e64 v187, null, v107, v35, vcc_lo
	v_add_co_u32 v188, vcc_lo, v108, v34
	s_wait_alu 0xfffd
	v_add_co_ci_u32_e64 v189, null, v109, v35, vcc_lo
	global_load_b32 v18, v[186:187], off
	global_load_b32 v184, v[188:189], off
.LBB143_108:                            ;   in Loop: Header=BB143_3 Depth=1
	;; [unrolled: 29-line block ×8, first 2 shown]
	s_wait_alu 0xfffe
	s_or_b32 exec_lo, exec_lo, s3
	v_dual_mov_b32 v199, 0 :: v_dual_mov_b32 v200, 0
	s_and_saveexec_b32 s3, s2
	s_cbranch_execnz .LBB143_139
; %bb.133:                              ;   in Loop: Header=BB143_3 Depth=1
	s_wait_alu 0xfffe
	s_or_b32 exec_lo, exec_lo, s3
	s_and_saveexec_b32 s3, s2
	s_cbranch_execnz .LBB143_140
.LBB143_134:                            ;   in Loop: Header=BB143_3 Depth=1
	s_wait_alu 0xfffe
	s_or_b32 exec_lo, exec_lo, s3
	v_mov_b32_e32 v194, 0
	s_and_saveexec_b32 s3, s2
	s_cbranch_execz .LBB143_136
.LBB143_135:                            ;   in Loop: Header=BB143_3 Depth=1
	v_add_co_u32 v201, vcc_lo, v46, v34
	s_wait_alu 0xfffd
	v_add_co_ci_u32_e64 v202, null, v47, v35, vcc_lo
	v_add_co_u32 v203, vcc_lo, v48, v34
	s_wait_alu 0xfffd
	v_add_co_ci_u32_e64 v204, null, v49, v35, vcc_lo
	global_load_b32 v33, v[201:202], off
	global_load_b32 v194, v[203:204], off
.LBB143_136:                            ;   in Loop: Header=BB143_3 Depth=1
	s_wait_alu 0xfffe
	s_or_b32 exec_lo, exec_lo, s3
	s_wait_loadcnt 0x0
	ds_bpermute_b32 v201, v1, v36
	ds_bpermute_b32 v202, v1, v36 offset:4
	ds_bpermute_b32 v203, v1, v36 offset:8
	v_dual_mul_f32 v2, v37, v2 :: v_dual_mul_f32 v3, v171, v3
	ds_bpermute_b32 v37, v1, v36 offset:12
	ds_bpermute_b32 v171, v1, v36 offset:16
	s_wait_dscnt 0x4
	v_fmac_f32_e32 v169, v2, v201
	v_mul_f32_e32 v2, v170, v4
	ds_bpermute_b32 v4, v1, v36 offset:20
	s_wait_dscnt 0x4
	v_fmac_f32_e32 v169, v3, v202
	v_mul_f32_e32 v3, v173, v5
	ds_bpermute_b32 v5, v1, v36 offset:24
	s_wait_dscnt 0x4
	v_dual_fmac_f32 v169, v2, v203 :: v_dual_mul_f32 v2, v172, v6
	ds_bpermute_b32 v6, v1, v36 offset:28
	s_wait_dscnt 0x4
	v_fmac_f32_e32 v169, v3, v37
	v_mul_f32_e32 v3, v175, v7
	ds_bpermute_b32 v7, v1, v36 offset:32
	s_wait_dscnt 0x4
	v_fmac_f32_e32 v169, v2, v171
	v_mul_f32_e32 v2, v174, v8
	ds_bpermute_b32 v8, v1, v36 offset:36
	s_wait_dscnt 0x4
	v_fmac_f32_e32 v169, v3, v4
	v_mul_f32_e32 v3, v177, v9
	ds_bpermute_b32 v4, v1, v36 offset:40
	s_wait_dscnt 0x4
	v_dual_fmac_f32 v169, v2, v5 :: v_dual_mul_f32 v2, v176, v10
	ds_bpermute_b32 v5, v1, v36 offset:44
	s_wait_dscnt 0x4
	v_fmac_f32_e32 v169, v3, v6
	v_mul_f32_e32 v3, v179, v11
	;; [unrolled: 15-line block ×5, first 2 shown]
	ds_bpermute_b32 v8, v1, v36 offset:96
	s_wait_dscnt 0x4
	v_fmac_f32_e32 v169, v2, v4
	v_mul_f32_e32 v2, v190, v24
	ds_bpermute_b32 v4, v1, v36 offset:100
	s_wait_dscnt 0x4
	v_fmac_f32_e32 v169, v3, v5
	v_mul_f32_e32 v3, v193, v25
	;; [unrolled: 4-line block ×6, first 2 shown]
	ds_bpermute_b32 v4, v1, v36 offset:120
	s_wait_dscnt 0x4
	v_dual_fmac_f32 v169, v2, v5 :: v_dual_mul_f32 v2, v197, v30
	s_wait_dscnt 0x3
	s_delay_alu instid0(VALU_DEP_1) | instskip(SKIP_2) | instid1(VALU_DEP_2)
	v_fmac_f32_e32 v169, v3, v6
	v_mul_f32_e32 v3, v200, v31
	s_wait_dscnt 0x2
	v_fmac_f32_e32 v169, v2, v7
	ds_bpermute_b32 v2, v1, v36 offset:124
	s_wait_dscnt 0x2
	v_fmac_f32_e32 v169, v3, v8
	v_mul_f32_e32 v3, v199, v32
	s_wait_dscnt 0x1
	s_delay_alu instid0(VALU_DEP_1) | instskip(NEXT) | instid1(VALU_DEP_1)
	v_fmac_f32_e32 v169, v3, v4
	v_mov_b32_e32 v202, v169
.LBB143_137:                            ;   in Loop: Header=BB143_3 Depth=1
	v_add_co_u32 v42, vcc_lo, v42, s22
	s_wait_alu 0xfffd
	v_add_co_ci_u32_e64 v43, null, s23, v43, vcc_lo
	v_add_co_u32 v44, vcc_lo, v44, s22
	s_wait_alu 0xfffd
	v_add_co_ci_u32_e64 v45, null, s23, v45, vcc_lo
	;; [unrolled: 3-line block ×62, first 2 shown]
	v_add_co_u32 v165, vcc_lo, v165, s22
	v_mul_f32_e32 v3, v194, v33
	s_add_nc_u64 s[26:27], s[26:27], s[20:21]
	s_wait_alu 0xfffd
	v_add_co_ci_u32_e64 v166, null, s23, v166, vcc_lo
	v_add_co_u32 v167, vcc_lo, v167, s22
	s_wait_alu 0xfffe
	v_cmp_lt_i64_e64 s3, s[26:27], s[4:5]
	s_wait_alu 0xfffd
	v_add_co_ci_u32_e64 v168, null, s23, v168, vcc_lo
	v_add_co_u32 v39, vcc_lo, v39, s20
	s_wait_dscnt 0x0
	v_fmac_f32_e32 v202, v3, v2
	s_wait_alu 0xfffd
	v_add_co_ci_u32_e64 v41, null, 0, v41, vcc_lo
	s_and_b32 vcc_lo, exec_lo, s3
	s_add_nc_u64 s[24:25], s[24:25], s[20:21]
	s_wait_alu 0xfffe
	s_cbranch_vccz .LBB143_142
; %bb.138:                              ;   in Loop: Header=BB143_3 Depth=1
	v_mov_b32_e32 v169, v202
	s_branch .LBB143_3
.LBB143_139:                            ;   in Loop: Header=BB143_3 Depth=1
	v_add_co_u32 v200, vcc_lo, v54, v34
	s_wait_alu 0xfffd
	v_add_co_ci_u32_e64 v201, null, v55, v35, vcc_lo
	v_add_co_u32 v202, vcc_lo, v56, v34
	s_wait_alu 0xfffd
	v_add_co_ci_u32_e64 v203, null, v57, v35, vcc_lo
	global_load_b32 v31, v[200:201], off
	global_load_b32 v200, v[202:203], off
	s_wait_alu 0xfffe
	s_or_b32 exec_lo, exec_lo, s3
	s_and_saveexec_b32 s3, s2
	s_cbranch_execz .LBB143_134
.LBB143_140:                            ;   in Loop: Header=BB143_3 Depth=1
	v_add_co_u32 v201, vcc_lo, v50, v34
	s_wait_alu 0xfffd
	v_add_co_ci_u32_e64 v202, null, v51, v35, vcc_lo
	v_add_co_u32 v203, vcc_lo, v52, v34
	s_wait_alu 0xfffd
	v_add_co_ci_u32_e64 v204, null, v53, v35, vcc_lo
	global_load_b32 v32, v[201:202], off
	global_load_b32 v199, v[203:204], off
	s_wait_alu 0xfffe
	s_or_b32 exec_lo, exec_lo, s3
	v_mov_b32_e32 v194, 0
	s_and_saveexec_b32 s3, s2
	s_cbranch_execnz .LBB143_135
	s_branch .LBB143_136
.LBB143_141:
                                        ; implicit-def: $vgpr202
	s_load_b64 s[2:3], s[0:1], 0x30
	s_branch .LBB143_143
.LBB143_142:
	s_load_b64 s[2:3], s[0:1], 0x30
	s_cbranch_execnz .LBB143_220
.LBB143_143:
	v_mov_b32_e32 v202, 0
	s_and_not1_b32 vcc_lo, exec_lo, s29
	s_wait_alu 0xfffe
	s_cbranch_vccnz .LBB143_220
; %bb.144:
	v_bfe_u32 v221, v208, 10, 10
	s_lshl_b64 s[16:17], s[14:15], 2
	s_mov_b64 s[20:21], 31
	s_mov_b64 s[22:23], s[14:15]
	s_delay_alu instid0(VALU_DEP_1)
	v_dual_mov_b32 v204, 0 :: v_dual_lshlrev_b32 v1, 7, v221
	v_lshlrev_b32_e32 v220, 5, v221
	s_clause 0x1
	scratch_store_b32 off, v221, off offset:292
	scratch_store_b32 off, v208, off offset:296
	v_add_co_u32 v3, s16, v1, s16
	v_add_co_u32 v0, s18, v220, s14
	s_delay_alu instid0(VALU_DEP_1) | instskip(SKIP_2) | instid1(VALU_DEP_3)
	v_add_co_ci_u32_e64 v9, null, 0, 0, s18
	s_wait_alu 0xf1ff
	v_add_co_ci_u32_e64 v4, null, 0, s17, s16
	v_mul_lo_u32 v5, s7, v0
	s_delay_alu instid0(VALU_DEP_3)
	v_mul_lo_u32 v6, s6, v9
	v_mad_co_u64_u32 v[1:2], null, s6, v0, 0
	v_add_co_u32 v7, vcc_lo, v3, 4
	s_wait_alu 0xfffd
	v_add_co_ci_u32_e64 v8, null, 0, v4, vcc_lo
	v_add_co_u32 v11, vcc_lo, v3, 8
	s_wait_alu 0xfffd
	v_add_co_ci_u32_e64 v12, null, 0, v4, vcc_lo
	v_add3_u32 v2, v2, v6, v5
	v_add_co_u32 v5, vcc_lo, v3, 12
	s_wait_alu 0xfffd
	v_add_co_ci_u32_e64 v6, null, 0, v4, vcc_lo
	v_add_co_u32 v14, vcc_lo, v3, 16
	s_wait_alu 0xfffd
	v_add_co_ci_u32_e64 v16, null, 0, v4, vcc_lo
	v_mad_co_u64_u32 v[34:35], null, s6, v7, s[8:9]
	v_mul_lo_u32 v10, s7, v7
	v_mul_lo_u32 v8, s6, v8
	v_mad_co_u64_u32 v[42:43], null, s6, v7, s[10:11]
	v_mad_co_u64_u32 v[40:41], null, s6, v14, s[8:9]
	v_mul_lo_u32 v16, s6, v16
	v_mul_lo_u32 v7, s7, v14
	v_mad_co_u64_u32 v[50:51], null, s6, v14, s[10:11]
	v_add_co_u32 v17, vcc_lo, v3, 20
	v_mad_co_u64_u32 v[38:39], null, s6, v5, s[8:9]
	v_mul_lo_u32 v15, s7, v5
	s_wait_alu 0xfffd
	v_add_co_ci_u32_e64 v18, null, 0, v4, vcc_lo
	v_mad_co_u64_u32 v[48:49], null, s6, v5, s[10:11]
	v_add_co_u32 v5, vcc_lo, v3, 24
	v_mul_lo_u32 v6, s6, v6
	v_add3_u32 v35, v10, v35, v8
	v_add3_u32 v43, v10, v43, v8
	s_wait_alu 0xfffd
	v_add_co_ci_u32_e64 v8, null, 0, v4, vcc_lo
	v_mad_co_u64_u32 v[52:53], null, s6, v5, s[8:9]
	v_add3_u32 v41, v7, v41, v16
	v_add3_u32 v51, v7, v51, v16
	v_mul_lo_u32 v7, s7, v5
	v_mad_co_u64_u32 v[56:57], null, s6, v5, s[10:11]
	v_add_co_u32 v5, vcc_lo, v3, 28
	v_add3_u32 v39, v15, v39, v6
	v_add3_u32 v49, v15, v49, v6
	v_mul_lo_u32 v6, s6, v8
	s_wait_alu 0xfffd
	v_add_co_ci_u32_e64 v8, null, 0, v4, vcc_lo
	v_mad_co_u64_u32 v[58:59], null, s6, v5, s[8:9]
	v_mul_lo_u32 v10, s7, v5
	v_mad_co_u64_u32 v[60:61], null, s6, v5, s[10:11]
	v_add_co_u32 v5, vcc_lo, v3, 32
	v_mad_co_u64_u32 v[36:37], null, s6, v11, s[8:9]
	v_mul_lo_u32 v13, s7, v11
	v_mad_co_u64_u32 v[46:47], null, s6, v11, s[10:11]
	s_wait_alu 0xfffd
	v_add_co_ci_u32_e64 v11, null, 0, v4, vcc_lo
	v_add3_u32 v53, v7, v53, v6
	v_add3_u32 v57, v7, v57, v6
	v_mul_lo_u32 v7, s7, v5
	s_delay_alu instid0(VALU_DEP_4)
	v_mul_lo_u32 v6, s6, v11
	v_mad_co_u64_u32 v[62:63], null, s6, v5, s[8:9]
	v_mad_co_u64_u32 v[64:65], null, s6, v5, s[10:11]
	v_add_co_u32 v5, vcc_lo, v3, 36
	v_mul_lo_u32 v8, s6, v8
	v_mul_lo_u32 v12, s6, v12
	v_add3_u32 v63, v7, v63, v6
	s_delay_alu instid0(VALU_DEP_4)
	v_mad_co_u64_u32 v[66:67], null, s6, v5, s[8:9]
	v_add3_u32 v65, v7, v65, v6
	s_wait_alu 0xfffd
	v_add_co_ci_u32_e64 v6, null, 0, v4, vcc_lo
	v_mul_lo_u32 v7, s7, v5
	v_mad_co_u64_u32 v[68:69], null, s6, v5, s[10:11]
	s_delay_alu instid0(VALU_DEP_3) | instskip(SKIP_4) | instid1(VALU_DEP_4)
	v_mul_lo_u32 v6, s6, v6
	v_add_co_u32 v5, vcc_lo, v3, 40
	v_add3_u32 v59, v10, v59, v8
	v_add3_u32 v61, v10, v61, v8
	;; [unrolled: 1-line block ×3, first 2 shown]
	v_mad_co_u64_u32 v[70:71], null, s6, v5, s[8:9]
	v_add3_u32 v67, v7, v67, v6
	v_add3_u32 v69, v7, v69, v6
	s_wait_alu 0xfffd
	v_add_co_ci_u32_e64 v6, null, 0, v4, vcc_lo
	v_mul_lo_u32 v7, s7, v5
	v_mad_co_u64_u32 v[72:73], null, s6, v5, s[10:11]
	s_delay_alu instid0(VALU_DEP_3) | instskip(SKIP_3) | instid1(VALU_DEP_3)
	v_mul_lo_u32 v6, s6, v6
	v_add_co_u32 v5, vcc_lo, v3, 44
	v_add3_u32 v47, v13, v47, v12
	v_mad_co_u64_u32 v[44:45], null, s6, v17, s[8:9]
	v_mad_co_u64_u32 v[74:75], null, s6, v5, s[8:9]
	v_add3_u32 v71, v7, v71, v6
	v_add3_u32 v73, v7, v73, v6
	s_wait_alu 0xfffd
	v_add_co_ci_u32_e64 v6, null, 0, v4, vcc_lo
	v_mul_lo_u32 v7, s7, v5
	v_mad_co_u64_u32 v[76:77], null, s6, v5, s[10:11]
	s_delay_alu instid0(VALU_DEP_3) | instskip(SKIP_3) | instid1(VALU_DEP_3)
	v_mul_lo_u32 v6, s6, v6
	v_add_co_u32 v5, vcc_lo, v3, 48
	v_mul_lo_u32 v19, s7, v17
	v_mad_co_u64_u32 v[54:55], null, s6, v17, s[10:11]
	v_mad_co_u64_u32 v[78:79], null, s6, v5, s[8:9]
	v_add3_u32 v75, v7, v75, v6
	v_add3_u32 v77, v7, v77, v6
	s_wait_alu 0xfffd
	v_add_co_ci_u32_e64 v6, null, 0, v4, vcc_lo
	v_mul_lo_u32 v7, s7, v5
	v_mad_co_u64_u32 v[80:81], null, s6, v5, s[10:11]
	s_delay_alu instid0(VALU_DEP_3) | instskip(SKIP_3) | instid1(VALU_DEP_2)
	v_mul_lo_u32 v6, s6, v6
	v_add_co_u32 v5, vcc_lo, v3, 52
	v_mul_lo_u32 v18, s6, v18
	s_add_nc_u64 s[16:17], s[0:1], 64
	v_mad_co_u64_u32 v[82:83], null, s6, v5, s[8:9]
	s_delay_alu instid0(VALU_DEP_4)
	v_add3_u32 v79, v7, v79, v6
	v_add3_u32 v81, v7, v81, v6
	s_wait_alu 0xfffd
	v_add_co_ci_u32_e64 v6, null, 0, v4, vcc_lo
	v_mul_lo_u32 v7, s7, v5
	v_mad_co_u64_u32 v[84:85], null, s6, v5, s[10:11]
	s_delay_alu instid0(VALU_DEP_3) | instskip(SKIP_3) | instid1(VALU_DEP_3)
	v_mul_lo_u32 v6, s6, v6
	v_add_co_u32 v5, vcc_lo, v3, 56
	v_add3_u32 v45, v19, v45, v18
	v_add3_u32 v55, v19, v55, v18
	v_mad_co_u64_u32 v[86:87], null, s6, v5, s[8:9]
	v_add3_u32 v83, v7, v83, v6
	v_add3_u32 v85, v7, v85, v6
	s_wait_alu 0xfffd
	v_add_co_ci_u32_e64 v6, null, 0, v4, vcc_lo
	v_mul_lo_u32 v7, s7, v5
	v_mad_co_u64_u32 v[88:89], null, s6, v5, s[10:11]
	s_delay_alu instid0(VALU_DEP_3) | instskip(SKIP_1) | instid1(VALU_DEP_1)
	v_mul_lo_u32 v6, s6, v6
	v_add_co_u32 v5, vcc_lo, v3, 60
	v_mad_co_u64_u32 v[90:91], null, s6, v5, s[8:9]
	s_delay_alu instid0(VALU_DEP_3)
	v_add3_u32 v87, v7, v87, v6
	v_add3_u32 v89, v7, v89, v6
	s_wait_alu 0xfffd
	v_add_co_ci_u32_e64 v6, null, 0, v4, vcc_lo
	v_mul_lo_u32 v7, s7, v5
	v_mad_co_u64_u32 v[92:93], null, s6, v5, s[10:11]
	s_delay_alu instid0(VALU_DEP_3) | instskip(SKIP_1) | instid1(VALU_DEP_1)
	v_mul_lo_u32 v6, s6, v6
	v_add_co_u32 v5, vcc_lo, v3, 64
	v_mad_co_u64_u32 v[94:95], null, s6, v5, s[8:9]
	s_delay_alu instid0(VALU_DEP_3)
	;; [unrolled: 11-line block ×16, first 2 shown]
	v_add3_u32 v147, v7, v147, v6
	v_add3_u32 v149, v7, v149, v6
	s_wait_alu 0xfffd
	v_add_co_ci_u32_e64 v6, null, 0, v4, vcc_lo
	v_add_co_u32 v3, vcc_lo, 0x7c, v3
	s_wait_alu 0xfffd
	v_add_co_ci_u32_e64 v4, null, 0, v4, vcc_lo
	v_mul_lo_u32 v7, s7, v5
	v_mad_co_u64_u32 v[152:153], null, s6, v5, s[10:11]
	s_delay_alu instid0(VALU_DEP_3)
	v_mul_lo_u32 v4, s6, v4
	v_mul_lo_u32 v5, s7, v3
	v_mad_co_u64_u32 v[154:155], null, s6, v3, s[8:9]
	v_mad_co_u64_u32 v[156:157], null, s6, v3, s[10:11]
	v_mul_lo_u32 v6, s6, v6
	v_add_co_u32 v3, vcc_lo, v0, 31
	s_delay_alu instid0(VALU_DEP_4) | instskip(NEXT) | instid1(VALU_DEP_4)
	v_add3_u32 v155, v5, v155, v4
	v_add3_u32 v157, v5, v157, v4
	s_wait_alu 0xfffd
	v_add_co_ci_u32_e64 v4, null, 0, v9, vcc_lo
	v_add3_u32 v151, v7, v151, v6
	v_add3_u32 v153, v7, v153, v6
	v_mul_lo_u32 v6, s7, v3
	s_delay_alu instid0(VALU_DEP_4) | instskip(SKIP_1) | instid1(VALU_DEP_1)
	v_mul_lo_u32 v5, s6, v4
	v_mad_co_u64_u32 v[3:4], null, s6, v3, 0
	v_add3_u32 v4, v4, v5, v6
	v_add_co_u32 v5, vcc_lo, v0, 30
	s_wait_alu 0xfffd
	v_add_co_ci_u32_e64 v6, null, 0, v9, vcc_lo
	s_delay_alu instid0(VALU_DEP_2) | instskip(NEXT) | instid1(VALU_DEP_2)
	v_mul_lo_u32 v8, s7, v5
	v_mul_lo_u32 v7, s6, v6
	v_mad_co_u64_u32 v[5:6], null, s6, v5, 0
	s_delay_alu instid0(VALU_DEP_1) | instskip(SKIP_3) | instid1(VALU_DEP_2)
	v_add3_u32 v6, v6, v7, v8
	v_add_co_u32 v7, vcc_lo, v0, 29
	s_wait_alu 0xfffd
	v_add_co_ci_u32_e64 v8, null, 0, v9, vcc_lo
	v_mul_lo_u32 v11, s7, v7
	s_delay_alu instid0(VALU_DEP_2) | instskip(SKIP_1) | instid1(VALU_DEP_1)
	v_mul_lo_u32 v10, s6, v8
	v_mad_co_u64_u32 v[7:8], null, s6, v7, 0
	v_add3_u32 v8, v8, v10, v11
	v_add_co_u32 v10, vcc_lo, v0, 28
	s_wait_alu 0xfffd
	v_add_co_ci_u32_e64 v11, null, 0, v9, vcc_lo
	s_delay_alu instid0(VALU_DEP_2) | instskip(NEXT) | instid1(VALU_DEP_2)
	v_mul_lo_u32 v13, s7, v10
	v_mul_lo_u32 v12, s6, v11
	v_mad_co_u64_u32 v[10:11], null, s6, v10, 0
	s_delay_alu instid0(VALU_DEP_1) | instskip(SKIP_3) | instid1(VALU_DEP_2)
	v_add3_u32 v11, v11, v12, v13
	v_add_co_u32 v12, vcc_lo, v0, 27
	s_wait_alu 0xfffd
	v_add_co_ci_u32_e64 v13, null, 0, v9, vcc_lo
	v_mul_lo_u32 v15, s7, v12
	s_delay_alu instid0(VALU_DEP_2) | instskip(SKIP_1) | instid1(VALU_DEP_1)
	;; [unrolled: 17-line block ×8, first 2 shown]
	v_mul_lo_u32 v162, s6, v161
	v_mad_co_u64_u32 v[160:161], null, s6, v160, 0
	v_add3_u32 v161, v161, v162, v163
	v_add_co_u32 v162, vcc_lo, v0, 14
	s_wait_alu 0xfffd
	v_add_co_ci_u32_e64 v163, null, 0, v9, vcc_lo
	s_delay_alu instid0(VALU_DEP_2) | instskip(NEXT) | instid1(VALU_DEP_2)
	v_mul_lo_u32 v165, s7, v162
	v_mul_lo_u32 v164, s6, v163
	v_mad_co_u64_u32 v[162:163], null, s6, v162, 0
	s_delay_alu instid0(VALU_DEP_1) | instskip(SKIP_3) | instid1(VALU_DEP_2)
	v_add3_u32 v163, v163, v164, v165
	v_add_co_u32 v164, vcc_lo, v0, 13
	s_wait_alu 0xfffd
	v_add_co_ci_u32_e64 v165, null, 0, v9, vcc_lo
	v_mul_lo_u32 v166, s7, v164
	v_mad_co_u64_u32 v[168:169], null, s6, v164, 0
	s_delay_alu instid0(VALU_DEP_3) | instskip(SKIP_1) | instid1(VALU_DEP_1)
	v_mul_lo_u32 v165, s6, v165
	v_add_co_u32 v164, vcc_lo, v0, 12
	v_mad_co_u64_u32 v[170:171], null, s6, v164, 0
	s_delay_alu instid0(VALU_DEP_3) | instskip(SKIP_4) | instid1(VALU_DEP_3)
	v_add3_u32 v169, v169, v165, v166
	s_wait_alu 0xfffd
	v_add_co_ci_u32_e64 v165, null, 0, v9, vcc_lo
	v_mul_lo_u32 v166, s7, v164
	v_add_co_u32 v164, vcc_lo, v0, 11
	v_mul_lo_u32 v165, s6, v165
	s_delay_alu instid0(VALU_DEP_2) | instskip(NEXT) | instid1(VALU_DEP_2)
	v_mad_co_u64_u32 v[172:173], null, s6, v164, 0
	v_add3_u32 v171, v171, v165, v166
	s_wait_alu 0xfffd
	v_add_co_ci_u32_e64 v165, null, 0, v9, vcc_lo
	v_mul_lo_u32 v166, s7, v164
	v_add_co_u32 v164, vcc_lo, v0, 10
	s_delay_alu instid0(VALU_DEP_3) | instskip(NEXT) | instid1(VALU_DEP_2)
	v_mul_lo_u32 v165, s6, v165
	v_mad_co_u64_u32 v[174:175], null, s6, v164, 0
	s_delay_alu instid0(VALU_DEP_2) | instskip(SKIP_4) | instid1(VALU_DEP_3)
	v_add3_u32 v173, v173, v165, v166
	s_wait_alu 0xfffd
	v_add_co_ci_u32_e64 v165, null, 0, v9, vcc_lo
	v_mul_lo_u32 v166, s7, v164
	v_add_co_u32 v164, vcc_lo, v0, 9
	v_mul_lo_u32 v165, s6, v165
	s_delay_alu instid0(VALU_DEP_2) | instskip(NEXT) | instid1(VALU_DEP_2)
	v_mad_co_u64_u32 v[176:177], null, s6, v164, 0
	v_add3_u32 v175, v175, v165, v166
	s_wait_alu 0xfffd
	v_add_co_ci_u32_e64 v165, null, 0, v9, vcc_lo
	v_mul_lo_u32 v166, s7, v164
	v_add_co_u32 v164, vcc_lo, v0, 8
	s_delay_alu instid0(VALU_DEP_3) | instskip(NEXT) | instid1(VALU_DEP_2)
	v_mul_lo_u32 v165, s6, v165
	v_mad_co_u64_u32 v[178:179], null, s6, v164, 0
	s_delay_alu instid0(VALU_DEP_2) | instskip(SKIP_4) | instid1(VALU_DEP_3)
	;; [unrolled: 17-line block ×4, first 2 shown]
	v_add3_u32 v185, v185, v165, v166
	s_wait_alu 0xfffd
	v_add_co_ci_u32_e64 v165, null, 0, v9, vcc_lo
	v_mul_lo_u32 v166, s7, v164
	v_add_co_u32 v164, vcc_lo, v0, 3
	v_mul_lo_u32 v165, s6, v165
	s_delay_alu instid0(VALU_DEP_2) | instskip(NEXT) | instid1(VALU_DEP_2)
	v_mad_co_u64_u32 v[189:190], null, s6, v164, 0
	v_add3_u32 v187, v187, v165, v166
	s_wait_alu 0xfffd
	v_add_co_ci_u32_e64 v165, null, 0, v9, vcc_lo
	v_add_co_u32 v0, vcc_lo, v0, 2
	s_wait_alu 0xfffd
	v_add_co_ci_u32_e64 v9, null, 0, v9, vcc_lo
	v_mul_lo_u32 v166, s7, v164
	s_delay_alu instid0(VALU_DEP_3) | instskip(SKIP_1) | instid1(VALU_DEP_4)
	v_mul_lo_u32 v164, s7, v0
	v_mad_co_u64_u32 v[193:194], null, s6, v0, 0
	v_mul_lo_u32 v9, s6, v9
	v_mul_lo_u32 v165, s6, v165
	v_add_co_u32 v197, vcc_lo, v1, s6
	v_lshlrev_b64_e32 v[0:1], 2, v[1:2]
	s_wait_alu 0xfffd
	v_add_co_ci_u32_e64 v198, null, s7, v2, vcc_lo
	v_add3_u32 v194, v194, v9, v164
	v_add3_u32 v190, v190, v165, v166
	s_delay_alu instid0(VALU_DEP_4)
	v_add_co_u32 v164, vcc_lo, s8, v0
	s_wait_alu 0xfffd
	v_add_co_ci_u32_e64 v165, null, s9, v1, vcc_lo
	v_add_co_u32 v166, vcc_lo, s10, v0
	s_wait_alu 0xfffd
	v_add_co_ci_u32_e64 v167, null, s11, v1, vcc_lo
	v_lshlrev_b64_e32 v[0:1], 2, v[3:4]
	s_delay_alu instid0(VALU_DEP_1) | instskip(SKIP_1) | instid1(VALU_DEP_2)
	v_add_co_u32 v222, vcc_lo, s8, v0
	s_wait_alu 0xfffd
	v_add_co_ci_u32_e64 v223, null, s9, v1, vcc_lo
	v_add_co_u32 v224, vcc_lo, s10, v0
	s_wait_alu 0xfffd
	v_add_co_ci_u32_e64 v225, null, s11, v1, vcc_lo
	v_lshlrev_b64_e32 v[0:1], 2, v[5:6]
	s_delay_alu instid0(VALU_DEP_1) | instskip(SKIP_1) | instid1(VALU_DEP_2)
	v_add_co_u32 v227, vcc_lo, s8, v0
	s_wait_alu 0xfffd
	v_add_co_ci_u32_e64 v2, null, s9, v1, vcc_lo
	v_add_co_u32 v0, vcc_lo, s10, v0
	s_clause 0x1
	scratch_store_b32 off, v2, off
	scratch_store_b32 off, v0, off offset:4
	s_wait_alu 0xfffd
	v_add_co_ci_u32_e64 v0, null, s11, v1, vcc_lo
	scratch_store_b32 off, v0, off offset:8 ; 4-byte Folded Spill
	v_lshlrev_b64_e32 v[0:1], 2, v[7:8]
	s_delay_alu instid0(VALU_DEP_1)
	v_add_co_u32 v2, vcc_lo, s8, v0
	scratch_store_b32 off, v2, off offset:12 ; 4-byte Folded Spill
	s_wait_alu 0xfffd
	v_add_co_ci_u32_e64 v2, null, s9, v1, vcc_lo
	v_add_co_u32 v0, vcc_lo, s10, v0
	s_clause 0x1
	scratch_store_b32 off, v2, off offset:16
	scratch_store_b32 off, v0, off offset:20
	s_wait_alu 0xfffd
	v_add_co_ci_u32_e64 v0, null, s11, v1, vcc_lo
	scratch_store_b32 off, v0, off offset:24 ; 4-byte Folded Spill
	v_lshlrev_b64_e32 v[0:1], 2, v[10:11]
	s_delay_alu instid0(VALU_DEP_1)
	v_add_co_u32 v2, vcc_lo, s8, v0
	scratch_store_b32 off, v2, off offset:28 ; 4-byte Folded Spill
	s_wait_alu 0xfffd
	v_add_co_ci_u32_e64 v2, null, s9, v1, vcc_lo
	v_add_co_u32 v0, vcc_lo, s10, v0
	s_clause 0x1
	scratch_store_b32 off, v2, off offset:32
	;; [unrolled: 13-line block ×13, first 2 shown]
	scratch_store_b32 off, v0, off offset:212
	s_wait_alu 0xfffd
	v_add_co_ci_u32_e64 v0, null, s11, v1, vcc_lo
	scratch_store_b32 off, v0, off offset:216 ; 4-byte Folded Spill
	v_lshlrev_b64_e32 v[0:1], 2, v[158:159]
	s_delay_alu instid0(VALU_DEP_1) | instskip(SKIP_1) | instid1(VALU_DEP_2)
	v_add_co_u32 v228, vcc_lo, s8, v0
	s_wait_alu 0xfffd
	v_add_co_ci_u32_e64 v229, null, s9, v1, vcc_lo
	v_add_co_u32 v230, vcc_lo, s10, v0
	s_wait_alu 0xfffd
	v_add_co_ci_u32_e64 v231, null, s11, v1, vcc_lo
	v_lshlrev_b64_e32 v[0:1], 2, v[160:161]
	s_delay_alu instid0(VALU_DEP_1) | instskip(SKIP_1) | instid1(VALU_DEP_2)
	v_add_co_u32 v232, vcc_lo, s8, v0
	s_wait_alu 0xfffd
	v_add_co_ci_u32_e64 v233, null, s9, v1, vcc_lo
	v_add_co_u32 v234, vcc_lo, s10, v0
	s_wait_alu 0xfffd
	v_add_co_ci_u32_e64 v235, null, s11, v1, vcc_lo
	;; [unrolled: 8-line block ×15, first 2 shown]
	v_lshlrev_b64_e32 v[1:2], 2, v[197:198]
	s_delay_alu instid0(VALU_DEP_1)
	v_add_co_u32 v197, vcc_lo, s8, v1
	s_load_b32 s8, s[0:1], 0x44
	v_add_co_ci_u32_e64 v198, null, s9, v2, vcc_lo
	v_add_co_u32 v199, vcc_lo, s10, v1
	v_and_b32_e32 v1, 0x3ff, v208
	s_wait_alu 0xfffd
	v_add_co_ci_u32_e64 v200, null, s11, v2, vcc_lo
	s_mov_b32 s9, 0
	scratch_store_b32 off, v1, off offset:288 ; 4-byte Folded Spill
	v_dual_mov_b32 v1, 0 :: v_dual_add_nc_u32 v2, s28, v1
	s_wait_alu 0xfffe
	s_mov_b32 s11, s9
	s_delay_alu instid0(VALU_DEP_1) | instskip(SKIP_3) | instid1(VALU_DEP_2)
	v_mov_b32_e32 v3, v1
	v_mov_b32_e32 v201, v1
	s_wait_kmcnt 0x0
	s_lshl_b32 s10, s8, 5
	v_lshlrev_b64_e32 v[158:159], 2, v[2:3]
	s_wait_alu 0xfffe
	s_mul_u64 s[18:19], s[6:7], s[10:11]
	s_wait_alu 0xfffe
	s_lshl_b64 s[18:19], s[18:19], 2
.LBB143_145:                            ; =>This Inner Loop Header: Depth=1
	s_add_nc_u64 s[24:25], s[14:15], s[20:21]
	v_add_co_u32 v160, vcc_lo, s14, v220
	s_wait_alu 0xfffe
	v_cmp_ge_i64_e64 s8, s[24:25], s[4:5]
	s_wait_alu 0xfffd
	v_add_co_ci_u32_e64 v161, null, 0, v201, vcc_lo
                                        ; implicit-def: $vgpr202
	s_and_b32 vcc_lo, exec_lo, s8
	s_mov_b32 s8, -1
	s_wait_alu 0xfffe
	s_cbranch_vccz .LBB143_213
; %bb.146:                              ;   in Loop: Header=BB143_145 Depth=1
	scratch_load_b32 v2, off, off offset:288 ; 4-byte Folded Reload
	s_load_b32 s8, s[16:17], 0xc
	v_dual_mov_b32 v4, 0 :: v_dual_mov_b32 v203, 0
	scratch_store_b32 off, v4, off offset:220 ; 4-byte Folded Spill
	s_wait_kmcnt 0x0
	s_and_b32 s8, s8, 0xffff
	s_wait_loadcnt 0x0
	s_wait_alu 0xfffe
	v_mad_u32_u24 v2, v221, s8, v2
	s_mov_b32 s8, exec_lo
	s_delay_alu instid0(VALU_DEP_1) | instskip(NEXT) | instid1(VALU_DEP_1)
	v_and_b32_e32 v2, 31, v2
	v_add_co_u32 v2, vcc_lo, v160, v2
	s_wait_alu 0xfffd
	v_add_co_ci_u32_e64 v3, null, 0, v161, vcc_lo
	s_delay_alu instid0(VALU_DEP_1)
	v_cmpx_gt_i64_e64 s[4:5], v[2:3]
	s_cbranch_execz .LBB143_148
; %bb.147:                              ;   in Loop: Header=BB143_145 Depth=1
	v_lshlrev_b64_e32 v[2:3], 2, v[2:3]
	s_delay_alu instid0(VALU_DEP_1) | instskip(SKIP_1) | instid1(VALU_DEP_2)
	v_add_co_u32 v2, vcc_lo, s12, v2
	s_wait_alu 0xfffd
	v_add_co_ci_u32_e64 v3, null, s13, v3, vcc_lo
	global_load_b32 v203, v[2:3], off
.LBB143_148:                            ;   in Loop: Header=BB143_145 Depth=1
	s_wait_alu 0xfffe
	s_or_b32 exec_lo, exec_lo, s8
	v_mov_b32_e32 v32, v1
	v_dual_mov_b32 v2, v1 :: v_dual_mov_b32 v3, v1
	v_dual_mov_b32 v4, v1 :: v_dual_mov_b32 v5, v1
	;; [unrolled: 1-line block ×15, first 2 shown]
	v_mov_b32_e32 v33, v32
	s_delay_alu instid0(VALU_DEP_2) | instskip(NEXT) | instid1(VALU_DEP_3)
	v_mov_b32_e32 v32, v31
	v_mov_b32_e32 v31, v30
	;; [unrolled: 1-line block ×31, first 2 shown]
	s_mov_b32 s8, exec_lo
	v_cmpx_gt_i64_e64 s[4:5], v[160:161]
	s_cbranch_execz .LBB143_150
; %bb.149:                              ;   in Loop: Header=BB143_145 Depth=1
	v_add_co_u32 v2, vcc_lo, v166, v158
	s_wait_alu 0xfffd
	v_add_co_ci_u32_e64 v3, null, v167, v159, vcc_lo
	v_add_co_u32 v4, vcc_lo, v164, v158
	s_wait_alu 0xfffd
	v_add_co_ci_u32_e64 v5, null, v165, v159, vcc_lo
	global_load_b32 v2, v[2:3], off
	v_mov_b32_e32 v3, v1
	v_dual_mov_b32 v7, v1 :: v_dual_mov_b32 v8, v1
	v_dual_mov_b32 v9, v1 :: v_dual_mov_b32 v10, v1
	;; [unrolled: 1-line block ×14, first 2 shown]
	s_wait_loadcnt 0x0
	scratch_store_b32 off, v2, off offset:220 ; 4-byte Folded Spill
	global_load_b32 v2, v[4:5], off
	v_dual_mov_b32 v4, v1 :: v_dual_mov_b32 v5, v1
.LBB143_150:                            ;   in Loop: Header=BB143_145 Depth=1
	s_wait_alu 0xfffe
	s_or_b32 exec_lo, exec_lo, s8
	v_mov_b32_e32 v202, 0
	v_add_co_u32 v205, vcc_lo, v160, 1
	s_wait_alu 0xfffd
	v_add_co_ci_u32_e64 v206, null, 0, v161, vcc_lo
	scratch_store_b32 off, v202, off offset:224 ; 4-byte Folded Spill
	v_mov_b32_e32 v202, 0
	s_mov_b32 s8, exec_lo
	scratch_store_b32 off, v202, off offset:228 ; 4-byte Folded Spill
	v_cmpx_gt_i64_e64 s[4:5], v[205:206]
	s_cbranch_execz .LBB143_152
; %bb.151:                              ;   in Loop: Header=BB143_145 Depth=1
	v_add_co_u32 v205, vcc_lo, v199, v158
	s_wait_alu 0xfffd
	v_add_co_ci_u32_e64 v206, null, v200, v159, vcc_lo
	v_add_co_u32 v207, vcc_lo, v197, v158
	s_wait_alu 0xfffd
	v_add_co_ci_u32_e64 v208, null, v198, v159, vcc_lo
	global_load_b32 v3, v[205:206], off
	s_wait_loadcnt 0x0
	scratch_store_b32 off, v3, off offset:228 ; 4-byte Folded Spill
	global_load_b32 v3, v[207:208], off
.LBB143_152:                            ;   in Loop: Header=BB143_145 Depth=1
	s_wait_alu 0xfffe
	s_or_b32 exec_lo, exec_lo, s8
	v_add_co_u32 v205, vcc_lo, v160, 2
	s_wait_alu 0xfffd
	v_add_co_ci_u32_e64 v206, null, 0, v161, vcc_lo
	s_mov_b32 s8, exec_lo
	v_cmpx_gt_i64_e64 s[4:5], v[205:206]
	s_cbranch_execz .LBB143_154
; %bb.153:                              ;   in Loop: Header=BB143_145 Depth=1
	v_add_co_u32 v205, vcc_lo, v195, v158
	s_wait_alu 0xfffd
	v_add_co_ci_u32_e64 v206, null, v196, v159, vcc_lo
	v_add_co_u32 v207, vcc_lo, v193, v158
	s_wait_alu 0xfffd
	v_add_co_ci_u32_e64 v208, null, v194, v159, vcc_lo
	global_load_b32 v4, v[205:206], off
	s_wait_loadcnt 0x0
	scratch_store_b32 off, v4, off offset:224 ; 4-byte Folded Spill
	global_load_b32 v4, v[207:208], off
.LBB143_154:                            ;   in Loop: Header=BB143_145 Depth=1
	s_wait_alu 0xfffe
	s_or_b32 exec_lo, exec_lo, s8
	v_mov_b32_e32 v202, 0
	v_add_co_u32 v205, vcc_lo, v160, 3
	s_wait_alu 0xfffd
	v_add_co_ci_u32_e64 v206, null, 0, v161, vcc_lo
	scratch_store_b32 off, v202, off offset:232 ; 4-byte Folded Spill
	v_mov_b32_e32 v202, 0
	s_mov_b32 s8, exec_lo
	scratch_store_b32 off, v202, off offset:236 ; 4-byte Folded Spill
	v_cmpx_gt_i64_e64 s[4:5], v[205:206]
	s_cbranch_execz .LBB143_156
; %bb.155:                              ;   in Loop: Header=BB143_145 Depth=1
	v_add_co_u32 v205, vcc_lo, v191, v158
	s_wait_alu 0xfffd
	v_add_co_ci_u32_e64 v206, null, v192, v159, vcc_lo
	v_add_co_u32 v207, vcc_lo, v189, v158
	s_wait_alu 0xfffd
	v_add_co_ci_u32_e64 v208, null, v190, v159, vcc_lo
	global_load_b32 v5, v[205:206], off
	s_wait_loadcnt 0x0
	scratch_store_b32 off, v5, off offset:236 ; 4-byte Folded Spill
	global_load_b32 v5, v[207:208], off
.LBB143_156:                            ;   in Loop: Header=BB143_145 Depth=1
	s_wait_alu 0xfffe
	s_or_b32 exec_lo, exec_lo, s8
	v_add_co_u32 v205, vcc_lo, v160, 4
	s_wait_alu 0xfffd
	v_add_co_ci_u32_e64 v206, null, 0, v161, vcc_lo
	s_mov_b32 s8, exec_lo
	v_cmpx_gt_i64_e64 s[4:5], v[205:206]
	s_cbranch_execz .LBB143_158
; %bb.157:                              ;   in Loop: Header=BB143_145 Depth=1
	v_add_co_u32 v205, vcc_lo, v187, v158
	s_wait_alu 0xfffd
	v_add_co_ci_u32_e64 v206, null, v188, v159, vcc_lo
	v_add_co_u32 v207, vcc_lo, v185, v158
	s_wait_alu 0xfffd
	v_add_co_ci_u32_e64 v208, null, v186, v159, vcc_lo
	global_load_b32 v6, v[205:206], off
	s_wait_loadcnt 0x0
	scratch_store_b32 off, v6, off offset:232 ; 4-byte Folded Spill
	global_load_b32 v6, v[207:208], off
.LBB143_158:                            ;   in Loop: Header=BB143_145 Depth=1
	;; [unrolled: 44-line block ×8, first 2 shown]
	s_wait_alu 0xfffe
	s_or_b32 exec_lo, exec_lo, s8
	v_add_co_u32 v205, vcc_lo, v160, 17
	s_wait_alu 0xfffd
	v_add_co_ci_u32_e64 v206, null, 0, v161, vcc_lo
	v_mov_b32_e32 v202, 0
	s_delay_alu instid0(VALU_DEP_2)
	v_cmp_gt_i64_e32 vcc_lo, s[4:5], v[205:206]
	v_mov_b32_e32 v205, 0
	s_and_saveexec_b32 s8, vcc_lo
	s_cbranch_execz .LBB143_184
; %bb.183:                              ;   in Loop: Header=BB143_145 Depth=1
	scratch_load_b32 v19, off, off offset:212 ; 4-byte Folded Reload
	s_wait_loadcnt 0x0
	v_add_co_u32 v205, vcc_lo, v19, v158
	scratch_load_b32 v19, off, off offset:216 ; 4-byte Folded Reload
	s_wait_loadcnt 0x0
	s_wait_alu 0xfffd
	v_add_co_ci_u32_e64 v206, null, v19, v159, vcc_lo
	scratch_load_b32 v19, off, off offset:204 ; 4-byte Folded Reload
	s_wait_loadcnt 0x0
	v_add_co_u32 v207, vcc_lo, v19, v158
	scratch_load_b32 v19, off, off offset:208 ; 4-byte Folded Reload
	s_wait_loadcnt 0x0
	s_wait_alu 0xfffd
	v_add_co_ci_u32_e64 v208, null, v19, v159, vcc_lo
	global_load_b32 v205, v[205:206], off
	global_load_b32 v19, v[207:208], off
.LBB143_184:                            ;   in Loop: Header=BB143_145 Depth=1
	s_wait_alu 0xfffe
	s_or_b32 exec_lo, exec_lo, s8
	v_add_co_u32 v206, vcc_lo, v160, 18
	s_wait_alu 0xfffd
	v_add_co_ci_u32_e64 v207, null, 0, v161, vcc_lo
	s_mov_b32 s8, exec_lo
	v_cmpx_gt_i64_e64 s[4:5], v[206:207]
	s_cbranch_execz .LBB143_186
; %bb.185:                              ;   in Loop: Header=BB143_145 Depth=1
	scratch_load_b32 v20, off, off offset:196 ; 4-byte Folded Reload
	s_wait_loadcnt 0x0
	v_add_co_u32 v206, vcc_lo, v20, v158
	scratch_load_b32 v20, off, off offset:200 ; 4-byte Folded Reload
	s_wait_loadcnt 0x0
	s_wait_alu 0xfffd
	v_add_co_ci_u32_e64 v207, null, v20, v159, vcc_lo
	scratch_load_b32 v20, off, off offset:188 ; 4-byte Folded Reload
	s_wait_loadcnt 0x0
	v_add_co_u32 v208, vcc_lo, v20, v158
	scratch_load_b32 v20, off, off offset:192 ; 4-byte Folded Reload
	s_wait_loadcnt 0x0
	s_wait_alu 0xfffd
	v_add_co_ci_u32_e64 v209, null, v20, v159, vcc_lo
	global_load_b32 v202, v[206:207], off
	global_load_b32 v20, v[208:209], off
.LBB143_186:                            ;   in Loop: Header=BB143_145 Depth=1
	s_wait_alu 0xfffe
	s_or_b32 exec_lo, exec_lo, s8
	v_add_co_u32 v206, vcc_lo, v160, 19
	s_wait_alu 0xfffd
	v_add_co_ci_u32_e64 v207, null, 0, v161, vcc_lo
	s_delay_alu instid0(VALU_DEP_1)
	v_cmp_gt_i64_e32 vcc_lo, s[4:5], v[206:207]
	v_dual_mov_b32 v206, 0 :: v_dual_mov_b32 v207, 0
	s_and_saveexec_b32 s8, vcc_lo
	s_cbranch_execz .LBB143_188
; %bb.187:                              ;   in Loop: Header=BB143_145 Depth=1
	scratch_load_b32 v21, off, off offset:180 ; 4-byte Folded Reload
	s_wait_loadcnt 0x0
	v_add_co_u32 v207, vcc_lo, v21, v158
	scratch_load_b32 v21, off, off offset:184 ; 4-byte Folded Reload
	s_wait_loadcnt 0x0
	s_wait_alu 0xfffd
	v_add_co_ci_u32_e64 v208, null, v21, v159, vcc_lo
	scratch_load_b32 v21, off, off offset:172 ; 4-byte Folded Reload
	s_wait_loadcnt 0x0
	v_add_co_u32 v209, vcc_lo, v21, v158
	scratch_load_b32 v21, off, off offset:176 ; 4-byte Folded Reload
	s_wait_loadcnt 0x0
	s_wait_alu 0xfffd
	v_add_co_ci_u32_e64 v210, null, v21, v159, vcc_lo
	global_load_b32 v207, v[207:208], off
	global_load_b32 v21, v[209:210], off
.LBB143_188:                            ;   in Loop: Header=BB143_145 Depth=1
	s_wait_alu 0xfffe
	s_or_b32 exec_lo, exec_lo, s8
	v_add_co_u32 v208, vcc_lo, v160, 20
	s_wait_alu 0xfffd
	v_add_co_ci_u32_e64 v209, null, 0, v161, vcc_lo
	s_mov_b32 s8, exec_lo
	v_cmpx_gt_i64_e64 s[4:5], v[208:209]
	s_cbranch_execz .LBB143_190
; %bb.189:                              ;   in Loop: Header=BB143_145 Depth=1
	scratch_load_b32 v22, off, off offset:164 ; 4-byte Folded Reload
	s_wait_loadcnt 0x0
	v_add_co_u32 v208, vcc_lo, v22, v158
	scratch_load_b32 v22, off, off offset:168 ; 4-byte Folded Reload
	s_wait_loadcnt 0x0
	s_wait_alu 0xfffd
	v_add_co_ci_u32_e64 v209, null, v22, v159, vcc_lo
	scratch_load_b32 v22, off, off offset:156 ; 4-byte Folded Reload
	s_wait_loadcnt 0x0
	v_add_co_u32 v210, vcc_lo, v22, v158
	scratch_load_b32 v22, off, off offset:160 ; 4-byte Folded Reload
	s_wait_loadcnt 0x0
	s_wait_alu 0xfffd
	v_add_co_ci_u32_e64 v211, null, v22, v159, vcc_lo
	global_load_b32 v206, v[208:209], off
	global_load_b32 v22, v[210:211], off
.LBB143_190:                            ;   in Loop: Header=BB143_145 Depth=1
	s_wait_alu 0xfffe
	s_or_b32 exec_lo, exec_lo, s8
	v_add_co_u32 v208, vcc_lo, v160, 21
	s_wait_alu 0xfffd
	v_add_co_ci_u32_e64 v209, null, 0, v161, vcc_lo
	s_delay_alu instid0(VALU_DEP_1)
	v_cmp_gt_i64_e32 vcc_lo, s[4:5], v[208:209]
	v_dual_mov_b32 v208, 0 :: v_dual_mov_b32 v209, 0
	;; [unrolled: 54-line block ×6, first 2 shown]
	s_and_saveexec_b32 s8, vcc_lo
	s_cbranch_execz .LBB143_208
; %bb.207:                              ;   in Loop: Header=BB143_145 Depth=1
	scratch_load_b32 v31, off, off offset:20 ; 4-byte Folded Reload
	v_dual_mov_b32 v226, v225 :: v_dual_mov_b32 v225, v224
	v_dual_mov_b32 v224, v223 :: v_dual_mov_b32 v223, v222
	v_mov_b32_e32 v222, v220
	s_wait_loadcnt 0x0
	v_add_co_u32 v217, vcc_lo, v31, v158
	scratch_load_b32 v31, off, off offset:24 ; 4-byte Folded Reload
	s_wait_loadcnt 0x0
	s_wait_alu 0xfffd
	v_add_co_ci_u32_e64 v218, null, v31, v159, vcc_lo
	scratch_load_b32 v31, off, off offset:12 ; 4-byte Folded Reload
	s_wait_loadcnt 0x0
	v_add_co_u32 v219, vcc_lo, v31, v158
	scratch_load_b32 v31, off, off offset:16 ; 4-byte Folded Reload
	s_wait_loadcnt 0x0
	s_wait_alu 0xfffd
	v_add_co_ci_u32_e64 v220, null, v31, v159, vcc_lo
	global_load_b32 v217, v[217:218], off
	global_load_b32 v31, v[219:220], off
	v_mov_b32_e32 v220, v222
	v_dual_mov_b32 v222, v223 :: v_dual_mov_b32 v223, v224
	v_dual_mov_b32 v224, v225 :: v_dual_mov_b32 v225, v226
.LBB143_208:                            ;   in Loop: Header=BB143_145 Depth=1
	s_wait_alu 0xfffe
	s_or_b32 exec_lo, exec_lo, s8
	v_add_co_u32 v218, vcc_lo, v160, 30
	s_wait_alu 0xfffd
	v_add_co_ci_u32_e64 v219, null, 0, v161, vcc_lo
	s_mov_b32 s8, exec_lo
	v_cmpx_gt_i64_e64 s[4:5], v[218:219]
	s_cbranch_execz .LBB143_210
; %bb.209:                              ;   in Loop: Header=BB143_145 Depth=1
	scratch_load_b32 v32, off, off offset:4 ; 4-byte Folded Reload
	v_dual_mov_b32 v226, v225 :: v_dual_mov_b32 v225, v224
	v_dual_mov_b32 v224, v223 :: v_dual_mov_b32 v223, v222
	v_mov_b32_e32 v222, v220
	s_wait_loadcnt 0x0
	v_add_co_u32 v218, vcc_lo, v32, v158
	scratch_load_b32 v32, off, off offset:8 ; 4-byte Folded Reload
	s_wait_loadcnt 0x0
	s_wait_alu 0xfffd
	v_add_co_ci_u32_e64 v219, null, v32, v159, vcc_lo
	scratch_load_b32 v32, off, off          ; 4-byte Folded Reload
	v_add_co_u32 v220, vcc_lo, v227, v158
	s_wait_loadcnt 0x0
	s_wait_alu 0xfffd
	v_add_co_ci_u32_e64 v221, null, v32, v159, vcc_lo
	global_load_b32 v216, v[218:219], off
	global_load_b32 v32, v[220:221], off
	scratch_load_b32 v221, off, off offset:292 ; 4-byte Folded Reload
	v_mov_b32_e32 v220, v222
	v_dual_mov_b32 v222, v223 :: v_dual_mov_b32 v223, v224
	v_dual_mov_b32 v224, v225 :: v_dual_mov_b32 v225, v226
.LBB143_210:                            ;   in Loop: Header=BB143_145 Depth=1
	s_wait_alu 0xfffe
	s_or_b32 exec_lo, exec_lo, s8
	v_add_co_u32 v218, vcc_lo, v160, 31
	s_wait_alu 0xfffd
	v_add_co_ci_u32_e64 v219, null, 0, v161, vcc_lo
	s_delay_alu instid0(VALU_DEP_1)
	v_cmp_gt_i64_e32 vcc_lo, s[4:5], v[218:219]
	v_mov_b32_e32 v218, 0
	s_and_saveexec_b32 s8, vcc_lo
	s_cbranch_execz .LBB143_212
; %bb.211:                              ;   in Loop: Header=BB143_145 Depth=1
	v_add_co_u32 v218, vcc_lo, v224, v158
	s_wait_alu 0xfffd
	v_add_co_ci_u32_e64 v219, null, v225, v159, vcc_lo
	v_dual_mov_b32 v226, v225 :: v_dual_mov_b32 v225, v224
	v_dual_mov_b32 v224, v223 :: v_dual_mov_b32 v223, v222
	v_mov_b32_e32 v222, v220
	s_delay_alu instid0(VALU_DEP_2)
	v_add_co_u32 v220, vcc_lo, v223, v158
	s_wait_loadcnt 0x0
	s_wait_alu 0xfffd
	v_add_co_ci_u32_e64 v221, null, v224, v159, vcc_lo
	global_load_b32 v218, v[218:219], off
	global_load_b32 v33, v[220:221], off
	scratch_load_b32 v221, off, off offset:292 ; 4-byte Folded Reload
	v_mov_b32_e32 v220, v222
	v_dual_mov_b32 v222, v223 :: v_dual_mov_b32 v223, v224
	v_dual_mov_b32 v224, v225 :: v_dual_mov_b32 v225, v226
.LBB143_212:                            ;   in Loop: Header=BB143_145 Depth=1
	s_wait_alu 0xfffe
	s_or_b32 exec_lo, exec_lo, s8
	scratch_load_b32 v219, off, off offset:220 th:TH_LOAD_LU ; 4-byte Folded Reload
	s_mov_b32 s8, 0
	s_wait_loadcnt 0x1
	v_dual_mul_f32 v19, v205, v19 :: v_dual_mul_f32 v20, v202, v20
	ds_bpermute_b32 v202, v1, v203
	v_dual_mul_f32 v23, v209, v23 :: v_dual_mul_f32 v22, v206, v22
	v_dual_mul_f32 v27, v213, v27 :: v_dual_mul_f32 v24, v208, v24
	;; [unrolled: 1-line block ×4, first 2 shown]
	v_mul_f32_e32 v30, v214, v30
	v_mul_f32_e32 v32, v216, v32
	s_wait_loadcnt 0x0
	v_mul_f32_e32 v2, v219, v2
	scratch_load_b32 v219, off, off offset:228 th:TH_LOAD_LU ; 4-byte Folded Reload
	s_wait_dscnt 0x0
	v_fma_f32 v202, v2, v202, v204
	ds_bpermute_b32 v2, v1, v203 offset:4
	s_wait_loadcnt 0x0
	v_mul_f32_e32 v3, v219, v3
	scratch_load_b32 v219, off, off offset:224 th:TH_LOAD_LU ; 4-byte Folded Reload
	s_wait_dscnt 0x0
	v_fmac_f32_e32 v202, v3, v2
	ds_bpermute_b32 v2, v1, v203 offset:8
	ds_bpermute_b32 v3, v1, v203 offset:104
	s_wait_loadcnt 0x0
	v_mul_f32_e32 v4, v219, v4
	scratch_load_b32 v219, off, off offset:236 th:TH_LOAD_LU ; 4-byte Folded Reload
	s_wait_dscnt 0x1
	v_fmac_f32_e32 v202, v4, v2
	ds_bpermute_b32 v2, v1, v203 offset:12
	ds_bpermute_b32 v4, v1, v203 offset:112
	s_wait_loadcnt 0x0
	v_mul_f32_e32 v5, v219, v5
	scratch_load_b32 v219, off, off offset:232 th:TH_LOAD_LU ; 4-byte Folded Reload
	s_wait_dscnt 0x1
	v_dual_mul_f32 v21, v207, v21 :: v_dual_fmac_f32 v202, v5, v2
	ds_bpermute_b32 v2, v1, v203 offset:16
	ds_bpermute_b32 v5, v1, v203 offset:120
	s_wait_loadcnt 0x0
	v_mul_f32_e32 v6, v219, v6
	scratch_load_b32 v219, off, off offset:244 th:TH_LOAD_LU ; 4-byte Folded Reload
	s_wait_dscnt 0x1
	v_dual_mul_f32 v25, v211, v25 :: v_dual_fmac_f32 v202, v6, v2
	ds_bpermute_b32 v2, v1, v203 offset:20
	s_wait_loadcnt 0x0
	v_mul_f32_e32 v7, v219, v7
	scratch_load_b32 v219, off, off offset:240 th:TH_LOAD_LU ; 4-byte Folded Reload
	s_wait_dscnt 0x0
	v_fmac_f32_e32 v202, v7, v2
	ds_bpermute_b32 v2, v1, v203 offset:24
	s_wait_loadcnt 0x0
	v_mul_f32_e32 v8, v219, v8
	scratch_load_b32 v219, off, off offset:252 th:TH_LOAD_LU ; 4-byte Folded Reload
	s_wait_dscnt 0x0
	v_dual_mul_f32 v29, v215, v29 :: v_dual_fmac_f32 v202, v8, v2
	ds_bpermute_b32 v2, v1, v203 offset:28
	s_wait_loadcnt 0x0
	v_mul_f32_e32 v9, v219, v9
	scratch_load_b32 v219, off, off offset:248 th:TH_LOAD_LU ; 4-byte Folded Reload
	s_wait_dscnt 0x0
	v_fmac_f32_e32 v202, v9, v2
	ds_bpermute_b32 v2, v1, v203 offset:32
	s_wait_loadcnt 0x0
	v_mul_f32_e32 v10, v219, v10
	scratch_load_b32 v219, off, off offset:260 th:TH_LOAD_LU ; 4-byte Folded Reload
	s_wait_dscnt 0x0
	v_fmac_f32_e32 v202, v10, v2
	;; [unrolled: 6-line block ×9, first 2 shown]
	ds_bpermute_b32 v2, v1, v203 offset:64
	s_wait_loadcnt 0x0
	v_mul_f32_e32 v18, v219, v18
	s_wait_dscnt 0x0
	s_delay_alu instid0(VALU_DEP_1)
	v_fmac_f32_e32 v202, v18, v2
	ds_bpermute_b32 v2, v1, v203 offset:68
	s_wait_dscnt 0x0
	v_fmac_f32_e32 v202, v19, v2
	ds_bpermute_b32 v2, v1, v203 offset:72
	s_wait_dscnt 0x0
	v_fmac_f32_e32 v202, v20, v2
	ds_bpermute_b32 v2, v1, v203 offset:76
	s_wait_dscnt 0x0
	v_fmac_f32_e32 v202, v21, v2
	ds_bpermute_b32 v2, v1, v203 offset:80
	s_wait_dscnt 0x0
	v_fmac_f32_e32 v202, v22, v2
	ds_bpermute_b32 v2, v1, v203 offset:84
	s_wait_dscnt 0x0
	v_fmac_f32_e32 v202, v23, v2
	ds_bpermute_b32 v2, v1, v203 offset:88
	s_wait_dscnt 0x0
	v_fmac_f32_e32 v202, v24, v2
	ds_bpermute_b32 v2, v1, v203 offset:92
	s_wait_dscnt 0x0
	v_fmac_f32_e32 v202, v25, v2
	ds_bpermute_b32 v2, v1, v203 offset:96
	s_wait_dscnt 0x0
	v_fmac_f32_e32 v202, v26, v2
	ds_bpermute_b32 v2, v1, v203 offset:100
	s_wait_dscnt 0x0
	v_fmac_f32_e32 v202, v27, v2
	ds_bpermute_b32 v2, v1, v203 offset:108
	v_fmac_f32_e32 v202, v28, v3
	ds_bpermute_b32 v3, v1, v203 offset:116
	s_wait_dscnt 0x1
	v_fmac_f32_e32 v202, v29, v2
	ds_bpermute_b32 v2, v1, v203 offset:124
	v_fmac_f32_e32 v202, v30, v4
	s_wait_dscnt 0x1
	s_delay_alu instid0(VALU_DEP_1) | instskip(NEXT) | instid1(VALU_DEP_1)
	v_fmac_f32_e32 v202, v31, v3
	v_fmac_f32_e32 v202, v32, v5
	s_wait_dscnt 0x0
	s_delay_alu instid0(VALU_DEP_1)
	v_fmac_f32_e32 v202, v33, v2
.LBB143_213:                            ;   in Loop: Header=BB143_145 Depth=1
	s_wait_alu 0xfffe
	s_and_b32 vcc_lo, exec_lo, s8
	s_wait_alu 0xfffe
	s_cbranch_vccz .LBB143_217
; %bb.214:                              ;   in Loop: Header=BB143_145 Depth=1
	scratch_load_b32 v2, off, off offset:288 ; 4-byte Folded Reload
	s_load_b32 s8, s[16:17], 0x0
	v_mov_b32_e32 v4, 0
	s_wait_kmcnt 0x0
	s_cmp_lt_u32 ttmp9, s8
	s_cselect_b32 s8, 12, 18
	s_wait_alu 0xfffe
	s_add_nc_u64 s[24:25], s[16:17], s[8:9]
	s_load_u16 s8, s[24:25], 0x0
	s_wait_loadcnt 0x0
	s_wait_kmcnt 0x0
	v_mad_u32_u24 v2, v221, s8, v2
	s_mov_b32 s8, exec_lo
	s_delay_alu instid0(VALU_DEP_1) | instskip(NEXT) | instid1(VALU_DEP_1)
	v_and_b32_e32 v2, 31, v2
	v_add_co_u32 v2, vcc_lo, v160, v2
	s_wait_alu 0xfffd
	v_add_co_ci_u32_e64 v3, null, 0, v161, vcc_lo
	s_delay_alu instid0(VALU_DEP_1)
	v_cmpx_gt_i64_e64 s[4:5], v[2:3]
	s_cbranch_execz .LBB143_216
; %bb.215:                              ;   in Loop: Header=BB143_145 Depth=1
	v_lshlrev_b64_e32 v[2:3], 2, v[2:3]
	s_delay_alu instid0(VALU_DEP_1) | instskip(SKIP_1) | instid1(VALU_DEP_2)
	v_add_co_u32 v2, vcc_lo, s12, v2
	s_wait_alu 0xfffd
	v_add_co_ci_u32_e64 v3, null, s13, v3, vcc_lo
	global_load_b32 v4, v[2:3], off
.LBB143_216:                            ;   in Loop: Header=BB143_145 Depth=1
	s_wait_alu 0xfffe
	s_or_b32 exec_lo, exec_lo, s8
	v_add_co_u32 v2, vcc_lo, v164, v158
	s_wait_alu 0xfffd
	v_add_co_ci_u32_e64 v3, null, v165, v159, vcc_lo
	global_load_b32 v5, v[2:3], off
	v_add_co_u32 v2, vcc_lo, v166, v158
	s_wait_alu 0xfffd
	v_add_co_ci_u32_e64 v3, null, v167, v159, vcc_lo
	global_load_b32 v2, v[2:3], off
	s_wait_loadcnt 0x2
	ds_bpermute_b32 v3, v1, v4
	s_wait_loadcnt 0x0
	v_mul_f32_e32 v2, v5, v2
	s_wait_dscnt 0x0
	s_delay_alu instid0(VALU_DEP_1)
	v_fmac_f32_e32 v204, v2, v3
	v_add_co_u32 v2, vcc_lo, v34, v158
	s_wait_alu 0xfffd
	v_add_co_ci_u32_e64 v3, null, v35, v159, vcc_lo
	global_load_b32 v5, v[2:3], off
	v_add_co_u32 v2, vcc_lo, v42, v158
	s_wait_alu 0xfffd
	v_add_co_ci_u32_e64 v3, null, v43, v159, vcc_lo
	global_load_b32 v2, v[2:3], off
	ds_bpermute_b32 v3, v1, v4 offset:4
	s_wait_loadcnt 0x0
	v_mul_f32_e32 v2, v5, v2
	s_wait_dscnt 0x0
	s_delay_alu instid0(VALU_DEP_1)
	v_fmac_f32_e32 v204, v2, v3
	v_add_co_u32 v2, vcc_lo, v36, v158
	s_wait_alu 0xfffd
	v_add_co_ci_u32_e64 v3, null, v37, v159, vcc_lo
	global_load_b32 v5, v[2:3], off
	v_add_co_u32 v2, vcc_lo, v46, v158
	s_wait_alu 0xfffd
	v_add_co_ci_u32_e64 v3, null, v47, v159, vcc_lo
	global_load_b32 v2, v[2:3], off
	ds_bpermute_b32 v3, v1, v4 offset:8
	;; [unrolled: 14-line block ×31, first 2 shown]
	s_wait_loadcnt 0x0
	v_mul_f32_e32 v2, v5, v2
	s_wait_dscnt 0x0
	s_delay_alu instid0(VALU_DEP_1) | instskip(NEXT) | instid1(VALU_DEP_1)
	v_fmac_f32_e32 v204, v2, v3
	v_mov_b32_e32 v202, v204
.LBB143_217:                            ;   in Loop: Header=BB143_145 Depth=1
	scratch_load_b32 v2, off, off           ; 4-byte Folded Reload
	v_add_co_u32 v164, vcc_lo, v164, s18
	s_wait_alu 0xfffd
	v_add_co_ci_u32_e64 v165, null, s19, v165, vcc_lo
	v_add_co_u32 v166, vcc_lo, v166, s18
	s_wait_alu 0xfffd
	v_add_co_ci_u32_e64 v167, null, s19, v167, vcc_lo
	v_add_co_u32 v34, vcc_lo, v34, s18
	s_wait_alu 0xfffd
	v_add_co_ci_u32_e64 v35, null, s19, v35, vcc_lo
	v_add_co_u32 v36, vcc_lo, v36, s18
	s_wait_alu 0xfffd
	v_add_co_ci_u32_e64 v37, null, s19, v37, vcc_lo
	v_add_co_u32 v38, vcc_lo, v38, s18
	s_wait_alu 0xfffd
	v_add_co_ci_u32_e64 v39, null, s19, v39, vcc_lo
	v_add_co_u32 v40, vcc_lo, v40, s18
	s_wait_alu 0xfffd
	v_add_co_ci_u32_e64 v41, null, s19, v41, vcc_lo
	v_add_co_u32 v44, vcc_lo, v44, s18
	s_wait_alu 0xfffd
	v_add_co_ci_u32_e64 v45, null, s19, v45, vcc_lo
	v_add_co_u32 v52, vcc_lo, v52, s18
	s_wait_alu 0xfffd
	v_add_co_ci_u32_e64 v53, null, s19, v53, vcc_lo
	v_add_co_u32 v58, vcc_lo, v58, s18
	s_wait_alu 0xfffd
	v_add_co_ci_u32_e64 v59, null, s19, v59, vcc_lo
	v_add_co_u32 v62, vcc_lo, v62, s18
	s_wait_alu 0xfffd
	v_add_co_ci_u32_e64 v63, null, s19, v63, vcc_lo
	v_add_co_u32 v66, vcc_lo, v66, s18
	s_wait_alu 0xfffd
	v_add_co_ci_u32_e64 v67, null, s19, v67, vcc_lo
	v_add_co_u32 v70, vcc_lo, v70, s18
	s_wait_alu 0xfffd
	v_add_co_ci_u32_e64 v71, null, s19, v71, vcc_lo
	v_add_co_u32 v74, vcc_lo, v74, s18
	s_wait_alu 0xfffd
	v_add_co_ci_u32_e64 v75, null, s19, v75, vcc_lo
	v_add_co_u32 v78, vcc_lo, v78, s18
	s_wait_alu 0xfffd
	v_add_co_ci_u32_e64 v79, null, s19, v79, vcc_lo
	v_add_co_u32 v82, vcc_lo, v82, s18
	s_wait_alu 0xfffd
	v_add_co_ci_u32_e64 v83, null, s19, v83, vcc_lo
	v_add_co_u32 v86, vcc_lo, v86, s18
	s_wait_alu 0xfffd
	v_add_co_ci_u32_e64 v87, null, s19, v87, vcc_lo
	v_add_co_u32 v90, vcc_lo, v90, s18
	s_wait_alu 0xfffd
	v_add_co_ci_u32_e64 v91, null, s19, v91, vcc_lo
	v_add_co_u32 v94, vcc_lo, v94, s18
	s_wait_alu 0xfffd
	v_add_co_ci_u32_e64 v95, null, s19, v95, vcc_lo
	v_add_co_u32 v98, vcc_lo, v98, s18
	s_wait_alu 0xfffd
	v_add_co_ci_u32_e64 v99, null, s19, v99, vcc_lo
	v_add_co_u32 v102, vcc_lo, v102, s18
	s_wait_alu 0xfffd
	v_add_co_ci_u32_e64 v103, null, s19, v103, vcc_lo
	v_add_co_u32 v106, vcc_lo, v106, s18
	s_wait_alu 0xfffd
	v_add_co_ci_u32_e64 v107, null, s19, v107, vcc_lo
	v_add_co_u32 v110, vcc_lo, v110, s18
	s_wait_alu 0xfffd
	v_add_co_ci_u32_e64 v111, null, s19, v111, vcc_lo
	v_add_co_u32 v114, vcc_lo, v114, s18
	s_wait_alu 0xfffd
	v_add_co_ci_u32_e64 v115, null, s19, v115, vcc_lo
	v_add_co_u32 v118, vcc_lo, v118, s18
	s_wait_alu 0xfffd
	v_add_co_ci_u32_e64 v119, null, s19, v119, vcc_lo
	v_add_co_u32 v122, vcc_lo, v122, s18
	s_wait_alu 0xfffd
	v_add_co_ci_u32_e64 v123, null, s19, v123, vcc_lo
	v_add_co_u32 v126, vcc_lo, v126, s18
	s_wait_alu 0xfffd
	v_add_co_ci_u32_e64 v127, null, s19, v127, vcc_lo
	v_add_co_u32 v130, vcc_lo, v130, s18
	s_wait_alu 0xfffd
	v_add_co_ci_u32_e64 v131, null, s19, v131, vcc_lo
	v_add_co_u32 v134, vcc_lo, v134, s18
	s_wait_alu 0xfffd
	v_add_co_ci_u32_e64 v135, null, s19, v135, vcc_lo
	v_add_co_u32 v138, vcc_lo, v138, s18
	s_wait_alu 0xfffd
	v_add_co_ci_u32_e64 v139, null, s19, v139, vcc_lo
	v_add_co_u32 v142, vcc_lo, v142, s18
	s_wait_alu 0xfffd
	v_add_co_ci_u32_e64 v143, null, s19, v143, vcc_lo
	v_add_co_u32 v146, vcc_lo, v146, s18
	s_wait_alu 0xfffd
	v_add_co_ci_u32_e64 v147, null, s19, v147, vcc_lo
	v_add_co_u32 v150, vcc_lo, v150, s18
	s_wait_alu 0xfffd
	v_add_co_ci_u32_e64 v151, null, s19, v151, vcc_lo
	v_add_co_u32 v154, vcc_lo, v154, s18
	s_wait_alu 0xfffd
	v_add_co_ci_u32_e64 v155, null, s19, v155, vcc_lo
	v_add_co_u32 v42, vcc_lo, v42, s18
	s_wait_alu 0xfffd
	v_add_co_ci_u32_e64 v43, null, s19, v43, vcc_lo
	v_add_co_u32 v46, vcc_lo, v46, s18
	s_wait_alu 0xfffd
	v_add_co_ci_u32_e64 v47, null, s19, v47, vcc_lo
	v_add_co_u32 v48, vcc_lo, v48, s18
	s_wait_alu 0xfffd
	v_add_co_ci_u32_e64 v49, null, s19, v49, vcc_lo
	v_add_co_u32 v50, vcc_lo, v50, s18
	s_wait_alu 0xfffd
	v_add_co_ci_u32_e64 v51, null, s19, v51, vcc_lo
	v_add_co_u32 v54, vcc_lo, v54, s18
	s_wait_alu 0xfffd
	v_add_co_ci_u32_e64 v55, null, s19, v55, vcc_lo
	v_add_co_u32 v56, vcc_lo, v56, s18
	s_wait_alu 0xfffd
	v_add_co_ci_u32_e64 v57, null, s19, v57, vcc_lo
	v_add_co_u32 v60, vcc_lo, v60, s18
	s_wait_alu 0xfffd
	v_add_co_ci_u32_e64 v61, null, s19, v61, vcc_lo
	v_add_co_u32 v64, vcc_lo, v64, s18
	s_wait_alu 0xfffd
	v_add_co_ci_u32_e64 v65, null, s19, v65, vcc_lo
	v_add_co_u32 v68, vcc_lo, v68, s18
	s_wait_alu 0xfffd
	v_add_co_ci_u32_e64 v69, null, s19, v69, vcc_lo
	v_add_co_u32 v72, vcc_lo, v72, s18
	s_wait_alu 0xfffd
	v_add_co_ci_u32_e64 v73, null, s19, v73, vcc_lo
	v_add_co_u32 v76, vcc_lo, v76, s18
	s_wait_alu 0xfffd
	v_add_co_ci_u32_e64 v77, null, s19, v77, vcc_lo
	v_add_co_u32 v80, vcc_lo, v80, s18
	s_wait_alu 0xfffd
	v_add_co_ci_u32_e64 v81, null, s19, v81, vcc_lo
	v_add_co_u32 v84, vcc_lo, v84, s18
	s_wait_alu 0xfffd
	v_add_co_ci_u32_e64 v85, null, s19, v85, vcc_lo
	v_add_co_u32 v88, vcc_lo, v88, s18
	s_wait_alu 0xfffd
	v_add_co_ci_u32_e64 v89, null, s19, v89, vcc_lo
	v_add_co_u32 v92, vcc_lo, v92, s18
	s_wait_alu 0xfffd
	v_add_co_ci_u32_e64 v93, null, s19, v93, vcc_lo
	v_add_co_u32 v96, vcc_lo, v96, s18
	s_wait_alu 0xfffd
	v_add_co_ci_u32_e64 v97, null, s19, v97, vcc_lo
	v_add_co_u32 v100, vcc_lo, v100, s18
	s_wait_alu 0xfffd
	v_add_co_ci_u32_e64 v101, null, s19, v101, vcc_lo
	v_add_co_u32 v104, vcc_lo, v104, s18
	s_wait_alu 0xfffd
	v_add_co_ci_u32_e64 v105, null, s19, v105, vcc_lo
	v_add_co_u32 v108, vcc_lo, v108, s18
	s_wait_alu 0xfffd
	v_add_co_ci_u32_e64 v109, null, s19, v109, vcc_lo
	v_add_co_u32 v112, vcc_lo, v112, s18
	s_wait_alu 0xfffd
	v_add_co_ci_u32_e64 v113, null, s19, v113, vcc_lo
	v_add_co_u32 v116, vcc_lo, v116, s18
	s_wait_alu 0xfffd
	v_add_co_ci_u32_e64 v117, null, s19, v117, vcc_lo
	v_add_co_u32 v120, vcc_lo, v120, s18
	s_wait_alu 0xfffd
	v_add_co_ci_u32_e64 v121, null, s19, v121, vcc_lo
	v_add_co_u32 v124, vcc_lo, v124, s18
	s_wait_alu 0xfffd
	v_add_co_ci_u32_e64 v125, null, s19, v125, vcc_lo
	v_add_co_u32 v128, vcc_lo, v128, s18
	s_wait_alu 0xfffd
	v_add_co_ci_u32_e64 v129, null, s19, v129, vcc_lo
	v_add_co_u32 v132, vcc_lo, v132, s18
	s_wait_alu 0xfffd
	v_add_co_ci_u32_e64 v133, null, s19, v133, vcc_lo
	v_add_co_u32 v136, vcc_lo, v136, s18
	s_wait_alu 0xfffd
	v_add_co_ci_u32_e64 v137, null, s19, v137, vcc_lo
	v_add_co_u32 v140, vcc_lo, v140, s18
	s_wait_alu 0xfffd
	v_add_co_ci_u32_e64 v141, null, s19, v141, vcc_lo
	v_add_co_u32 v144, vcc_lo, v144, s18
	s_wait_alu 0xfffd
	v_add_co_ci_u32_e64 v145, null, s19, v145, vcc_lo
	v_add_co_u32 v148, vcc_lo, v148, s18
	s_wait_alu 0xfffd
	v_add_co_ci_u32_e64 v149, null, s19, v149, vcc_lo
	v_add_co_u32 v152, vcc_lo, v152, s18
	s_wait_alu 0xfffd
	v_add_co_ci_u32_e64 v153, null, s19, v153, vcc_lo
	v_add_co_u32 v156, vcc_lo, v156, s18
	s_wait_alu 0xfffd
	v_add_co_ci_u32_e64 v157, null, s19, v157, vcc_lo
	v_add_co_u32 v220, vcc_lo, v220, s10
	s_wait_alu 0xfffd
	v_add_co_ci_u32_e64 v201, null, 0, v201, vcc_lo
	v_add_co_u32 v222, vcc_lo, v222, s18
	s_wait_alu 0xfffd
	v_add_co_ci_u32_e64 v223, null, s19, v223, vcc_lo
	v_add_co_u32 v224, vcc_lo, v224, s18
	s_wait_alu 0xfffd
	v_add_co_ci_u32_e64 v225, null, s19, v225, vcc_lo
	v_add_co_u32 v227, vcc_lo, v227, s18
	s_add_nc_u64 s[22:23], s[22:23], s[10:11]
	s_add_nc_u64 s[20:21], s[20:21], s[10:11]
	s_wait_alu 0xfffe
	v_cmp_ge_i64_e64 s8, s[22:23], s[4:5]
	s_wait_loadcnt 0x0
	s_wait_alu 0xfffd
	v_add_co_ci_u32_e64 v2, null, s19, v2, vcc_lo
	scratch_store_b32 off, v2, off          ; 4-byte Folded Spill
	scratch_load_b32 v2, off, off offset:4  ; 4-byte Folded Reload
	s_wait_loadcnt 0x0
	v_add_co_u32 v2, vcc_lo, v2, s18
	scratch_store_b32 off, v2, off offset:4 ; 4-byte Folded Spill
	scratch_load_b32 v2, off, off offset:8  ; 4-byte Folded Reload
	s_wait_loadcnt 0x0
	s_wait_alu 0xfffd
	v_add_co_ci_u32_e64 v2, null, s19, v2, vcc_lo
	scratch_store_b32 off, v2, off offset:8 ; 4-byte Folded Spill
	scratch_load_b32 v2, off, off offset:12 ; 4-byte Folded Reload
	s_wait_loadcnt 0x0
	v_add_co_u32 v2, vcc_lo, v2, s18
	scratch_store_b32 off, v2, off offset:12 ; 4-byte Folded Spill
	scratch_load_b32 v2, off, off offset:16 ; 4-byte Folded Reload
	s_wait_loadcnt 0x0
	s_wait_alu 0xfffd
	v_add_co_ci_u32_e64 v2, null, s19, v2, vcc_lo
	scratch_store_b32 off, v2, off offset:16 ; 4-byte Folded Spill
	scratch_load_b32 v2, off, off offset:20 ; 4-byte Folded Reload
	s_wait_loadcnt 0x0
	v_add_co_u32 v2, vcc_lo, v2, s18
	scratch_store_b32 off, v2, off offset:20 ; 4-byte Folded Spill
	scratch_load_b32 v2, off, off offset:24 ; 4-byte Folded Reload
	;; [unrolled: 9-line block ×26, first 2 shown]
	s_wait_loadcnt 0x0
	s_wait_alu 0xfffd
	v_add_co_ci_u32_e64 v2, null, s19, v2, vcc_lo
	v_add_co_u32 v228, vcc_lo, v228, s18
	s_wait_alu 0xfffd
	v_add_co_ci_u32_e64 v229, null, s19, v229, vcc_lo
	v_add_co_u32 v230, vcc_lo, v230, s18
	s_wait_alu 0xfffd
	v_add_co_ci_u32_e64 v231, null, s19, v231, vcc_lo
	v_add_co_u32 v232, vcc_lo, v232, s18
	s_wait_alu 0xfffd
	v_add_co_ci_u32_e64 v233, null, s19, v233, vcc_lo
	v_add_co_u32 v234, vcc_lo, v234, s18
	s_wait_alu 0xfffd
	v_add_co_ci_u32_e64 v235, null, s19, v235, vcc_lo
	v_add_co_u32 v236, vcc_lo, v236, s18
	s_wait_alu 0xfffd
	v_add_co_ci_u32_e64 v237, null, s19, v237, vcc_lo
	v_add_co_u32 v238, vcc_lo, v238, s18
	s_wait_alu 0xfffd
	v_add_co_ci_u32_e64 v239, null, s19, v239, vcc_lo
	v_add_co_u32 v240, vcc_lo, v240, s18
	s_wait_alu 0xfffd
	v_add_co_ci_u32_e64 v241, null, s19, v241, vcc_lo
	v_add_co_u32 v242, vcc_lo, v242, s18
	s_wait_alu 0xfffd
	v_add_co_ci_u32_e64 v243, null, s19, v243, vcc_lo
	v_add_co_u32 v244, vcc_lo, v244, s18
	s_wait_alu 0xfffd
	v_add_co_ci_u32_e64 v245, null, s19, v245, vcc_lo
	v_add_co_u32 v246, vcc_lo, v246, s18
	s_wait_alu 0xfffd
	v_add_co_ci_u32_e64 v247, null, s19, v247, vcc_lo
	v_add_co_u32 v248, vcc_lo, v248, s18
	s_wait_alu 0xfffd
	v_add_co_ci_u32_e64 v249, null, s19, v249, vcc_lo
	v_add_co_u32 v250, vcc_lo, v250, s18
	s_wait_alu 0xfffd
	v_add_co_ci_u32_e64 v251, null, s19, v251, vcc_lo
	v_add_co_u32 v252, vcc_lo, v252, s18
	s_wait_alu 0xfffd
	v_add_co_ci_u32_e64 v253, null, s19, v253, vcc_lo
	v_add_co_u32 v254, vcc_lo, v254, s18
	s_wait_alu 0xfffd
	v_add_co_ci_u32_e64 v255, null, s19, v255, vcc_lo
	v_add_co_u32 v162, vcc_lo, v162, s18
	s_wait_alu 0xfffd
	v_add_co_ci_u32_e64 v0, null, s19, v0, vcc_lo
	v_add_co_u32 v163, vcc_lo, v163, s18
	s_wait_alu 0xfffd
	v_add_co_ci_u32_e64 v168, null, s19, v168, vcc_lo
	v_add_co_u32 v169, vcc_lo, v169, s18
	s_wait_alu 0xfffd
	v_add_co_ci_u32_e64 v170, null, s19, v170, vcc_lo
	v_add_co_u32 v171, vcc_lo, v171, s18
	s_wait_alu 0xfffd
	v_add_co_ci_u32_e64 v172, null, s19, v172, vcc_lo
	v_add_co_u32 v173, vcc_lo, v173, s18
	s_wait_alu 0xfffd
	v_add_co_ci_u32_e64 v174, null, s19, v174, vcc_lo
	v_add_co_u32 v175, vcc_lo, v175, s18
	s_wait_alu 0xfffd
	v_add_co_ci_u32_e64 v176, null, s19, v176, vcc_lo
	v_add_co_u32 v177, vcc_lo, v177, s18
	s_wait_alu 0xfffd
	v_add_co_ci_u32_e64 v178, null, s19, v178, vcc_lo
	v_add_co_u32 v179, vcc_lo, v179, s18
	s_wait_alu 0xfffd
	v_add_co_ci_u32_e64 v180, null, s19, v180, vcc_lo
	v_add_co_u32 v181, vcc_lo, v181, s18
	s_wait_alu 0xfffd
	v_add_co_ci_u32_e64 v182, null, s19, v182, vcc_lo
	v_add_co_u32 v183, vcc_lo, v183, s18
	s_wait_alu 0xfffd
	v_add_co_ci_u32_e64 v184, null, s19, v184, vcc_lo
	v_add_co_u32 v185, vcc_lo, v185, s18
	s_wait_alu 0xfffd
	v_add_co_ci_u32_e64 v186, null, s19, v186, vcc_lo
	v_add_co_u32 v187, vcc_lo, v187, s18
	s_wait_alu 0xfffd
	v_add_co_ci_u32_e64 v188, null, s19, v188, vcc_lo
	v_add_co_u32 v189, vcc_lo, v189, s18
	s_wait_alu 0xfffd
	v_add_co_ci_u32_e64 v190, null, s19, v190, vcc_lo
	v_add_co_u32 v191, vcc_lo, v191, s18
	s_wait_alu 0xfffd
	v_add_co_ci_u32_e64 v192, null, s19, v192, vcc_lo
	v_add_co_u32 v193, vcc_lo, v193, s18
	s_wait_alu 0xfffd
	v_add_co_ci_u32_e64 v194, null, s19, v194, vcc_lo
	v_add_co_u32 v195, vcc_lo, v195, s18
	s_wait_alu 0xfffd
	v_add_co_ci_u32_e64 v196, null, s19, v196, vcc_lo
	v_add_co_u32 v197, vcc_lo, v197, s18
	s_wait_alu 0xfffd
	v_add_co_ci_u32_e64 v198, null, s19, v198, vcc_lo
	v_add_co_u32 v199, vcc_lo, v199, s18
	s_wait_alu 0xfffd
	v_add_co_ci_u32_e64 v200, null, s19, v200, vcc_lo
	s_and_b32 vcc_lo, exec_lo, s8
	scratch_store_b32 off, v2, off offset:216 ; 4-byte Folded Spill
	s_wait_alu 0xfffe
	s_cbranch_vccnz .LBB143_219
; %bb.218:                              ;   in Loop: Header=BB143_145 Depth=1
	v_mov_b32_e32 v204, v202
	s_branch .LBB143_145
.LBB143_219:
	scratch_load_b32 v208, off, off offset:296 ; 4-byte Folded Reload
.LBB143_220:
	s_mov_b32 s4, ttmp9
	s_mov_b32 s5, 0
	s_wait_alu 0xfffe
	s_lshl_b64 s[4:5], s[4:5], 6
	s_wait_kmcnt 0x0
	s_cmp_lg_u64 s[2:3], 0
	s_wait_loadcnt 0x0
	s_wait_alu 0xfffe
	v_and_or_b32 v1, 0x3ff, v208, s4
	v_mov_b32_e32 v2, s5
	s_cselect_b32 s4, -1, 0
	s_delay_alu instid0(VALU_DEP_1)
	v_cmp_gt_i64_e32 vcc_lo, s[6:7], v[1:2]
	s_wait_alu 0xfffe
	s_and_b32 s4, vcc_lo, s4
	s_wait_alu 0xfffe
	s_and_saveexec_b32 s5, s4
	s_cbranch_execz .LBB143_222
; %bb.221:
	s_load_u16 s0, s[0:1], 0x4e
	v_bfe_u32 v3, v208, 10, 10
	v_mov_b32_e32 v4, 0
	s_wait_kmcnt 0x0
	s_delay_alu instid0(VALU_DEP_1) | instskip(NEXT) | instid1(VALU_DEP_1)
	v_mad_co_u64_u32 v[3:4], null, s0, ttmp7, v[3:4]
	v_mul_lo_u32 v0, v4, s6
	s_delay_alu instid0(VALU_DEP_2) | instskip(SKIP_1) | instid1(VALU_DEP_1)
	v_mul_lo_u32 v5, v3, s7
	v_mad_co_u64_u32 v[3:4], null, v3, s6, 0
	v_add3_u32 v4, v4, v5, v0
	v_lshlrev_b64_e32 v[0:1], 2, v[1:2]
	s_delay_alu instid0(VALU_DEP_2) | instskip(NEXT) | instid1(VALU_DEP_1)
	v_lshlrev_b64_e32 v[3:4], 2, v[3:4]
	v_add_co_u32 v2, vcc_lo, s2, v3
	s_wait_alu 0xfffd
	s_delay_alu instid0(VALU_DEP_2) | instskip(NEXT) | instid1(VALU_DEP_2)
	v_add_co_ci_u32_e64 v3, null, s3, v4, vcc_lo
	v_add_co_u32 v0, vcc_lo, v2, v0
	s_wait_alu 0xfffd
	s_delay_alu instid0(VALU_DEP_2)
	v_add_co_ci_u32_e64 v1, null, v3, v1, vcc_lo
	global_store_b32 v[0:1], v202, off
.LBB143_222:
	s_nop 0
	s_sendmsg sendmsg(MSG_DEALLOC_VGPRS)
	s_endpgm
	.section	.rodata,"a",@progbits
	.p2align	6, 0x0
	.amdhsa_kernel _ZN2at6native12_GLOBAL__N_135GammaBetaBackwardCUDAKernelTemplateIffLj64ELj1ELj32ELb1ELb0ELb1EEEvllPKT_S5_PKT0_S8_PS3_S9_
		.amdhsa_group_segment_fixed_size 0
		.amdhsa_private_segment_fixed_size 304
		.amdhsa_kernarg_size 320
		.amdhsa_user_sgpr_count 2
		.amdhsa_user_sgpr_dispatch_ptr 0
		.amdhsa_user_sgpr_queue_ptr 0
		.amdhsa_user_sgpr_kernarg_segment_ptr 1
		.amdhsa_user_sgpr_dispatch_id 0
		.amdhsa_user_sgpr_private_segment_size 0
		.amdhsa_wavefront_size32 1
		.amdhsa_uses_dynamic_stack 0
		.amdhsa_enable_private_segment 1
		.amdhsa_system_sgpr_workgroup_id_x 1
		.amdhsa_system_sgpr_workgroup_id_y 1
		.amdhsa_system_sgpr_workgroup_id_z 0
		.amdhsa_system_sgpr_workgroup_info 0
		.amdhsa_system_vgpr_workitem_id 1
		.amdhsa_next_free_vgpr 256
		.amdhsa_next_free_sgpr 32
		.amdhsa_reserve_vcc 1
		.amdhsa_float_round_mode_32 0
		.amdhsa_float_round_mode_16_64 0
		.amdhsa_float_denorm_mode_32 3
		.amdhsa_float_denorm_mode_16_64 3
		.amdhsa_fp16_overflow 0
		.amdhsa_workgroup_processor_mode 1
		.amdhsa_memory_ordered 1
		.amdhsa_forward_progress 1
		.amdhsa_inst_pref_size 255
		.amdhsa_round_robin_scheduling 0
		.amdhsa_exception_fp_ieee_invalid_op 0
		.amdhsa_exception_fp_denorm_src 0
		.amdhsa_exception_fp_ieee_div_zero 0
		.amdhsa_exception_fp_ieee_overflow 0
		.amdhsa_exception_fp_ieee_underflow 0
		.amdhsa_exception_fp_ieee_inexact 0
		.amdhsa_exception_int_div_zero 0
	.end_amdhsa_kernel
	.section	.text._ZN2at6native12_GLOBAL__N_135GammaBetaBackwardCUDAKernelTemplateIffLj64ELj1ELj32ELb1ELb0ELb1EEEvllPKT_S5_PKT0_S8_PS3_S9_,"axG",@progbits,_ZN2at6native12_GLOBAL__N_135GammaBetaBackwardCUDAKernelTemplateIffLj64ELj1ELj32ELb1ELb0ELb1EEEvllPKT_S5_PKT0_S8_PS3_S9_,comdat
.Lfunc_end143:
	.size	_ZN2at6native12_GLOBAL__N_135GammaBetaBackwardCUDAKernelTemplateIffLj64ELj1ELj32ELb1ELb0ELb1EEEvllPKT_S5_PKT0_S8_PS3_S9_, .Lfunc_end143-_ZN2at6native12_GLOBAL__N_135GammaBetaBackwardCUDAKernelTemplateIffLj64ELj1ELj32ELb1ELb0ELb1EEEvllPKT_S5_PKT0_S8_PS3_S9_
                                        ; -- End function
	.set _ZN2at6native12_GLOBAL__N_135GammaBetaBackwardCUDAKernelTemplateIffLj64ELj1ELj32ELb1ELb0ELb1EEEvllPKT_S5_PKT0_S8_PS3_S9_.num_vgpr, 256
	.set _ZN2at6native12_GLOBAL__N_135GammaBetaBackwardCUDAKernelTemplateIffLj64ELj1ELj32ELb1ELb0ELb1EEEvllPKT_S5_PKT0_S8_PS3_S9_.num_agpr, 0
	.set _ZN2at6native12_GLOBAL__N_135GammaBetaBackwardCUDAKernelTemplateIffLj64ELj1ELj32ELb1ELb0ELb1EEEvllPKT_S5_PKT0_S8_PS3_S9_.numbered_sgpr, 32
	.set _ZN2at6native12_GLOBAL__N_135GammaBetaBackwardCUDAKernelTemplateIffLj64ELj1ELj32ELb1ELb0ELb1EEEvllPKT_S5_PKT0_S8_PS3_S9_.num_named_barrier, 0
	.set _ZN2at6native12_GLOBAL__N_135GammaBetaBackwardCUDAKernelTemplateIffLj64ELj1ELj32ELb1ELb0ELb1EEEvllPKT_S5_PKT0_S8_PS3_S9_.private_seg_size, 304
	.set _ZN2at6native12_GLOBAL__N_135GammaBetaBackwardCUDAKernelTemplateIffLj64ELj1ELj32ELb1ELb0ELb1EEEvllPKT_S5_PKT0_S8_PS3_S9_.uses_vcc, 1
	.set _ZN2at6native12_GLOBAL__N_135GammaBetaBackwardCUDAKernelTemplateIffLj64ELj1ELj32ELb1ELb0ELb1EEEvllPKT_S5_PKT0_S8_PS3_S9_.uses_flat_scratch, 1
	.set _ZN2at6native12_GLOBAL__N_135GammaBetaBackwardCUDAKernelTemplateIffLj64ELj1ELj32ELb1ELb0ELb1EEEvllPKT_S5_PKT0_S8_PS3_S9_.has_dyn_sized_stack, 0
	.set _ZN2at6native12_GLOBAL__N_135GammaBetaBackwardCUDAKernelTemplateIffLj64ELj1ELj32ELb1ELb0ELb1EEEvllPKT_S5_PKT0_S8_PS3_S9_.has_recursion, 0
	.set _ZN2at6native12_GLOBAL__N_135GammaBetaBackwardCUDAKernelTemplateIffLj64ELj1ELj32ELb1ELb0ELb1EEEvllPKT_S5_PKT0_S8_PS3_S9_.has_indirect_call, 0
	.section	.AMDGPU.csdata,"",@progbits
; Kernel info:
; codeLenInByte = 34220
; TotalNumSgprs: 34
; NumVgprs: 256
; ScratchSize: 304
; MemoryBound: 0
; FloatMode: 240
; IeeeMode: 1
; LDSByteSize: 0 bytes/workgroup (compile time only)
; SGPRBlocks: 0
; VGPRBlocks: 31
; NumSGPRsForWavesPerEU: 34
; NumVGPRsForWavesPerEU: 256
; Occupancy: 5
; WaveLimiterHint : 0
; COMPUTE_PGM_RSRC2:SCRATCH_EN: 1
; COMPUTE_PGM_RSRC2:USER_SGPR: 2
; COMPUTE_PGM_RSRC2:TRAP_HANDLER: 0
; COMPUTE_PGM_RSRC2:TGID_X_EN: 1
; COMPUTE_PGM_RSRC2:TGID_Y_EN: 1
; COMPUTE_PGM_RSRC2:TGID_Z_EN: 0
; COMPUTE_PGM_RSRC2:TIDIG_COMP_CNT: 1
	.section	.text._ZN2at6native12_GLOBAL__N_135GammaBetaBackwardCUDAKernelTemplateIffLj64ELj1ELj8ELb1ELb1ELb1EEEvllPKT_S5_PKT0_S8_PS3_S9_,"axG",@progbits,_ZN2at6native12_GLOBAL__N_135GammaBetaBackwardCUDAKernelTemplateIffLj64ELj1ELj8ELb1ELb1ELb1EEEvllPKT_S5_PKT0_S8_PS3_S9_,comdat
	.globl	_ZN2at6native12_GLOBAL__N_135GammaBetaBackwardCUDAKernelTemplateIffLj64ELj1ELj8ELb1ELb1ELb1EEEvllPKT_S5_PKT0_S8_PS3_S9_ ; -- Begin function _ZN2at6native12_GLOBAL__N_135GammaBetaBackwardCUDAKernelTemplateIffLj64ELj1ELj8ELb1ELb1ELb1EEEvllPKT_S5_PKT0_S8_PS3_S9_
	.p2align	8
	.type	_ZN2at6native12_GLOBAL__N_135GammaBetaBackwardCUDAKernelTemplateIffLj64ELj1ELj8ELb1ELb1ELb1EEEvllPKT_S5_PKT0_S8_PS3_S9_,@function
_ZN2at6native12_GLOBAL__N_135GammaBetaBackwardCUDAKernelTemplateIffLj64ELj1ELj8ELb1ELb1ELb1EEEvllPKT_S5_PKT0_S8_PS3_S9_: ; @_ZN2at6native12_GLOBAL__N_135GammaBetaBackwardCUDAKernelTemplateIffLj64ELj1ELj8ELb1ELb1ELb1EEEvllPKT_S5_PKT0_S8_PS3_S9_
; %bb.0:
	s_clause 0x1
	s_load_b128 s[4:7], s[0:1], 0x0
	s_load_b64 s[12:13], s[0:1], 0x30
	s_lshl_b32 s14, ttmp7, 3
	s_mov_b32 s15, 0
	v_mov_b32_e32 v8, 0
	v_bfe_u32 v1, v0, 10, 10
	v_and_b32_e32 v0, 0x3ff, v0
	s_wait_kmcnt 0x0
	v_cmp_le_i64_e64 s2, s[4:5], s[14:15]
	s_and_b32 vcc_lo, exec_lo, s2
	s_cbranch_vccnz .LBB144_7
; %bb.1:
	s_load_b32 s2, s[0:1], 0x4c
	v_dual_mov_b32 v9, 8 :: v_dual_lshlrev_b32 v2, 3, v1
	s_clause 0x2
	s_load_b32 s3, s[0:1], 0x44
	s_load_b128 s[8:11], s[0:1], 0x10
	s_load_b64 s[18:19], s[0:1], 0x28
	v_dual_mov_b32 v3, 0 :: v_dual_mov_b32 v10, 4
	v_add_co_u32 v4, s16, v2, s14
	s_delay_alu instid0(VALU_DEP_1) | instskip(SKIP_1) | instid1(VALU_DEP_3)
	v_add_co_ci_u32_e64 v5, null, 0, 0, s16
	v_lshl_or_b32 v2, ttmp9, 6, v0
	v_mul_lo_u32 v8, s7, v4
	v_mad_co_u64_u32 v[6:7], null, s6, v4, 0
	s_delay_alu instid0(VALU_DEP_4) | instskip(NEXT) | instid1(VALU_DEP_4)
	v_mul_lo_u32 v17, s6, v5
	v_lshlrev_b64_e32 v[15:16], 2, v[2:3]
	s_mov_b32 s17, s15
	v_dual_mov_b32 v11, 12 :: v_dual_mov_b32 v12, 16
	v_mov_b32_e32 v13, 20
	s_wait_kmcnt 0x0
	s_and_b32 s2, s2, 0xffff
	s_lshl_b32 s16, s3, 3
	v_mad_u32_u24 v14, v1, s2, v0
	v_add3_u32 v7, v7, v17, v8
	v_mov_b32_e32 v8, 0
	s_wait_alu 0xfffe
	s_mul_u64 s[20:21], s[6:7], s[16:17]
	s_lshl_b64 s[22:23], s[6:7], 2
	v_dual_mov_b32 v2, 28 :: v_dual_and_b32 v19, 31, v14
	v_lshlrev_b64_e32 v[6:7], 2, v[6:7]
	v_mov_b32_e32 v14, 24
	s_lshl_b64 s[20:21], s[20:21], 2
	s_delay_alu instid0(VALU_DEP_3) | instskip(NEXT) | instid1(VALU_DEP_1)
	v_add_co_u32 v4, vcc_lo, v4, v19
	v_add_co_ci_u32_e64 v5, null, 0, v5, vcc_lo
	s_delay_alu instid0(VALU_DEP_4) | instskip(SKIP_2) | instid1(VALU_DEP_3)
	v_add_co_u32 v15, vcc_lo, v6, v15
	s_wait_alu 0xfffd
	v_add_co_ci_u32_e64 v16, null, v7, v16, vcc_lo
	v_lshlrev_b64_e32 v[17:18], 2, v[4:5]
	v_cmp_gt_u32_e64 s2, 8, v19
	s_delay_alu instid0(VALU_DEP_2) | instskip(SKIP_1) | instid1(VALU_DEP_3)
	v_add_co_u32 v6, vcc_lo, s18, v17
	s_wait_alu 0xfffd
	v_add_co_ci_u32_e64 v7, null, s19, v18, vcc_lo
	s_lshl_b64 s[18:19], s[16:17], 2
	s_branch .LBB144_4
.LBB144_2:                              ;   in Loop: Header=BB144_4 Depth=1
	s_or_b32 exec_lo, exec_lo, s24
.LBB144_3:                              ;   in Loop: Header=BB144_4 Depth=1
	s_wait_alu 0xfffe
	s_or_b32 exec_lo, exec_lo, s3
	v_add_co_u32 v18, vcc_lo, s8, v15
	s_wait_alu 0xfffd
	v_add_co_ci_u32_e64 v19, null, s9, v16, vcc_lo
	v_add_co_u32 v20, vcc_lo, s10, v15
	s_wait_alu 0xfffd
	v_add_co_ci_u32_e64 v21, null, s11, v16, vcc_lo
	;; [unrolled: 3-line block ×5, first 2 shown]
	global_load_b32 v28, v[18:19], off
	global_load_b32 v29, v[20:21], off
	global_load_b32 v30, v[22:23], off
	global_load_b32 v31, v[24:25], off
	global_load_b32 v32, v[26:27], off
	v_add_co_u32 v18, vcc_lo, v24, s22
	s_wait_alu 0xfffd
	v_add_co_ci_u32_e64 v19, null, s23, v25, vcc_lo
	v_add_co_u32 v20, vcc_lo, v26, s22
	s_wait_alu 0xfffd
	v_add_co_ci_u32_e64 v21, null, s23, v27, vcc_lo
	;; [unrolled: 3-line block ×5, first 2 shown]
	global_load_b32 v33, v[18:19], off
	global_load_b32 v34, v[20:21], off
	;; [unrolled: 1-line block ×5, first 2 shown]
	v_add_co_u32 v18, vcc_lo, v24, s22
	s_wait_alu 0xfffd
	v_add_co_ci_u32_e64 v19, null, s23, v25, vcc_lo
	v_add_co_u32 v20, vcc_lo, v26, s22
	s_wait_alu 0xfffd
	v_add_co_ci_u32_e64 v21, null, s23, v27, vcc_lo
	;; [unrolled: 3-line block ×4, first 2 shown]
	global_load_b32 v26, v[18:19], off
	global_load_b32 v27, v[20:21], off
	;; [unrolled: 1-line block ×4, first 2 shown]
	v_add_co_u32 v18, vcc_lo, v22, s22
	s_wait_alu 0xfffd
	v_add_co_ci_u32_e64 v19, null, s23, v23, vcc_lo
	v_add_co_u32 v20, vcc_lo, v24, s22
	s_wait_alu 0xfffd
	v_add_co_ci_u32_e64 v21, null, s23, v25, vcc_lo
	global_load_b32 v18, v[18:19], off
	global_load_b32 v19, v[20:21], off
	s_wait_loadcnt 0x10
	ds_bpermute_b32 v20, v3, v17
	ds_bpermute_b32 v21, v10, v17
	;; [unrolled: 1-line block ×4, first 2 shown]
	v_add_co_u32 v6, vcc_lo, v6, s18
	s_add_nc_u64 s[14:15], s[14:15], s[16:17]
	s_wait_alu 0xfffd
	v_add_co_ci_u32_e64 v7, null, s19, v7, vcc_lo
	v_add_co_u32 v4, vcc_lo, v4, s16
	s_wait_alu 0xfffe
	v_cmp_lt_i64_e64 s3, s[14:15], s[4:5]
	s_wait_alu 0xfffd
	v_add_co_ci_u32_e64 v5, null, 0, v5, vcc_lo
	v_add_co_u32 v15, vcc_lo, v15, s20
	s_wait_alu 0xfffd
	v_add_co_ci_u32_e64 v16, null, s21, v16, vcc_lo
	s_and_b32 vcc_lo, exec_lo, s3
	s_wait_loadcnt 0xe
	v_mul_f32_e32 v23, v28, v29
	s_wait_dscnt 0x3
	s_delay_alu instid0(VALU_DEP_1)
	v_fmac_f32_e32 v8, v23, v20
	s_wait_loadcnt 0xc
	v_mul_f32_e32 v20, v30, v31
	ds_bpermute_b32 v23, v12, v17
	s_wait_dscnt 0x3
	v_fmac_f32_e32 v8, v20, v21
	ds_bpermute_b32 v21, v13, v17
	s_wait_loadcnt 0xa
	v_mul_f32_e32 v20, v32, v33
	s_wait_dscnt 0x3
	s_delay_alu instid0(VALU_DEP_1)
	v_fmac_f32_e32 v8, v20, v22
	s_wait_loadcnt 0x8
	v_mul_f32_e32 v20, v34, v35
	ds_bpermute_b32 v22, v14, v17
	ds_bpermute_b32 v17, v2, v17
	s_wait_dscnt 0x4
	v_fmac_f32_e32 v8, v20, v24
	s_wait_loadcnt 0x6
	v_mul_f32_e32 v20, v36, v37
	s_wait_dscnt 0x3
	s_delay_alu instid0(VALU_DEP_1) | instskip(SKIP_3) | instid1(VALU_DEP_1)
	v_fmac_f32_e32 v8, v20, v23
	s_wait_loadcnt 0x4
	v_mul_f32_e32 v20, v26, v27
	s_wait_dscnt 0x2
	v_fmac_f32_e32 v8, v20, v21
	s_wait_loadcnt 0x2
	v_mul_f32_e32 v20, v38, v39
	s_wait_dscnt 0x1
	s_delay_alu instid0(VALU_DEP_1) | instskip(SKIP_3) | instid1(VALU_DEP_1)
	v_fmac_f32_e32 v8, v20, v22
	s_wait_loadcnt 0x0
	v_mul_f32_e32 v18, v18, v19
	s_wait_dscnt 0x0
	v_fmac_f32_e32 v8, v18, v17
	s_wait_alu 0xfffe
	s_cbranch_vccz .LBB144_7
.LBB144_4:                              ; =>This Inner Loop Header: Depth=1
	v_mov_b32_e32 v17, 0
	s_and_saveexec_b32 s3, s2
	s_cbranch_execz .LBB144_3
; %bb.5:                                ;   in Loop: Header=BB144_4 Depth=1
	v_mov_b32_e32 v17, 0
	s_mov_b32 s24, exec_lo
	v_cmpx_gt_i64_e64 s[4:5], v[4:5]
	s_cbranch_execz .LBB144_2
; %bb.6:                                ;   in Loop: Header=BB144_4 Depth=1
	global_load_b32 v17, v[6:7], off
	s_branch .LBB144_2
.LBB144_7:
	s_cmp_eq_u64 s[12:13], 0
	s_cbranch_scc1 .LBB144_9
; %bb.8:
	s_load_u16 s0, s[0:1], 0x4e
	v_mov_b32_e32 v2, 0
	s_mov_b32 s2, ttmp9
	s_mov_b32 s3, 0
	v_lshlrev_b32_e32 v0, 2, v0
	s_wait_kmcnt 0x0
	v_mad_co_u64_u32 v[1:2], null, s0, ttmp7, v[1:2]
	s_wait_alu 0xfffe
	s_lshl_b64 s[0:1], s[2:3], 8
	s_delay_alu instid0(VALU_DEP_1) | instskip(NEXT) | instid1(VALU_DEP_2)
	v_mul_lo_u32 v3, v2, s6
	v_mul_lo_u32 v4, v1, s7
	v_mad_co_u64_u32 v[1:2], null, v1, s6, 0
	s_delay_alu instid0(VALU_DEP_1) | instskip(NEXT) | instid1(VALU_DEP_1)
	v_add3_u32 v2, v2, v4, v3
	v_lshlrev_b64_e32 v[1:2], 2, v[1:2]
	s_delay_alu instid0(VALU_DEP_1) | instskip(SKIP_1) | instid1(VALU_DEP_2)
	v_add_co_u32 v1, vcc_lo, s12, v1
	s_wait_alu 0xfffd
	v_add_co_ci_u32_e64 v2, null, s13, v2, vcc_lo
	s_wait_alu 0xfffe
	s_delay_alu instid0(VALU_DEP_2) | instskip(SKIP_1) | instid1(VALU_DEP_2)
	v_add_co_u32 v1, vcc_lo, v1, s0
	s_wait_alu 0xfffd
	v_add_co_ci_u32_e64 v2, null, s1, v2, vcc_lo
	s_delay_alu instid0(VALU_DEP_2) | instskip(SKIP_1) | instid1(VALU_DEP_2)
	v_add_co_u32 v0, vcc_lo, v1, v0
	s_wait_alu 0xfffd
	v_add_co_ci_u32_e64 v1, null, 0, v2, vcc_lo
	global_store_b32 v[0:1], v8, off
.LBB144_9:
	s_endpgm
	.section	.rodata,"a",@progbits
	.p2align	6, 0x0
	.amdhsa_kernel _ZN2at6native12_GLOBAL__N_135GammaBetaBackwardCUDAKernelTemplateIffLj64ELj1ELj8ELb1ELb1ELb1EEEvllPKT_S5_PKT0_S8_PS3_S9_
		.amdhsa_group_segment_fixed_size 0
		.amdhsa_private_segment_fixed_size 0
		.amdhsa_kernarg_size 320
		.amdhsa_user_sgpr_count 2
		.amdhsa_user_sgpr_dispatch_ptr 0
		.amdhsa_user_sgpr_queue_ptr 0
		.amdhsa_user_sgpr_kernarg_segment_ptr 1
		.amdhsa_user_sgpr_dispatch_id 0
		.amdhsa_user_sgpr_private_segment_size 0
		.amdhsa_wavefront_size32 1
		.amdhsa_uses_dynamic_stack 0
		.amdhsa_enable_private_segment 0
		.amdhsa_system_sgpr_workgroup_id_x 1
		.amdhsa_system_sgpr_workgroup_id_y 1
		.amdhsa_system_sgpr_workgroup_id_z 0
		.amdhsa_system_sgpr_workgroup_info 0
		.amdhsa_system_vgpr_workitem_id 1
		.amdhsa_next_free_vgpr 40
		.amdhsa_next_free_sgpr 25
		.amdhsa_reserve_vcc 1
		.amdhsa_float_round_mode_32 0
		.amdhsa_float_round_mode_16_64 0
		.amdhsa_float_denorm_mode_32 3
		.amdhsa_float_denorm_mode_16_64 3
		.amdhsa_fp16_overflow 0
		.amdhsa_workgroup_processor_mode 1
		.amdhsa_memory_ordered 1
		.amdhsa_forward_progress 1
		.amdhsa_inst_pref_size 12
		.amdhsa_round_robin_scheduling 0
		.amdhsa_exception_fp_ieee_invalid_op 0
		.amdhsa_exception_fp_denorm_src 0
		.amdhsa_exception_fp_ieee_div_zero 0
		.amdhsa_exception_fp_ieee_overflow 0
		.amdhsa_exception_fp_ieee_underflow 0
		.amdhsa_exception_fp_ieee_inexact 0
		.amdhsa_exception_int_div_zero 0
	.end_amdhsa_kernel
	.section	.text._ZN2at6native12_GLOBAL__N_135GammaBetaBackwardCUDAKernelTemplateIffLj64ELj1ELj8ELb1ELb1ELb1EEEvllPKT_S5_PKT0_S8_PS3_S9_,"axG",@progbits,_ZN2at6native12_GLOBAL__N_135GammaBetaBackwardCUDAKernelTemplateIffLj64ELj1ELj8ELb1ELb1ELb1EEEvllPKT_S5_PKT0_S8_PS3_S9_,comdat
.Lfunc_end144:
	.size	_ZN2at6native12_GLOBAL__N_135GammaBetaBackwardCUDAKernelTemplateIffLj64ELj1ELj8ELb1ELb1ELb1EEEvllPKT_S5_PKT0_S8_PS3_S9_, .Lfunc_end144-_ZN2at6native12_GLOBAL__N_135GammaBetaBackwardCUDAKernelTemplateIffLj64ELj1ELj8ELb1ELb1ELb1EEEvllPKT_S5_PKT0_S8_PS3_S9_
                                        ; -- End function
	.set _ZN2at6native12_GLOBAL__N_135GammaBetaBackwardCUDAKernelTemplateIffLj64ELj1ELj8ELb1ELb1ELb1EEEvllPKT_S5_PKT0_S8_PS3_S9_.num_vgpr, 40
	.set _ZN2at6native12_GLOBAL__N_135GammaBetaBackwardCUDAKernelTemplateIffLj64ELj1ELj8ELb1ELb1ELb1EEEvllPKT_S5_PKT0_S8_PS3_S9_.num_agpr, 0
	.set _ZN2at6native12_GLOBAL__N_135GammaBetaBackwardCUDAKernelTemplateIffLj64ELj1ELj8ELb1ELb1ELb1EEEvllPKT_S5_PKT0_S8_PS3_S9_.numbered_sgpr, 25
	.set _ZN2at6native12_GLOBAL__N_135GammaBetaBackwardCUDAKernelTemplateIffLj64ELj1ELj8ELb1ELb1ELb1EEEvllPKT_S5_PKT0_S8_PS3_S9_.num_named_barrier, 0
	.set _ZN2at6native12_GLOBAL__N_135GammaBetaBackwardCUDAKernelTemplateIffLj64ELj1ELj8ELb1ELb1ELb1EEEvllPKT_S5_PKT0_S8_PS3_S9_.private_seg_size, 0
	.set _ZN2at6native12_GLOBAL__N_135GammaBetaBackwardCUDAKernelTemplateIffLj64ELj1ELj8ELb1ELb1ELb1EEEvllPKT_S5_PKT0_S8_PS3_S9_.uses_vcc, 1
	.set _ZN2at6native12_GLOBAL__N_135GammaBetaBackwardCUDAKernelTemplateIffLj64ELj1ELj8ELb1ELb1ELb1EEEvllPKT_S5_PKT0_S8_PS3_S9_.uses_flat_scratch, 0
	.set _ZN2at6native12_GLOBAL__N_135GammaBetaBackwardCUDAKernelTemplateIffLj64ELj1ELj8ELb1ELb1ELb1EEEvllPKT_S5_PKT0_S8_PS3_S9_.has_dyn_sized_stack, 0
	.set _ZN2at6native12_GLOBAL__N_135GammaBetaBackwardCUDAKernelTemplateIffLj64ELj1ELj8ELb1ELb1ELb1EEEvllPKT_S5_PKT0_S8_PS3_S9_.has_recursion, 0
	.set _ZN2at6native12_GLOBAL__N_135GammaBetaBackwardCUDAKernelTemplateIffLj64ELj1ELj8ELb1ELb1ELb1EEEvllPKT_S5_PKT0_S8_PS3_S9_.has_indirect_call, 0
	.section	.AMDGPU.csdata,"",@progbits
; Kernel info:
; codeLenInByte = 1412
; TotalNumSgprs: 27
; NumVgprs: 40
; ScratchSize: 0
; MemoryBound: 0
; FloatMode: 240
; IeeeMode: 1
; LDSByteSize: 0 bytes/workgroup (compile time only)
; SGPRBlocks: 0
; VGPRBlocks: 4
; NumSGPRsForWavesPerEU: 27
; NumVGPRsForWavesPerEU: 40
; Occupancy: 16
; WaveLimiterHint : 0
; COMPUTE_PGM_RSRC2:SCRATCH_EN: 0
; COMPUTE_PGM_RSRC2:USER_SGPR: 2
; COMPUTE_PGM_RSRC2:TRAP_HANDLER: 0
; COMPUTE_PGM_RSRC2:TGID_X_EN: 1
; COMPUTE_PGM_RSRC2:TGID_Y_EN: 1
; COMPUTE_PGM_RSRC2:TGID_Z_EN: 0
; COMPUTE_PGM_RSRC2:TIDIG_COMP_CNT: 1
	.section	.text._ZN2at6native12_GLOBAL__N_135GammaBetaBackwardCUDAKernelTemplateIffLj64ELj1ELj8ELb1ELb0ELb1EEEvllPKT_S5_PKT0_S8_PS3_S9_,"axG",@progbits,_ZN2at6native12_GLOBAL__N_135GammaBetaBackwardCUDAKernelTemplateIffLj64ELj1ELj8ELb1ELb0ELb1EEEvllPKT_S5_PKT0_S8_PS3_S9_,comdat
	.globl	_ZN2at6native12_GLOBAL__N_135GammaBetaBackwardCUDAKernelTemplateIffLj64ELj1ELj8ELb1ELb0ELb1EEEvllPKT_S5_PKT0_S8_PS3_S9_ ; -- Begin function _ZN2at6native12_GLOBAL__N_135GammaBetaBackwardCUDAKernelTemplateIffLj64ELj1ELj8ELb1ELb0ELb1EEEvllPKT_S5_PKT0_S8_PS3_S9_
	.p2align	8
	.type	_ZN2at6native12_GLOBAL__N_135GammaBetaBackwardCUDAKernelTemplateIffLj64ELj1ELj8ELb1ELb0ELb1EEEvllPKT_S5_PKT0_S8_PS3_S9_,@function
_ZN2at6native12_GLOBAL__N_135GammaBetaBackwardCUDAKernelTemplateIffLj64ELj1ELj8ELb1ELb0ELb1EEEvllPKT_S5_PKT0_S8_PS3_S9_: ; @_ZN2at6native12_GLOBAL__N_135GammaBetaBackwardCUDAKernelTemplateIffLj64ELj1ELj8ELb1ELb0ELb1EEEvllPKT_S5_PKT0_S8_PS3_S9_
; %bb.0:
	s_clause 0x1
	s_load_b256 s[4:11], s[0:1], 0x0
	s_load_b64 s[12:13], s[0:1], 0x28
	s_lshl_b32 s28, ttmp9, 6
	s_mov_b32 s15, 0
	s_or_b32 s14, s28, 63
	s_wait_kmcnt 0x0
	v_cmp_le_i64_e64 s2, s[6:7], s[14:15]
	s_lshl_b32 s14, ttmp7, 3
	s_wait_alu 0xfffe
	v_cmp_gt_i64_e64 s29, s[4:5], s[14:15]
	s_and_b32 vcc_lo, exec_lo, s2
	v_cndmask_b32_e64 v1, 0, 1, s29
	s_delay_alu instid0(VALU_DEP_1)
	v_cmp_ne_u32_e64 s2, 1, v1
	s_cbranch_vccz .LBB145_49
; %bb.1:
	v_mov_b32_e32 v87, 0
	s_and_b32 vcc_lo, exec_lo, s2
	s_cbranch_vccnz .LBB145_50
; %bb.2:
	v_bfe_u32 v22, v0, 10, 10
	v_dual_mov_b32 v1, 0 :: v_dual_and_b32 v24, 0x3ff, v0
	s_load_b32 s3, s[0:1], 0x44
	s_mov_b32 s17, 0
	s_delay_alu instid0(VALU_DEP_2) | instskip(NEXT) | instid1(VALU_DEP_2)
	v_dual_mov_b32 v58, 0 :: v_dual_lshlrev_b32 v23, 3, v22
	v_dual_mov_b32 v5, v1 :: v_dual_add_nc_u32 v4, s28, v24
	s_mov_b32 s21, s17
	s_delay_alu instid0(VALU_DEP_2) | instskip(NEXT) | instid1(VALU_DEP_1)
	v_add_co_u32 v10, s2, v23, s14
	v_add_co_ci_u32_e64 v11, null, 0, 0, s2
	s_delay_alu instid0(VALU_DEP_3) | instskip(NEXT) | instid1(VALU_DEP_3)
	v_cmp_gt_i64_e64 s2, s[6:7], v[4:5]
	v_mul_lo_u32 v6, s7, v10
	v_mad_co_u64_u32 v[2:3], null, s6, v10, 0
	s_delay_alu instid0(VALU_DEP_4)
	v_mul_lo_u32 v7, s6, v11
	v_lshlrev_b64_e32 v[18:19], 2, v[4:5]
	v_mov_b32_e32 v25, v1
	s_add_nc_u64 s[18:19], s[0:1], 64
	s_mov_b64 s[24:25], 7
	s_wait_kmcnt 0x0
	s_lshl_b32 s20, s3, 3
	s_mov_b64 s[26:27], s[14:15]
	s_mul_u64 s[22:23], s[6:7], s[20:21]
	v_add3_u32 v3, v3, v7, v6
	v_add_co_u32 v6, vcc_lo, v10, 7
	s_delay_alu instid0(VALU_DEP_1)
	v_add_co_ci_u32_e64 v7, null, 0, v11, vcc_lo
	v_add_co_u32 v8, vcc_lo, v10, 6
	s_wait_alu 0xfffd
	v_add_co_ci_u32_e64 v9, null, 0, v11, vcc_lo
	v_lshlrev_b64_e32 v[4:5], 2, v[2:3]
	v_mul_lo_u32 v12, s7, v6
	v_mul_lo_u32 v13, s6, v7
	v_mad_co_u64_u32 v[6:7], null, s6, v6, 0
	v_mul_lo_u32 v14, s7, v8
	v_mul_lo_u32 v15, s6, v9
	v_mad_co_u64_u32 v[8:9], null, s6, v8, 0
	v_add_co_u32 v26, vcc_lo, s8, v4
	s_wait_alu 0xfffd
	v_add_co_ci_u32_e64 v27, null, s9, v5, vcc_lo
	v_add_co_u32 v28, vcc_lo, s10, v4
	v_add3_u32 v7, v7, v13, v12
	s_wait_alu 0xfffd
	v_add_co_ci_u32_e64 v29, null, s11, v5, vcc_lo
	v_add_co_u32 v12, vcc_lo, v10, 5
	v_add3_u32 v9, v9, v15, v14
	s_wait_alu 0xfffd
	v_add_co_ci_u32_e64 v13, null, 0, v11, vcc_lo
	v_lshlrev_b64_e32 v[4:5], 2, v[6:7]
	v_mul_lo_u32 v14, s7, v12
	v_lshlrev_b64_e32 v[6:7], 2, v[8:9]
	s_delay_alu instid0(VALU_DEP_4)
	v_mul_lo_u32 v13, s6, v13
	v_mad_co_u64_u32 v[8:9], null, s6, v12, 0
	v_add_co_u32 v30, vcc_lo, s8, v4
	s_wait_alu 0xfffd
	v_add_co_ci_u32_e64 v31, null, s9, v5, vcc_lo
	v_add_co_u32 v32, vcc_lo, s10, v4
	s_wait_alu 0xfffd
	v_add_co_ci_u32_e64 v33, null, s11, v5, vcc_lo
	v_add_co_u32 v34, vcc_lo, s8, v6
	v_add3_u32 v9, v9, v13, v14
	s_wait_alu 0xfffd
	v_add_co_ci_u32_e64 v35, null, s9, v7, vcc_lo
	v_add_co_u32 v12, vcc_lo, v10, 4
	v_add_co_u32 v36, s3, s10, v6
	s_wait_alu 0xfffd
	v_add_co_ci_u32_e64 v6, null, 0, v11, vcc_lo
	v_lshlrev_b64_e32 v[4:5], 2, v[8:9]
	v_add_co_u32 v8, vcc_lo, v10, 3
	s_wait_alu 0xfffd
	v_add_co_ci_u32_e64 v9, null, 0, v11, vcc_lo
	s_wait_alu 0xf1ff
	v_add_co_ci_u32_e64 v37, null, s11, v7, s3
	v_mul_lo_u32 v13, s7, v12
	v_mul_lo_u32 v14, s6, v6
	v_mad_co_u64_u32 v[6:7], null, s6, v12, 0
	v_mul_lo_u32 v12, s7, v8
	v_mul_lo_u32 v15, s6, v9
	v_mad_co_u64_u32 v[8:9], null, s6, v8, 0
	v_add_co_u32 v38, vcc_lo, s8, v4
	s_wait_alu 0xfffd
	v_add_co_ci_u32_e64 v39, null, s9, v5, vcc_lo
	v_add3_u32 v7, v7, v14, v13
	v_add_co_u32 v40, vcc_lo, s10, v4
	s_wait_alu 0xfffd
	v_add_co_ci_u32_e64 v41, null, s11, v5, vcc_lo
	v_add_co_u32 v10, vcc_lo, v10, 2
	v_add3_u32 v9, v9, v15, v12
	s_wait_alu 0xfffd
	v_add_co_ci_u32_e64 v11, null, 0, v11, vcc_lo
	v_lshlrev_b64_e32 v[4:5], 2, v[6:7]
	v_mul_lo_u32 v12, s7, v10
	v_lshlrev_b64_e32 v[6:7], 2, v[8:9]
	s_delay_alu instid0(VALU_DEP_4)
	v_mul_lo_u32 v11, s6, v11
	v_mad_co_u64_u32 v[8:9], null, s6, v10, 0
	v_add_co_u32 v42, vcc_lo, s8, v4
	s_wait_alu 0xfffd
	v_add_co_ci_u32_e64 v43, null, s9, v5, vcc_lo
	v_add_co_u32 v44, vcc_lo, s10, v4
	s_wait_alu 0xfffd
	v_add_co_ci_u32_e64 v45, null, s11, v5, vcc_lo
	v_add_co_u32 v46, vcc_lo, s8, v6
	s_wait_alu 0xfffd
	v_add_co_ci_u32_e64 v47, null, s9, v7, vcc_lo
	v_add3_u32 v9, v9, v11, v12
	v_add_co_u32 v48, vcc_lo, s10, v6
	s_wait_alu 0xfffd
	v_add_co_ci_u32_e64 v49, null, s11, v7, vcc_lo
	v_add_co_u32 v2, vcc_lo, v2, s6
	s_wait_alu 0xfffd
	v_add_co_ci_u32_e64 v3, null, s7, v3, vcc_lo
	v_lshlrev_b64_e32 v[4:5], 2, v[8:9]
	s_lshl_b64 s[22:23], s[22:23], 2
	s_delay_alu instid0(VALU_DEP_2) | instskip(NEXT) | instid1(VALU_DEP_2)
	v_lshlrev_b64_e32 v[2:3], 2, v[2:3]
	v_add_co_u32 v50, vcc_lo, s8, v4
	s_wait_alu 0xfffd
	s_delay_alu instid0(VALU_DEP_3)
	v_add_co_ci_u32_e64 v51, null, s9, v5, vcc_lo
	v_add_co_u32 v52, vcc_lo, s10, v4
	s_wait_alu 0xfffd
	v_add_co_ci_u32_e64 v53, null, s11, v5, vcc_lo
	v_add_co_u32 v54, vcc_lo, s8, v2
	s_wait_alu 0xfffd
	;; [unrolled: 3-line block ×3, first 2 shown]
	v_add_co_ci_u32_e64 v57, null, s11, v3, vcc_lo
.LBB145_3:                              ; =>This Inner Loop Header: Depth=1
	s_add_nc_u64 s[30:31], s[14:15], s[24:25]
	v_add_co_u32 v20, vcc_lo, s14, v23
	s_wait_alu 0xfffe
	v_cmp_ge_i64_e64 s3, s[30:31], s[4:5]
	s_wait_alu 0xfffd
	v_add_co_ci_u32_e64 v21, null, 0, v25, vcc_lo
                                        ; implicit-def: $vgpr2_vgpr3_vgpr4_vgpr5_vgpr6_vgpr7_vgpr8_vgpr9
                                        ; implicit-def: $vgpr87
                                        ; implicit-def: $vgpr10_vgpr11_vgpr12_vgpr13_vgpr14_vgpr15_vgpr16_vgpr17
                                        ; implicit-def: $vgpr2
	s_and_b32 vcc_lo, exec_lo, s3
	s_mov_b32 s3, -1
	s_wait_alu 0xfffe
	s_cbranch_vccz .LBB145_25
; %bb.4:                                ;   in Loop: Header=BB145_3 Depth=1
	s_load_b32 s3, s[18:19], 0xc
	v_mov_b32_e32 v59, 0
	s_wait_kmcnt 0x0
	s_and_b32 s3, s3, 0xffff
	s_wait_alu 0xfffe
	v_mad_u32_u24 v2, v22, s3, v24
	s_mov_b32 s3, exec_lo
	s_delay_alu instid0(VALU_DEP_1) | instskip(NEXT) | instid1(VALU_DEP_1)
	v_and_b32_e32 v2, 31, v2
	v_cmpx_gt_u32_e32 8, v2
	s_cbranch_execz .LBB145_8
; %bb.5:                                ;   in Loop: Header=BB145_3 Depth=1
	v_add_co_u32 v2, vcc_lo, v20, v2
	s_wait_alu 0xfffd
	v_add_co_ci_u32_e64 v3, null, 0, v21, vcc_lo
	v_mov_b32_e32 v59, 0
	s_mov_b32 s16, exec_lo
	s_delay_alu instid0(VALU_DEP_2)
	v_cmpx_gt_i64_e64 s[4:5], v[2:3]
	s_cbranch_execz .LBB145_7
; %bb.6:                                ;   in Loop: Header=BB145_3 Depth=1
	v_lshlrev_b64_e32 v[2:3], 2, v[2:3]
	s_delay_alu instid0(VALU_DEP_1) | instskip(SKIP_1) | instid1(VALU_DEP_2)
	v_add_co_u32 v2, vcc_lo, s12, v2
	s_wait_alu 0xfffd
	v_add_co_ci_u32_e64 v3, null, s13, v3, vcc_lo
	global_load_b32 v59, v[2:3], off
.LBB145_7:                              ;   in Loop: Header=BB145_3 Depth=1
	s_or_b32 exec_lo, exec_lo, s16
.LBB145_8:                              ;   in Loop: Header=BB145_3 Depth=1
	s_wait_alu 0xfffe
	s_or_b32 exec_lo, exec_lo, s3
	v_mov_b32_e32 v8, v1
	v_dual_mov_b32 v2, v1 :: v_dual_mov_b32 v3, v1
	v_dual_mov_b32 v4, v1 :: v_dual_mov_b32 v5, v1
	;; [unrolled: 1-line block ×3, first 2 shown]
	v_cmp_gt_i64_e32 vcc_lo, s[4:5], v[20:21]
	s_delay_alu instid0(VALU_DEP_3) | instskip(NEXT) | instid1(VALU_DEP_3)
	v_dual_mov_b32 v17, v8 :: v_dual_mov_b32 v14, v5
	v_dual_mov_b32 v15, v6 :: v_dual_mov_b32 v16, v7
	;; [unrolled: 1-line block ×4, first 2 shown]
	v_mov_b32_e32 v9, v8
	v_mov_b32_e32 v8, v7
	;; [unrolled: 1-line block ×8, first 2 shown]
	s_and_b32 s16, s2, vcc_lo
	s_delay_alu instid0(SALU_CYCLE_1)
	s_and_saveexec_b32 s3, s16
	s_cbranch_execz .LBB145_10
; %bb.9:                                ;   in Loop: Header=BB145_3 Depth=1
	v_add_co_u32 v2, vcc_lo, v26, v18
	s_wait_alu 0xfffd
	v_add_co_ci_u32_e64 v3, null, v27, v19, vcc_lo
	v_add_co_u32 v4, vcc_lo, v28, v18
	s_wait_alu 0xfffd
	v_add_co_ci_u32_e64 v5, null, v29, v19, vcc_lo
	global_load_b32 v2, v[2:3], off
	global_load_b32 v10, v[4:5], off
	v_dual_mov_b32 v3, v1 :: v_dual_mov_b32 v4, v1
	v_dual_mov_b32 v5, v1 :: v_dual_mov_b32 v6, v1
	;; [unrolled: 1-line block ×6, first 2 shown]
	v_mov_b32_e32 v15, v1
	v_mov_b32_e32 v17, v1
.LBB145_10:                             ;   in Loop: Header=BB145_3 Depth=1
	s_wait_alu 0xfffe
	s_or_b32 exec_lo, exec_lo, s3
	v_add_co_u32 v60, vcc_lo, v20, 1
	s_wait_alu 0xfffd
	v_add_co_ci_u32_e64 v61, null, 0, v21, vcc_lo
	s_delay_alu instid0(VALU_DEP_1) | instskip(SKIP_1) | instid1(SALU_CYCLE_1)
	v_cmp_gt_i64_e32 vcc_lo, s[4:5], v[60:61]
	s_and_b32 s16, s2, vcc_lo
	s_and_saveexec_b32 s3, s16
	s_cbranch_execz .LBB145_12
; %bb.11:                               ;   in Loop: Header=BB145_3 Depth=1
	v_add_co_u32 v60, vcc_lo, v54, v18
	s_wait_alu 0xfffd
	v_add_co_ci_u32_e64 v61, null, v55, v19, vcc_lo
	v_add_co_u32 v62, vcc_lo, v56, v18
	s_wait_alu 0xfffd
	v_add_co_ci_u32_e64 v63, null, v57, v19, vcc_lo
	global_load_b32 v3, v[60:61], off
	global_load_b32 v11, v[62:63], off
.LBB145_12:                             ;   in Loop: Header=BB145_3 Depth=1
	s_wait_alu 0xfffe
	s_or_b32 exec_lo, exec_lo, s3
	v_add_co_u32 v60, vcc_lo, v20, 2
	s_wait_alu 0xfffd
	v_add_co_ci_u32_e64 v61, null, 0, v21, vcc_lo
	s_delay_alu instid0(VALU_DEP_1) | instskip(SKIP_1) | instid1(SALU_CYCLE_1)
	v_cmp_gt_i64_e32 vcc_lo, s[4:5], v[60:61]
	s_and_b32 s16, s2, vcc_lo
	s_and_saveexec_b32 s3, s16
	s_cbranch_execz .LBB145_14
; %bb.13:                               ;   in Loop: Header=BB145_3 Depth=1
	v_add_co_u32 v60, vcc_lo, v50, v18
	s_wait_alu 0xfffd
	v_add_co_ci_u32_e64 v61, null, v51, v19, vcc_lo
	v_add_co_u32 v62, vcc_lo, v52, v18
	s_wait_alu 0xfffd
	v_add_co_ci_u32_e64 v63, null, v53, v19, vcc_lo
	global_load_b32 v4, v[60:61], off
	global_load_b32 v12, v[62:63], off
.LBB145_14:                             ;   in Loop: Header=BB145_3 Depth=1
	;; [unrolled: 20-line block ×7, first 2 shown]
	s_wait_alu 0xfffe
	s_or_b32 exec_lo, exec_lo, s3
	s_wait_loadcnt 0x0
	ds_bpermute_b32 v60, v1, v59
	ds_bpermute_b32 v61, v1, v59 offset:4
	ds_bpermute_b32 v62, v1, v59 offset:8
	v_dual_mul_f32 v2, v10, v2 :: v_dual_mul_f32 v3, v11, v3
	ds_bpermute_b32 v10, v1, v59 offset:12
	ds_bpermute_b32 v11, v1, v59 offset:16
	s_mov_b32 s3, 0
	v_mul_f32_e32 v6, v14, v6
	s_wait_dscnt 0x4
	v_fma_f32 v87, v2, v60, v58
	v_mul_f32_e32 v2, v12, v4
	ds_bpermute_b32 v4, v1, v59 offset:20
	s_wait_dscnt 0x4
	v_fmac_f32_e32 v87, v3, v61
	v_mul_f32_e32 v3, v13, v5
	ds_bpermute_b32 v5, v1, v59 offset:24
	s_wait_dscnt 0x4
	v_fmac_f32_e32 v87, v2, v62
	ds_bpermute_b32 v2, v1, v59 offset:28
	s_wait_dscnt 0x4
	v_fmac_f32_e32 v87, v3, v10
	v_mul_f32_e32 v3, v15, v7
	s_wait_dscnt 0x3
	s_delay_alu instid0(VALU_DEP_2) | instskip(SKIP_1) | instid1(VALU_DEP_1)
	v_fmac_f32_e32 v87, v6, v11
	s_wait_dscnt 0x2
	v_fmac_f32_e32 v87, v3, v4
	v_mul_f32_e32 v3, v16, v8
	s_wait_dscnt 0x1
	s_delay_alu instid0(VALU_DEP_1)
	v_fmac_f32_e32 v87, v3, v5
.LBB145_25:                             ;   in Loop: Header=BB145_3 Depth=1
	s_wait_alu 0xfffe
	s_and_b32 vcc_lo, exec_lo, s3
	s_wait_alu 0xfffe
	s_cbranch_vccz .LBB145_40
; %bb.26:                               ;   in Loop: Header=BB145_3 Depth=1
	s_load_b32 s3, s[18:19], 0x0
	v_mov_b32_e32 v59, 0
	s_wait_kmcnt 0x0
	s_cmp_lt_u32 ttmp9, s3
	s_cselect_b32 s16, 12, 18
	s_delay_alu instid0(SALU_CYCLE_1)
	s_add_nc_u64 s[30:31], s[18:19], s[16:17]
	s_load_u16 s3, s[30:31], 0x0
	s_wait_dscnt 0x0
	s_wait_kmcnt 0x0
	v_mad_u32_u24 v2, v22, s3, v24
	s_mov_b32 s3, exec_lo
	s_delay_alu instid0(VALU_DEP_1) | instskip(NEXT) | instid1(VALU_DEP_1)
	v_and_b32_e32 v2, 31, v2
	v_cmpx_gt_u32_e32 8, v2
	s_cbranch_execz .LBB145_30
; %bb.27:                               ;   in Loop: Header=BB145_3 Depth=1
	v_add_co_u32 v2, vcc_lo, v20, v2
	s_wait_alu 0xfffd
	v_add_co_ci_u32_e64 v3, null, 0, v21, vcc_lo
	v_mov_b32_e32 v59, 0
	s_mov_b32 s16, exec_lo
	s_delay_alu instid0(VALU_DEP_2)
	v_cmpx_gt_i64_e64 s[4:5], v[2:3]
	s_cbranch_execz .LBB145_29
; %bb.28:                               ;   in Loop: Header=BB145_3 Depth=1
	v_lshlrev_b64_e32 v[2:3], 2, v[2:3]
	s_delay_alu instid0(VALU_DEP_1) | instskip(SKIP_1) | instid1(VALU_DEP_2)
	v_add_co_u32 v2, vcc_lo, s12, v2
	s_wait_alu 0xfffd
	v_add_co_ci_u32_e64 v3, null, s13, v3, vcc_lo
	global_load_b32 v59, v[2:3], off
.LBB145_29:                             ;   in Loop: Header=BB145_3 Depth=1
	s_or_b32 exec_lo, exec_lo, s16
.LBB145_30:                             ;   in Loop: Header=BB145_3 Depth=1
	s_wait_alu 0xfffe
	s_or_b32 exec_lo, exec_lo, s3
	v_mov_b32_e32 v8, v1
	v_dual_mov_b32 v2, v1 :: v_dual_mov_b32 v3, v1
	v_dual_mov_b32 v4, v1 :: v_dual_mov_b32 v5, v1
	v_dual_mov_b32 v6, v1 :: v_dual_mov_b32 v7, v1
	s_delay_alu instid0(VALU_DEP_4) | instskip(NEXT) | instid1(VALU_DEP_3)
	v_mov_b32_e32 v17, v8
	v_dual_mov_b32 v13, v4 :: v_dual_mov_b32 v12, v3
	s_delay_alu instid0(VALU_DEP_3) | instskip(NEXT) | instid1(VALU_DEP_4)
	v_dual_mov_b32 v15, v6 :: v_dual_mov_b32 v14, v5
	v_dual_mov_b32 v16, v7 :: v_dual_mov_b32 v11, v2
	;; [unrolled: 1-line block ×3, first 2 shown]
	v_mov_b32_e32 v8, v7
	v_mov_b32_e32 v7, v6
	;; [unrolled: 1-line block ×7, first 2 shown]
	s_and_saveexec_b32 s3, s2
	s_cbranch_execnz .LBB145_42
; %bb.31:                               ;   in Loop: Header=BB145_3 Depth=1
	s_wait_alu 0xfffe
	s_or_b32 exec_lo, exec_lo, s3
	s_and_saveexec_b32 s3, s2
	s_cbranch_execnz .LBB145_43
.LBB145_32:                             ;   in Loop: Header=BB145_3 Depth=1
	s_wait_alu 0xfffe
	s_or_b32 exec_lo, exec_lo, s3
	s_and_saveexec_b32 s3, s2
	s_cbranch_execnz .LBB145_44
.LBB145_33:                             ;   in Loop: Header=BB145_3 Depth=1
	s_wait_alu 0xfffe
	s_or_b32 exec_lo, exec_lo, s3
	s_and_saveexec_b32 s3, s2
	s_cbranch_execnz .LBB145_45
.LBB145_34:                             ;   in Loop: Header=BB145_3 Depth=1
	s_wait_alu 0xfffe
	s_or_b32 exec_lo, exec_lo, s3
	s_and_saveexec_b32 s3, s2
	s_cbranch_execnz .LBB145_46
.LBB145_35:                             ;   in Loop: Header=BB145_3 Depth=1
	s_wait_alu 0xfffe
	s_or_b32 exec_lo, exec_lo, s3
	s_and_saveexec_b32 s3, s2
	s_cbranch_execnz .LBB145_47
.LBB145_36:                             ;   in Loop: Header=BB145_3 Depth=1
	s_wait_alu 0xfffe
	s_or_b32 exec_lo, exec_lo, s3
	s_and_saveexec_b32 s3, s2
	s_cbranch_execnz .LBB145_48
.LBB145_37:                             ;   in Loop: Header=BB145_3 Depth=1
	s_wait_alu 0xfffe
	s_or_b32 exec_lo, exec_lo, s3
	s_and_saveexec_b32 s3, s2
	s_cbranch_execz .LBB145_39
.LBB145_38:                             ;   in Loop: Header=BB145_3 Depth=1
	v_add_co_u32 v20, vcc_lo, v30, v18
	s_wait_alu 0xfffd
	v_add_co_ci_u32_e64 v21, null, v31, v19, vcc_lo
	v_add_co_u32 v60, vcc_lo, v32, v18
	s_wait_alu 0xfffd
	v_add_co_ci_u32_e64 v61, null, v33, v19, vcc_lo
	global_load_b32 v9, v[20:21], off
	global_load_b32 v17, v[60:61], off
.LBB145_39:                             ;   in Loop: Header=BB145_3 Depth=1
	s_wait_alu 0xfffe
	s_or_b32 exec_lo, exec_lo, s3
	s_wait_loadcnt 0x0
	ds_bpermute_b32 v20, v1, v59
	ds_bpermute_b32 v21, v1, v59 offset:4
	ds_bpermute_b32 v60, v1, v59 offset:8
	v_dual_mul_f32 v2, v10, v2 :: v_dual_mul_f32 v3, v11, v3
	ds_bpermute_b32 v10, v1, v59 offset:12
	ds_bpermute_b32 v11, v1, v59 offset:16
	s_wait_dscnt 0x4
	v_fmac_f32_e32 v58, v2, v20
	v_mul_f32_e32 v2, v12, v4
	ds_bpermute_b32 v4, v1, v59 offset:20
	s_wait_dscnt 0x4
	v_fmac_f32_e32 v58, v3, v21
	v_mul_f32_e32 v3, v13, v5
	;; [unrolled: 4-line block ×3, first 2 shown]
	s_wait_dscnt 0x3
	s_delay_alu instid0(VALU_DEP_2) | instskip(SKIP_2) | instid1(VALU_DEP_2)
	v_fmac_f32_e32 v58, v3, v10
	v_mul_f32_e32 v3, v15, v7
	s_wait_dscnt 0x2
	v_fmac_f32_e32 v58, v2, v11
	ds_bpermute_b32 v2, v1, v59 offset:28
	s_wait_dscnt 0x2
	v_fmac_f32_e32 v58, v3, v4
	v_mul_f32_e32 v3, v16, v8
	s_wait_dscnt 0x1
	s_delay_alu instid0(VALU_DEP_1) | instskip(NEXT) | instid1(VALU_DEP_1)
	v_fmac_f32_e32 v58, v3, v5
	v_mov_b32_e32 v87, v58
.LBB145_40:                             ;   in Loop: Header=BB145_3 Depth=1
	v_add_co_u32 v26, vcc_lo, v26, s22
	s_wait_alu 0xfffd
	v_add_co_ci_u32_e64 v27, null, s23, v27, vcc_lo
	v_add_co_u32 v28, vcc_lo, v28, s22
	s_wait_alu 0xfffd
	v_add_co_ci_u32_e64 v29, null, s23, v29, vcc_lo
	;; [unrolled: 3-line block ×14, first 2 shown]
	v_add_co_u32 v54, vcc_lo, v54, s22
	v_mul_f32_e32 v3, v9, v17
	s_add_nc_u64 s[26:27], s[26:27], s[20:21]
	s_wait_alu 0xfffd
	v_add_co_ci_u32_e64 v55, null, s23, v55, vcc_lo
	v_add_co_u32 v56, vcc_lo, v56, s22
	s_wait_alu 0xfffe
	v_cmp_lt_i64_e64 s3, s[26:27], s[4:5]
	s_wait_alu 0xfffd
	v_add_co_ci_u32_e64 v57, null, s23, v57, vcc_lo
	v_add_co_u32 v23, vcc_lo, v23, s20
	s_wait_dscnt 0x0
	v_fmac_f32_e32 v87, v3, v2
	s_wait_alu 0xfffd
	v_add_co_ci_u32_e64 v25, null, 0, v25, vcc_lo
	s_and_b32 vcc_lo, exec_lo, s3
	s_add_nc_u64 s[24:25], s[24:25], s[20:21]
	s_wait_alu 0xfffe
	s_cbranch_vccz .LBB145_50
; %bb.41:                               ;   in Loop: Header=BB145_3 Depth=1
	v_mov_b32_e32 v58, v87
	s_branch .LBB145_3
.LBB145_42:                             ;   in Loop: Header=BB145_3 Depth=1
	v_add_co_u32 v2, vcc_lo, v26, v18
	s_wait_alu 0xfffd
	v_add_co_ci_u32_e64 v3, null, v27, v19, vcc_lo
	v_add_co_u32 v4, vcc_lo, v28, v18
	s_wait_alu 0xfffd
	v_add_co_ci_u32_e64 v5, null, v29, v19, vcc_lo
	global_load_b32 v2, v[2:3], off
	global_load_b32 v10, v[4:5], off
	v_dual_mov_b32 v3, v1 :: v_dual_mov_b32 v4, v1
	v_dual_mov_b32 v5, v1 :: v_dual_mov_b32 v6, v1
	v_dual_mov_b32 v7, v1 :: v_dual_mov_b32 v8, v1
	v_dual_mov_b32 v9, v1 :: v_dual_mov_b32 v12, v1
	v_dual_mov_b32 v11, v1 :: v_dual_mov_b32 v14, v1
	v_dual_mov_b32 v13, v1 :: v_dual_mov_b32 v16, v1
	v_mov_b32_e32 v15, v1
	v_mov_b32_e32 v17, v1
	s_wait_alu 0xfffe
	s_or_b32 exec_lo, exec_lo, s3
	s_and_saveexec_b32 s3, s2
	s_cbranch_execz .LBB145_32
.LBB145_43:                             ;   in Loop: Header=BB145_3 Depth=1
	v_add_co_u32 v20, vcc_lo, v54, v18
	s_wait_alu 0xfffd
	v_add_co_ci_u32_e64 v21, null, v55, v19, vcc_lo
	v_add_co_u32 v60, vcc_lo, v56, v18
	s_wait_alu 0xfffd
	v_add_co_ci_u32_e64 v61, null, v57, v19, vcc_lo
	global_load_b32 v3, v[20:21], off
	global_load_b32 v11, v[60:61], off
	s_wait_alu 0xfffe
	s_or_b32 exec_lo, exec_lo, s3
	s_and_saveexec_b32 s3, s2
	s_cbranch_execz .LBB145_33
.LBB145_44:                             ;   in Loop: Header=BB145_3 Depth=1
	v_add_co_u32 v20, vcc_lo, v50, v18
	s_wait_alu 0xfffd
	v_add_co_ci_u32_e64 v21, null, v51, v19, vcc_lo
	v_add_co_u32 v60, vcc_lo, v52, v18
	s_wait_alu 0xfffd
	v_add_co_ci_u32_e64 v61, null, v53, v19, vcc_lo
	global_load_b32 v4, v[20:21], off
	global_load_b32 v12, v[60:61], off
	s_wait_alu 0xfffe
	s_or_b32 exec_lo, exec_lo, s3
	s_and_saveexec_b32 s3, s2
	s_cbranch_execz .LBB145_34
.LBB145_45:                             ;   in Loop: Header=BB145_3 Depth=1
	v_add_co_u32 v20, vcc_lo, v46, v18
	s_wait_alu 0xfffd
	v_add_co_ci_u32_e64 v21, null, v47, v19, vcc_lo
	v_add_co_u32 v60, vcc_lo, v48, v18
	s_wait_alu 0xfffd
	v_add_co_ci_u32_e64 v61, null, v49, v19, vcc_lo
	global_load_b32 v5, v[20:21], off
	global_load_b32 v13, v[60:61], off
	s_wait_alu 0xfffe
	s_or_b32 exec_lo, exec_lo, s3
	s_and_saveexec_b32 s3, s2
	s_cbranch_execz .LBB145_35
.LBB145_46:                             ;   in Loop: Header=BB145_3 Depth=1
	v_add_co_u32 v20, vcc_lo, v42, v18
	s_wait_alu 0xfffd
	v_add_co_ci_u32_e64 v21, null, v43, v19, vcc_lo
	v_add_co_u32 v60, vcc_lo, v44, v18
	s_wait_alu 0xfffd
	v_add_co_ci_u32_e64 v61, null, v45, v19, vcc_lo
	global_load_b32 v6, v[20:21], off
	global_load_b32 v14, v[60:61], off
	s_wait_alu 0xfffe
	s_or_b32 exec_lo, exec_lo, s3
	s_and_saveexec_b32 s3, s2
	s_cbranch_execz .LBB145_36
.LBB145_47:                             ;   in Loop: Header=BB145_3 Depth=1
	v_add_co_u32 v20, vcc_lo, v38, v18
	s_wait_alu 0xfffd
	v_add_co_ci_u32_e64 v21, null, v39, v19, vcc_lo
	v_add_co_u32 v60, vcc_lo, v40, v18
	s_wait_alu 0xfffd
	v_add_co_ci_u32_e64 v61, null, v41, v19, vcc_lo
	global_load_b32 v7, v[20:21], off
	global_load_b32 v15, v[60:61], off
	s_wait_alu 0xfffe
	s_or_b32 exec_lo, exec_lo, s3
	s_and_saveexec_b32 s3, s2
	s_cbranch_execz .LBB145_37
.LBB145_48:                             ;   in Loop: Header=BB145_3 Depth=1
	v_add_co_u32 v20, vcc_lo, v34, v18
	s_wait_alu 0xfffd
	v_add_co_ci_u32_e64 v21, null, v35, v19, vcc_lo
	v_add_co_u32 v60, vcc_lo, v36, v18
	s_wait_alu 0xfffd
	v_add_co_ci_u32_e64 v61, null, v37, v19, vcc_lo
	global_load_b32 v8, v[20:21], off
	global_load_b32 v16, v[60:61], off
	s_wait_alu 0xfffe
	s_or_b32 exec_lo, exec_lo, s3
	s_and_saveexec_b32 s3, s2
	s_cbranch_execnz .LBB145_38
	s_branch .LBB145_39
.LBB145_49:
                                        ; implicit-def: $vgpr87
	s_load_b64 s[16:17], s[0:1], 0x30
	s_branch .LBB145_51
.LBB145_50:
	s_load_b64 s[16:17], s[0:1], 0x30
	s_cbranch_execnz .LBB145_83
.LBB145_51:
	v_mov_b32_e32 v87, 0
	s_and_not1_b32 vcc_lo, exec_lo, s29
	s_wait_alu 0xfffe
	s_cbranch_vccnz .LBB145_83
; %bb.52:
	v_bfe_u32 v50, v0, 10, 10
	v_dual_mov_b32 v1, 0 :: v_dual_and_b32 v52, 0x3ff, v0
	s_lshl_b64 s[22:23], s[14:15], 2
	s_mov_b32 s3, 0
	s_delay_alu instid0(VALU_DEP_2) | instskip(NEXT) | instid1(VALU_DEP_2)
	v_dual_mov_b32 v86, 0 :: v_dual_lshlrev_b32 v51, 3, v50
	v_dual_mov_b32 v53, v1 :: v_dual_lshlrev_b32 v8, 5, v50
	v_dual_mov_b32 v5, v1 :: v_dual_add_nc_u32 v4, s28, v52
	s_delay_alu instid0(VALU_DEP_3) | instskip(SKIP_2) | instid1(VALU_DEP_3)
	v_add_co_u32 v10, s2, v51, s14
	s_wait_alu 0xf1ff
	v_add_co_ci_u32_e64 v11, null, 0, 0, s2
	v_lshlrev_b64_e32 v[18:19], 2, v[4:5]
	s_delay_alu instid0(VALU_DEP_3) | instskip(SKIP_1) | instid1(VALU_DEP_4)
	v_mul_lo_u32 v6, s7, v10
	v_mad_co_u64_u32 v[2:3], null, s6, v10, 0
	v_mul_lo_u32 v7, s6, v11
	s_load_b32 s2, s[0:1], 0x44
	s_mov_b32 s21, s3
	s_add_nc_u64 s[18:19], s[0:1], 64
	s_delay_alu instid0(VALU_DEP_1) | instskip(SKIP_3) | instid1(VALU_DEP_3)
	v_add3_u32 v3, v3, v7, v6
	v_add_co_u32 v6, s20, v8, s22
	s_wait_alu 0xf1ff
	v_add_co_ci_u32_e64 v7, null, 0, s23, s20
	v_lshlrev_b64_e32 v[4:5], 2, v[2:3]
	s_delay_alu instid0(VALU_DEP_3) | instskip(SKIP_1) | instid1(VALU_DEP_3)
	v_add_co_u32 v8, vcc_lo, v6, 4
	s_wait_alu 0xfffd
	v_add_co_ci_u32_e64 v9, null, 0, v7, vcc_lo
	s_delay_alu instid0(VALU_DEP_3)
	v_add_co_u32 v54, vcc_lo, s8, v4
	s_wait_alu 0xfffd
	v_add_co_ci_u32_e64 v55, null, s9, v5, vcc_lo
	v_add_co_u32 v56, vcc_lo, s10, v4
	s_wait_alu 0xfffd
	v_add_co_ci_u32_e64 v57, null, s11, v5, vcc_lo
	;; [unrolled: 3-line block ×5, first 2 shown]
	v_add_co_u32 v42, vcc_lo, v6, 20
	v_mad_co_u64_u32 v[22:23], null, s6, v4, s[8:9]
	v_mul_lo_u32 v5, s6, v5
	v_mul_lo_u32 v15, s7, v4
	v_mad_co_u64_u32 v[36:37], null, s6, v4, s[10:11]
	s_wait_alu 0xfffd
	v_add_co_ci_u32_e64 v30, null, 0, v7, vcc_lo
	v_add_co_u32 v44, vcc_lo, v6, 24
	s_wait_alu 0xfffd
	v_add_co_ci_u32_e64 v32, null, 0, v7, vcc_lo
	v_add_co_u32 v6, vcc_lo, v6, 28
	v_mad_co_u64_u32 v[20:21], null, s6, v8, s[8:9]
	v_mul_lo_u32 v9, s6, v9
	v_mul_lo_u32 v12, s7, v8
	v_mad_co_u64_u32 v[34:35], null, s6, v8, s[10:11]
	s_wait_alu 0xfffd
	v_add_co_ci_u32_e64 v7, null, 0, v7, vcc_lo
	v_add_co_u32 v4, vcc_lo, v10, 7
	v_add3_u32 v23, v15, v23, v5
	v_add3_u32 v37, v15, v37, v5
	s_wait_alu 0xfffd
	v_add_co_ci_u32_e64 v5, null, 0, v11, vcc_lo
	v_mul_lo_u32 v62, s6, v7
	v_add_co_u32 v7, vcc_lo, v10, 6
	v_add3_u32 v21, v12, v21, v9
	v_add3_u32 v35, v12, v35, v9
	s_wait_alu 0xfffd
	v_add_co_ci_u32_e64 v12, null, 0, v11, vcc_lo
	v_mul_lo_u32 v8, s7, v4
	v_mul_lo_u32 v9, s6, v5
	v_mad_co_u64_u32 v[4:5], null, s6, v4, 0
	v_mad_co_u64_u32 v[24:25], null, s6, v13, s[8:9]
	v_mul_lo_u32 v17, s7, v13
	v_mul_lo_u32 v60, s6, v32
	v_mad_co_u64_u32 v[32:33], null, s6, v6, s[8:9]
	v_mul_lo_u32 v63, s7, v6
	v_mad_co_u64_u32 v[38:39], null, s6, v13, s[10:11]
	v_mad_co_u64_u32 v[46:47], null, s6, v6, s[10:11]
	v_mul_lo_u32 v13, s7, v7
	v_mul_lo_u32 v12, s6, v12
	v_mad_co_u64_u32 v[6:7], null, s6, v7, 0
	v_add3_u32 v5, v5, v9, v8
	v_add_co_u32 v8, vcc_lo, v10, 5
	v_mul_lo_u32 v48, s6, v28
	v_mad_co_u64_u32 v[28:29], null, s6, v42, s[8:9]
	v_mul_lo_u32 v58, s6, v30
	v_mul_lo_u32 v59, s7, v42
	v_mad_co_u64_u32 v[42:43], null, s6, v42, s[10:11]
	s_wait_alu 0xfffd
	v_add_co_ci_u32_e64 v9, null, 0, v11, vcc_lo
	v_add3_u32 v7, v7, v12, v13
	v_mad_co_u64_u32 v[30:31], null, s6, v44, s[8:9]
	v_mul_lo_u32 v61, s7, v44
	v_mad_co_u64_u32 v[44:45], null, s6, v44, s[10:11]
	v_lshlrev_b64_e32 v[4:5], 2, v[4:5]
	v_mul_lo_u32 v12, s7, v8
	v_mul_lo_u32 v13, s6, v9
	v_mad_co_u64_u32 v[8:9], null, s6, v8, 0
	v_lshlrev_b64_e32 v[6:7], 2, v[6:7]
	v_add3_u32 v29, v59, v29, v58
	v_add3_u32 v43, v59, v43, v58
	v_add_co_u32 v58, vcc_lo, s8, v4
	v_add3_u32 v31, v61, v31, v60
	v_add3_u32 v45, v61, v45, v60
	s_wait_alu 0xfffd
	v_add_co_ci_u32_e64 v59, null, s9, v5, vcc_lo
	v_add_co_u32 v60, vcc_lo, s10, v4
	v_add3_u32 v33, v63, v33, v62
	v_add3_u32 v47, v63, v47, v62
	s_wait_alu 0xfffd
	v_add_co_ci_u32_e64 v61, null, s11, v5, vcc_lo
	v_add_co_u32 v62, vcc_lo, s8, v6
	v_mul_lo_u32 v14, s6, v14
	v_add3_u32 v9, v9, v13, v12
	s_wait_alu 0xfffd
	v_add_co_ci_u32_e64 v63, null, s9, v7, vcc_lo
	v_add_co_u32 v12, vcc_lo, v10, 4
	s_wait_kmcnt 0x0
	s_lshl_b32 s20, s2, 3
	v_add_co_u32 v64, s2, s10, v6
	s_wait_alu 0xfffd
	v_add_co_ci_u32_e64 v6, null, 0, v11, vcc_lo
	v_lshlrev_b64_e32 v[4:5], 2, v[8:9]
	v_add_co_u32 v8, vcc_lo, v10, 3
	s_wait_alu 0xfffd
	v_add_co_ci_u32_e64 v9, null, 0, v11, vcc_lo
	v_add3_u32 v25, v17, v25, v14
	v_add3_u32 v39, v17, v39, v14
	s_wait_alu 0xf1ff
	v_add_co_ci_u32_e64 v65, null, s11, v7, s2
	v_mul_lo_u32 v13, s7, v12
	v_mul_lo_u32 v14, s6, v6
	v_mad_co_u64_u32 v[6:7], null, s6, v12, 0
	v_mul_lo_u32 v12, s7, v8
	v_mul_lo_u32 v15, s6, v9
	v_mad_co_u64_u32 v[8:9], null, s6, v8, 0
	v_add_co_u32 v66, vcc_lo, s8, v4
	s_wait_alu 0xfffd
	v_add_co_ci_u32_e64 v67, null, s9, v5, vcc_lo
	v_add3_u32 v7, v7, v14, v13
	v_add_co_u32 v68, vcc_lo, s10, v4
	s_wait_alu 0xfffd
	v_add_co_ci_u32_e64 v69, null, s11, v5, vcc_lo
	v_add_co_u32 v10, vcc_lo, v10, 2
	v_add3_u32 v9, v9, v15, v12
	s_wait_alu 0xfffd
	v_add_co_ci_u32_e64 v11, null, 0, v11, vcc_lo
	v_lshlrev_b64_e32 v[4:5], 2, v[6:7]
	v_mul_lo_u32 v12, s7, v10
	v_lshlrev_b64_e32 v[6:7], 2, v[8:9]
	s_delay_alu instid0(VALU_DEP_4)
	v_mul_lo_u32 v11, s6, v11
	v_mad_co_u64_u32 v[8:9], null, s6, v10, 0
	v_add_co_u32 v70, vcc_lo, s8, v4
	s_wait_alu 0xfffd
	v_add_co_ci_u32_e64 v71, null, s9, v5, vcc_lo
	v_add_co_u32 v72, vcc_lo, s10, v4
	s_wait_alu 0xfffd
	v_add_co_ci_u32_e64 v73, null, s11, v5, vcc_lo
	;; [unrolled: 3-line block ×3, first 2 shown]
	v_add3_u32 v9, v9, v11, v12
	v_add_co_u32 v76, vcc_lo, s10, v6
	s_wait_alu 0xfffd
	v_add_co_ci_u32_e64 v77, null, s11, v7, vcc_lo
	v_add_co_u32 v2, vcc_lo, v2, s6
	s_wait_alu 0xfffd
	v_add_co_ci_u32_e64 v3, null, s7, v3, vcc_lo
	v_lshlrev_b64_e32 v[4:5], 2, v[8:9]
	v_mad_co_u64_u32 v[26:27], null, s6, v16, s[8:9]
	s_delay_alu instid0(VALU_DEP_3)
	v_lshlrev_b64_e32 v[2:3], 2, v[2:3]
	v_mul_lo_u32 v49, s7, v16
	v_mad_co_u64_u32 v[40:41], null, s6, v16, s[10:11]
	v_add_co_u32 v78, vcc_lo, s8, v4
	s_wait_alu 0xfffd
	v_add_co_ci_u32_e64 v79, null, s9, v5, vcc_lo
	v_add_co_u32 v80, vcc_lo, s10, v4
	s_wait_alu 0xfffd
	v_add_co_ci_u32_e64 v81, null, s11, v5, vcc_lo
	;; [unrolled: 3-line block ×3, first 2 shown]
	v_add_co_u32 v84, vcc_lo, s10, v2
	v_add3_u32 v27, v49, v27, v48
	v_add3_u32 v41, v49, v41, v48
	s_wait_alu 0xfffd
	v_add_co_ci_u32_e64 v85, null, s11, v3, vcc_lo
	s_wait_alu 0xfffe
	s_mul_u64 s[22:23], s[6:7], s[20:21]
	s_mov_b64 s[10:11], 7
	s_wait_alu 0xfffe
	s_lshl_b64 s[8:9], s[22:23], 2
	s_mov_b64 s[22:23], s[14:15]
.LBB145_53:                             ; =>This Inner Loop Header: Depth=1
	s_add_nc_u64 s[24:25], s[14:15], s[10:11]
	v_add_co_u32 v48, vcc_lo, s14, v51
	s_wait_alu 0xfffe
	v_cmp_ge_i64_e64 s2, s[24:25], s[4:5]
	s_wait_alu 0xfffd
	v_add_co_ci_u32_e64 v49, null, 0, v53, vcc_lo
                                        ; implicit-def: $vgpr87
	s_and_b32 vcc_lo, exec_lo, s2
	s_mov_b32 s2, -1
	s_wait_alu 0xfffe
	s_cbranch_vccz .LBB145_75
; %bb.54:                               ;   in Loop: Header=BB145_53 Depth=1
	s_load_b32 s2, s[18:19], 0xc
	v_mov_b32_e32 v88, 0
	s_wait_kmcnt 0x0
	s_and_b32 s2, s2, 0xffff
	s_wait_alu 0xfffe
	v_mad_u32_u24 v2, v50, s2, v52
	s_mov_b32 s2, exec_lo
	s_delay_alu instid0(VALU_DEP_1) | instskip(NEXT) | instid1(VALU_DEP_1)
	v_and_b32_e32 v2, 31, v2
	v_cmpx_gt_u32_e32 8, v2
	s_cbranch_execz .LBB145_58
; %bb.55:                               ;   in Loop: Header=BB145_53 Depth=1
	v_add_co_u32 v2, vcc_lo, v48, v2
	s_wait_alu 0xfffd
	v_add_co_ci_u32_e64 v3, null, 0, v49, vcc_lo
	v_mov_b32_e32 v88, 0
	s_mov_b32 s24, exec_lo
	s_delay_alu instid0(VALU_DEP_2)
	v_cmpx_gt_i64_e64 s[4:5], v[2:3]
	s_cbranch_execz .LBB145_57
; %bb.56:                               ;   in Loop: Header=BB145_53 Depth=1
	v_lshlrev_b64_e32 v[2:3], 2, v[2:3]
	s_delay_alu instid0(VALU_DEP_1) | instskip(SKIP_1) | instid1(VALU_DEP_2)
	v_add_co_u32 v2, vcc_lo, s12, v2
	s_wait_alu 0xfffd
	v_add_co_ci_u32_e64 v3, null, s13, v3, vcc_lo
	global_load_b32 v88, v[2:3], off
.LBB145_57:                             ;   in Loop: Header=BB145_53 Depth=1
	s_wait_alu 0xfffe
	s_or_b32 exec_lo, exec_lo, s24
.LBB145_58:                             ;   in Loop: Header=BB145_53 Depth=1
	s_wait_alu 0xfffe
	s_or_b32 exec_lo, exec_lo, s2
	v_mov_b32_e32 v8, v1
	v_dual_mov_b32 v2, v1 :: v_dual_mov_b32 v3, v1
	v_dual_mov_b32 v4, v1 :: v_dual_mov_b32 v5, v1
	;; [unrolled: 1-line block ×3, first 2 shown]
	s_delay_alu instid0(VALU_DEP_4) | instskip(NEXT) | instid1(VALU_DEP_3)
	v_mov_b32_e32 v17, v8
	v_dual_mov_b32 v13, v4 :: v_dual_mov_b32 v12, v3
	s_delay_alu instid0(VALU_DEP_3) | instskip(NEXT) | instid1(VALU_DEP_4)
	v_dual_mov_b32 v15, v6 :: v_dual_mov_b32 v14, v5
	v_dual_mov_b32 v16, v7 :: v_dual_mov_b32 v11, v2
	;; [unrolled: 1-line block ×3, first 2 shown]
	v_mov_b32_e32 v8, v7
	v_mov_b32_e32 v7, v6
	;; [unrolled: 1-line block ×7, first 2 shown]
	s_mov_b32 s2, exec_lo
	v_cmpx_gt_i64_e64 s[4:5], v[48:49]
	s_cbranch_execz .LBB145_60
; %bb.59:                               ;   in Loop: Header=BB145_53 Depth=1
	v_add_co_u32 v2, vcc_lo, v54, v18
	s_wait_alu 0xfffd
	v_add_co_ci_u32_e64 v3, null, v55, v19, vcc_lo
	v_add_co_u32 v4, vcc_lo, v56, v18
	s_wait_alu 0xfffd
	v_add_co_ci_u32_e64 v5, null, v57, v19, vcc_lo
	global_load_b32 v2, v[2:3], off
	global_load_b32 v10, v[4:5], off
	v_dual_mov_b32 v3, v1 :: v_dual_mov_b32 v4, v1
	v_dual_mov_b32 v5, v1 :: v_dual_mov_b32 v6, v1
	;; [unrolled: 1-line block ×6, first 2 shown]
	v_mov_b32_e32 v15, v1
	v_mov_b32_e32 v17, v1
.LBB145_60:                             ;   in Loop: Header=BB145_53 Depth=1
	s_wait_alu 0xfffe
	s_or_b32 exec_lo, exec_lo, s2
	v_add_co_u32 v89, vcc_lo, v48, 1
	s_wait_alu 0xfffd
	v_add_co_ci_u32_e64 v90, null, 0, v49, vcc_lo
	s_mov_b32 s2, exec_lo
	v_cmpx_gt_i64_e64 s[4:5], v[89:90]
	s_cbranch_execz .LBB145_62
; %bb.61:                               ;   in Loop: Header=BB145_53 Depth=1
	v_add_co_u32 v89, vcc_lo, v82, v18
	s_wait_alu 0xfffd
	v_add_co_ci_u32_e64 v90, null, v83, v19, vcc_lo
	v_add_co_u32 v91, vcc_lo, v84, v18
	s_wait_alu 0xfffd
	v_add_co_ci_u32_e64 v92, null, v85, v19, vcc_lo
	global_load_b32 v3, v[89:90], off
	global_load_b32 v11, v[91:92], off
.LBB145_62:                             ;   in Loop: Header=BB145_53 Depth=1
	s_wait_alu 0xfffe
	s_or_b32 exec_lo, exec_lo, s2
	v_add_co_u32 v89, vcc_lo, v48, 2
	s_wait_alu 0xfffd
	v_add_co_ci_u32_e64 v90, null, 0, v49, vcc_lo
	s_mov_b32 s2, exec_lo
	v_cmpx_gt_i64_e64 s[4:5], v[89:90]
	s_cbranch_execz .LBB145_64
; %bb.63:                               ;   in Loop: Header=BB145_53 Depth=1
	v_add_co_u32 v89, vcc_lo, v78, v18
	s_wait_alu 0xfffd
	v_add_co_ci_u32_e64 v90, null, v79, v19, vcc_lo
	v_add_co_u32 v91, vcc_lo, v80, v18
	s_wait_alu 0xfffd
	v_add_co_ci_u32_e64 v92, null, v81, v19, vcc_lo
	global_load_b32 v4, v[89:90], off
	global_load_b32 v12, v[91:92], off
.LBB145_64:                             ;   in Loop: Header=BB145_53 Depth=1
	;; [unrolled: 18-line block ×7, first 2 shown]
	s_wait_alu 0xfffe
	s_or_b32 exec_lo, exec_lo, s2
	s_wait_loadcnt 0x0
	ds_bpermute_b32 v87, v1, v88
	ds_bpermute_b32 v89, v1, v88 offset:4
	ds_bpermute_b32 v90, v1, v88 offset:8
	v_dual_mul_f32 v2, v10, v2 :: v_dual_mul_f32 v3, v11, v3
	ds_bpermute_b32 v10, v1, v88 offset:12
	ds_bpermute_b32 v11, v1, v88 offset:16
	s_mov_b32 s2, 0
	s_wait_dscnt 0x4
	v_fma_f32 v87, v2, v87, v86
	v_mul_f32_e32 v2, v12, v4
	ds_bpermute_b32 v4, v1, v88 offset:20
	s_wait_dscnt 0x4
	v_fmac_f32_e32 v87, v3, v89
	v_mul_f32_e32 v3, v13, v5
	ds_bpermute_b32 v5, v1, v88 offset:24
	s_wait_dscnt 0x4
	v_fmac_f32_e32 v87, v2, v90
	v_mul_f32_e32 v2, v14, v6
	v_mul_f32_e32 v6, v15, v7
	s_wait_dscnt 0x3
	s_delay_alu instid0(VALU_DEP_3) | instskip(SKIP_4) | instid1(VALU_DEP_1)
	v_fmac_f32_e32 v87, v3, v10
	ds_bpermute_b32 v3, v1, v88 offset:28
	s_wait_dscnt 0x3
	v_dual_fmac_f32 v87, v2, v11 :: v_dual_mul_f32 v2, v16, v8
	s_wait_dscnt 0x2
	v_fmac_f32_e32 v87, v6, v4
	s_wait_dscnt 0x1
	s_delay_alu instid0(VALU_DEP_1) | instskip(SKIP_2) | instid1(VALU_DEP_1)
	v_fmac_f32_e32 v87, v2, v5
	v_mul_f32_e32 v2, v17, v9
	s_wait_dscnt 0x0
	v_fmac_f32_e32 v87, v2, v3
.LBB145_75:                             ;   in Loop: Header=BB145_53 Depth=1
	s_wait_alu 0xfffe
	s_and_b32 vcc_lo, exec_lo, s2
	s_wait_alu 0xfffe
	s_cbranch_vccz .LBB145_81
; %bb.76:                               ;   in Loop: Header=BB145_53 Depth=1
	s_load_b32 s2, s[18:19], 0x0
	v_mov_b32_e32 v4, 0
	s_wait_kmcnt 0x0
	s_cmp_lt_u32 ttmp9, s2
	s_cselect_b32 s2, 12, 18
	s_wait_alu 0xfffe
	s_add_nc_u64 s[24:25], s[18:19], s[2:3]
	s_load_u16 s2, s[24:25], 0x0
	s_wait_kmcnt 0x0
	v_mad_u32_u24 v2, v50, s2, v52
	s_mov_b32 s2, exec_lo
	s_delay_alu instid0(VALU_DEP_1) | instskip(NEXT) | instid1(VALU_DEP_1)
	v_and_b32_e32 v2, 31, v2
	v_cmpx_gt_u32_e32 8, v2
	s_cbranch_execz .LBB145_80
; %bb.77:                               ;   in Loop: Header=BB145_53 Depth=1
	v_add_co_u32 v2, vcc_lo, v48, v2
	s_wait_alu 0xfffd
	v_add_co_ci_u32_e64 v3, null, 0, v49, vcc_lo
	v_mov_b32_e32 v4, 0
	s_mov_b32 s24, exec_lo
	s_delay_alu instid0(VALU_DEP_2)
	v_cmpx_gt_i64_e64 s[4:5], v[2:3]
	s_cbranch_execz .LBB145_79
; %bb.78:                               ;   in Loop: Header=BB145_53 Depth=1
	v_lshlrev_b64_e32 v[2:3], 2, v[2:3]
	s_delay_alu instid0(VALU_DEP_1) | instskip(SKIP_1) | instid1(VALU_DEP_2)
	v_add_co_u32 v2, vcc_lo, s12, v2
	s_wait_alu 0xfffd
	v_add_co_ci_u32_e64 v3, null, s13, v3, vcc_lo
	global_load_b32 v4, v[2:3], off
.LBB145_79:                             ;   in Loop: Header=BB145_53 Depth=1
	s_wait_alu 0xfffe
	s_or_b32 exec_lo, exec_lo, s24
.LBB145_80:                             ;   in Loop: Header=BB145_53 Depth=1
	s_wait_alu 0xfffe
	s_or_b32 exec_lo, exec_lo, s2
	v_add_co_u32 v2, vcc_lo, v54, v18
	s_wait_alu 0xfffd
	v_add_co_ci_u32_e64 v3, null, v55, v19, vcc_lo
	v_add_co_u32 v5, vcc_lo, v56, v18
	s_wait_alu 0xfffd
	v_add_co_ci_u32_e64 v6, null, v57, v19, vcc_lo
	;; [unrolled: 3-line block ×4, first 2 shown]
	global_load_b32 v13, v[2:3], off
	global_load_b32 v14, v[5:6], off
	;; [unrolled: 1-line block ×4, first 2 shown]
	v_add_co_u32 v2, vcc_lo, v22, v18
	s_wait_alu 0xfffd
	v_add_co_ci_u32_e64 v3, null, v23, v19, vcc_lo
	v_add_co_u32 v5, vcc_lo, v36, v18
	s_wait_alu 0xfffd
	v_add_co_ci_u32_e64 v6, null, v37, v19, vcc_lo
	;; [unrolled: 3-line block ×5, first 2 shown]
	global_load_b32 v17, v[2:3], off
	global_load_b32 v48, v[5:6], off
	;; [unrolled: 1-line block ×5, first 2 shown]
	v_add_co_u32 v2, vcc_lo, v40, v18
	s_wait_alu 0xfffd
	v_add_co_ci_u32_e64 v3, null, v41, v19, vcc_lo
	v_add_co_u32 v5, vcc_lo, v28, v18
	s_wait_alu 0xfffd
	v_add_co_ci_u32_e64 v6, null, v29, v19, vcc_lo
	;; [unrolled: 3-line block ×5, first 2 shown]
	global_load_b32 v89, v[2:3], off
	global_load_b32 v90, v[5:6], off
	;; [unrolled: 1-line block ×5, first 2 shown]
	v_add_co_u32 v2, vcc_lo, v32, v18
	s_wait_alu 0xfffd
	v_add_co_ci_u32_e64 v3, null, v33, v19, vcc_lo
	v_add_co_u32 v5, vcc_lo, v46, v18
	s_wait_alu 0xfffd
	v_add_co_ci_u32_e64 v6, null, v47, v19, vcc_lo
	global_load_b32 v2, v[2:3], off
	global_load_b32 v3, v[5:6], off
	s_wait_loadcnt 0x10
	ds_bpermute_b32 v5, v1, v4
	ds_bpermute_b32 v6, v1, v4 offset:4
	ds_bpermute_b32 v10, v1, v4 offset:8
	;; [unrolled: 1-line block ×3, first 2 shown]
	s_wait_loadcnt 0xe
	v_mul_f32_e32 v12, v13, v14
	ds_bpermute_b32 v13, v1, v4 offset:16
	s_wait_loadcnt 0x4
	v_dual_mul_f32 v14, v15, v16 :: v_dual_mul_f32 v7, v90, v7
	s_wait_dscnt 0x4
	v_fmac_f32_e32 v86, v12, v5
	ds_bpermute_b32 v5, v1, v4 offset:20
	v_mul_f32_e32 v12, v17, v48
	s_wait_loadcnt 0x2
	v_mul_f32_e32 v8, v8, v9
	s_wait_dscnt 0x4
	v_fmac_f32_e32 v86, v14, v6
	ds_bpermute_b32 v6, v1, v4 offset:24
	v_mul_f32_e32 v14, v49, v87
	ds_bpermute_b32 v4, v1, v4 offset:28
	s_wait_dscnt 0x5
	v_fmac_f32_e32 v86, v12, v10
	v_mul_f32_e32 v10, v88, v89
	s_wait_loadcnt 0x0
	v_mul_f32_e32 v2, v2, v3
	s_wait_dscnt 0x4
	v_fmac_f32_e32 v86, v14, v11
	s_wait_dscnt 0x3
	s_delay_alu instid0(VALU_DEP_1) | instskip(SKIP_1) | instid1(VALU_DEP_1)
	v_fmac_f32_e32 v86, v10, v13
	s_wait_dscnt 0x2
	v_fmac_f32_e32 v86, v7, v5
	s_wait_dscnt 0x1
	s_delay_alu instid0(VALU_DEP_1) | instskip(SKIP_1) | instid1(VALU_DEP_1)
	v_fmac_f32_e32 v86, v8, v6
	s_wait_dscnt 0x0
	v_fmac_f32_e32 v86, v2, v4
	s_delay_alu instid0(VALU_DEP_1)
	v_mov_b32_e32 v87, v86
.LBB145_81:                             ;   in Loop: Header=BB145_53 Depth=1
	v_add_co_u32 v54, vcc_lo, v54, s8
	s_wait_alu 0xfffd
	v_add_co_ci_u32_e64 v55, null, s9, v55, vcc_lo
	v_add_co_u32 v56, vcc_lo, v56, s8
	s_wait_alu 0xfffd
	v_add_co_ci_u32_e64 v57, null, s9, v57, vcc_lo
	;; [unrolled: 3-line block ×28, first 2 shown]
	v_add_co_u32 v80, vcc_lo, v80, s8
	s_add_nc_u64 s[22:23], s[22:23], s[20:21]
	s_wait_alu 0xfffd
	v_add_co_ci_u32_e64 v81, null, s9, v81, vcc_lo
	v_add_co_u32 v82, vcc_lo, v82, s8
	s_wait_alu 0xfffe
	v_cmp_ge_i64_e64 s2, s[22:23], s[4:5]
	s_wait_alu 0xfffd
	v_add_co_ci_u32_e64 v83, null, s9, v83, vcc_lo
	v_add_co_u32 v84, vcc_lo, v84, s8
	s_wait_alu 0xfffd
	v_add_co_ci_u32_e64 v85, null, s9, v85, vcc_lo
	s_and_b32 vcc_lo, exec_lo, s2
	s_add_nc_u64 s[10:11], s[10:11], s[20:21]
	s_wait_alu 0xfffe
	s_cbranch_vccnz .LBB145_83
; %bb.82:                               ;   in Loop: Header=BB145_53 Depth=1
	v_mov_b32_e32 v86, v87
	s_branch .LBB145_53
.LBB145_83:
	s_mov_b32 s2, ttmp9
	s_mov_b32 s3, 0
	s_wait_alu 0xfffe
	s_lshl_b64 s[2:3], s[2:3], 6
	s_wait_kmcnt 0x0
	s_cmp_lg_u64 s[16:17], 0
	s_wait_alu 0xfffe
	v_and_or_b32 v1, 0x3ff, v0, s2
	v_mov_b32_e32 v2, s3
	s_cselect_b32 s2, -1, 0
	s_delay_alu instid0(VALU_DEP_1)
	v_cmp_gt_i64_e32 vcc_lo, s[6:7], v[1:2]
	s_wait_alu 0xfffe
	s_and_b32 s2, vcc_lo, s2
	s_wait_alu 0xfffe
	s_and_saveexec_b32 s3, s2
	s_cbranch_execz .LBB145_85
; %bb.84:
	s_load_u16 s0, s[0:1], 0x4e
	v_bfe_u32 v3, v0, 10, 10
	v_mov_b32_e32 v4, 0
	s_wait_kmcnt 0x0
	s_delay_alu instid0(VALU_DEP_1) | instskip(NEXT) | instid1(VALU_DEP_1)
	v_mad_co_u64_u32 v[3:4], null, s0, ttmp7, v[3:4]
	v_mul_lo_u32 v0, v4, s6
	s_delay_alu instid0(VALU_DEP_2) | instskip(SKIP_1) | instid1(VALU_DEP_1)
	v_mul_lo_u32 v5, v3, s7
	v_mad_co_u64_u32 v[3:4], null, v3, s6, 0
	v_add3_u32 v4, v4, v5, v0
	v_lshlrev_b64_e32 v[0:1], 2, v[1:2]
	s_delay_alu instid0(VALU_DEP_2) | instskip(NEXT) | instid1(VALU_DEP_1)
	v_lshlrev_b64_e32 v[3:4], 2, v[3:4]
	v_add_co_u32 v2, vcc_lo, s16, v3
	s_wait_alu 0xfffd
	s_delay_alu instid0(VALU_DEP_2) | instskip(NEXT) | instid1(VALU_DEP_2)
	v_add_co_ci_u32_e64 v3, null, s17, v4, vcc_lo
	v_add_co_u32 v0, vcc_lo, v2, v0
	s_wait_alu 0xfffd
	s_delay_alu instid0(VALU_DEP_2)
	v_add_co_ci_u32_e64 v1, null, v3, v1, vcc_lo
	global_store_b32 v[0:1], v87, off
.LBB145_85:
	s_endpgm
	.section	.rodata,"a",@progbits
	.p2align	6, 0x0
	.amdhsa_kernel _ZN2at6native12_GLOBAL__N_135GammaBetaBackwardCUDAKernelTemplateIffLj64ELj1ELj8ELb1ELb0ELb1EEEvllPKT_S5_PKT0_S8_PS3_S9_
		.amdhsa_group_segment_fixed_size 0
		.amdhsa_private_segment_fixed_size 0
		.amdhsa_kernarg_size 320
		.amdhsa_user_sgpr_count 2
		.amdhsa_user_sgpr_dispatch_ptr 0
		.amdhsa_user_sgpr_queue_ptr 0
		.amdhsa_user_sgpr_kernarg_segment_ptr 1
		.amdhsa_user_sgpr_dispatch_id 0
		.amdhsa_user_sgpr_private_segment_size 0
		.amdhsa_wavefront_size32 1
		.amdhsa_uses_dynamic_stack 0
		.amdhsa_enable_private_segment 0
		.amdhsa_system_sgpr_workgroup_id_x 1
		.amdhsa_system_sgpr_workgroup_id_y 1
		.amdhsa_system_sgpr_workgroup_id_z 0
		.amdhsa_system_sgpr_workgroup_info 0
		.amdhsa_system_vgpr_workitem_id 1
		.amdhsa_next_free_vgpr 93
		.amdhsa_next_free_sgpr 32
		.amdhsa_reserve_vcc 1
		.amdhsa_float_round_mode_32 0
		.amdhsa_float_round_mode_16_64 0
		.amdhsa_float_denorm_mode_32 3
		.amdhsa_float_denorm_mode_16_64 3
		.amdhsa_fp16_overflow 0
		.amdhsa_workgroup_processor_mode 1
		.amdhsa_memory_ordered 1
		.amdhsa_forward_progress 1
		.amdhsa_inst_pref_size 68
		.amdhsa_round_robin_scheduling 0
		.amdhsa_exception_fp_ieee_invalid_op 0
		.amdhsa_exception_fp_denorm_src 0
		.amdhsa_exception_fp_ieee_div_zero 0
		.amdhsa_exception_fp_ieee_overflow 0
		.amdhsa_exception_fp_ieee_underflow 0
		.amdhsa_exception_fp_ieee_inexact 0
		.amdhsa_exception_int_div_zero 0
	.end_amdhsa_kernel
	.section	.text._ZN2at6native12_GLOBAL__N_135GammaBetaBackwardCUDAKernelTemplateIffLj64ELj1ELj8ELb1ELb0ELb1EEEvllPKT_S5_PKT0_S8_PS3_S9_,"axG",@progbits,_ZN2at6native12_GLOBAL__N_135GammaBetaBackwardCUDAKernelTemplateIffLj64ELj1ELj8ELb1ELb0ELb1EEEvllPKT_S5_PKT0_S8_PS3_S9_,comdat
.Lfunc_end145:
	.size	_ZN2at6native12_GLOBAL__N_135GammaBetaBackwardCUDAKernelTemplateIffLj64ELj1ELj8ELb1ELb0ELb1EEEvllPKT_S5_PKT0_S8_PS3_S9_, .Lfunc_end145-_ZN2at6native12_GLOBAL__N_135GammaBetaBackwardCUDAKernelTemplateIffLj64ELj1ELj8ELb1ELb0ELb1EEEvllPKT_S5_PKT0_S8_PS3_S9_
                                        ; -- End function
	.set _ZN2at6native12_GLOBAL__N_135GammaBetaBackwardCUDAKernelTemplateIffLj64ELj1ELj8ELb1ELb0ELb1EEEvllPKT_S5_PKT0_S8_PS3_S9_.num_vgpr, 93
	.set _ZN2at6native12_GLOBAL__N_135GammaBetaBackwardCUDAKernelTemplateIffLj64ELj1ELj8ELb1ELb0ELb1EEEvllPKT_S5_PKT0_S8_PS3_S9_.num_agpr, 0
	.set _ZN2at6native12_GLOBAL__N_135GammaBetaBackwardCUDAKernelTemplateIffLj64ELj1ELj8ELb1ELb0ELb1EEEvllPKT_S5_PKT0_S8_PS3_S9_.numbered_sgpr, 32
	.set _ZN2at6native12_GLOBAL__N_135GammaBetaBackwardCUDAKernelTemplateIffLj64ELj1ELj8ELb1ELb0ELb1EEEvllPKT_S5_PKT0_S8_PS3_S9_.num_named_barrier, 0
	.set _ZN2at6native12_GLOBAL__N_135GammaBetaBackwardCUDAKernelTemplateIffLj64ELj1ELj8ELb1ELb0ELb1EEEvllPKT_S5_PKT0_S8_PS3_S9_.private_seg_size, 0
	.set _ZN2at6native12_GLOBAL__N_135GammaBetaBackwardCUDAKernelTemplateIffLj64ELj1ELj8ELb1ELb0ELb1EEEvllPKT_S5_PKT0_S8_PS3_S9_.uses_vcc, 1
	.set _ZN2at6native12_GLOBAL__N_135GammaBetaBackwardCUDAKernelTemplateIffLj64ELj1ELj8ELb1ELb0ELb1EEEvllPKT_S5_PKT0_S8_PS3_S9_.uses_flat_scratch, 0
	.set _ZN2at6native12_GLOBAL__N_135GammaBetaBackwardCUDAKernelTemplateIffLj64ELj1ELj8ELb1ELb0ELb1EEEvllPKT_S5_PKT0_S8_PS3_S9_.has_dyn_sized_stack, 0
	.set _ZN2at6native12_GLOBAL__N_135GammaBetaBackwardCUDAKernelTemplateIffLj64ELj1ELj8ELb1ELb0ELb1EEEvllPKT_S5_PKT0_S8_PS3_S9_.has_recursion, 0
	.set _ZN2at6native12_GLOBAL__N_135GammaBetaBackwardCUDAKernelTemplateIffLj64ELj1ELj8ELb1ELb0ELb1EEEvllPKT_S5_PKT0_S8_PS3_S9_.has_indirect_call, 0
	.section	.AMDGPU.csdata,"",@progbits
; Kernel info:
; codeLenInByte = 8592
; TotalNumSgprs: 34
; NumVgprs: 93
; ScratchSize: 0
; MemoryBound: 0
; FloatMode: 240
; IeeeMode: 1
; LDSByteSize: 0 bytes/workgroup (compile time only)
; SGPRBlocks: 0
; VGPRBlocks: 11
; NumSGPRsForWavesPerEU: 34
; NumVGPRsForWavesPerEU: 93
; Occupancy: 16
; WaveLimiterHint : 0
; COMPUTE_PGM_RSRC2:SCRATCH_EN: 0
; COMPUTE_PGM_RSRC2:USER_SGPR: 2
; COMPUTE_PGM_RSRC2:TRAP_HANDLER: 0
; COMPUTE_PGM_RSRC2:TGID_X_EN: 1
; COMPUTE_PGM_RSRC2:TGID_Y_EN: 1
; COMPUTE_PGM_RSRC2:TGID_Z_EN: 0
; COMPUTE_PGM_RSRC2:TIDIG_COMP_CNT: 1
	.section	.text._ZN2at6native12_GLOBAL__N_135GammaBetaBackwardCUDAKernelTemplateIffLj64ELj8ELj64ELb0ELb1ELb1EEEvllPKT_S5_PKT0_S8_PS3_S9_,"axG",@progbits,_ZN2at6native12_GLOBAL__N_135GammaBetaBackwardCUDAKernelTemplateIffLj64ELj8ELj64ELb0ELb1ELb1EEEvllPKT_S5_PKT0_S8_PS3_S9_,comdat
	.globl	_ZN2at6native12_GLOBAL__N_135GammaBetaBackwardCUDAKernelTemplateIffLj64ELj8ELj64ELb0ELb1ELb1EEEvllPKT_S5_PKT0_S8_PS3_S9_ ; -- Begin function _ZN2at6native12_GLOBAL__N_135GammaBetaBackwardCUDAKernelTemplateIffLj64ELj8ELj64ELb0ELb1ELb1EEEvllPKT_S5_PKT0_S8_PS3_S9_
	.p2align	8
	.type	_ZN2at6native12_GLOBAL__N_135GammaBetaBackwardCUDAKernelTemplateIffLj64ELj8ELj64ELb0ELb1ELb1EEEvllPKT_S5_PKT0_S8_PS3_S9_,@function
_ZN2at6native12_GLOBAL__N_135GammaBetaBackwardCUDAKernelTemplateIffLj64ELj8ELj64ELb0ELb1ELb1EEEvllPKT_S5_PKT0_S8_PS3_S9_: ; @_ZN2at6native12_GLOBAL__N_135GammaBetaBackwardCUDAKernelTemplateIffLj64ELj8ELj64ELb0ELb1ELb1EEEvllPKT_S5_PKT0_S8_PS3_S9_
; %bb.0:
	s_load_b128 s[4:7], s[0:1], 0x0
	s_lshl_b32 s12, ttmp7, 6
	s_mov_b32 s13, 0
	v_bfe_u32 v7, v0, 10, 10
	s_wait_kmcnt 0x0
	v_cmp_gt_i64_e64 s2, s[4:5], s[12:13]
	s_and_b32 vcc_lo, exec_lo, s2
	s_cbranch_vccnz .LBB146_2
; %bb.1:
	v_bfe_u32 v1, v0, 10, 10
	s_mov_b32 s2, s13
	v_and_b32_e32 v6, 0x3ff, v0
	v_mov_b32_e32 v0, 0
	s_and_not1_b32 vcc_lo, exec_lo, s2
	s_cbranch_vccz .LBB146_3
	s_branch .LBB146_10
.LBB146_2:
                                        ; implicit-def: $vgpr1
	v_and_b32_e32 v6, 0x3ff, v0
	v_mov_b32_e32 v0, 0
.LBB146_3:
	s_load_b32 s2, s[0:1], 0x4c
	v_dual_mov_b32 v1, 0 :: v_dual_lshlrev_b32 v0, 3, v7
	s_clause 0x2
	s_load_b32 s3, s[0:1], 0x44
	s_load_b128 s[8:11], s[0:1], 0x10
	s_load_b64 s[16:17], s[0:1], 0x28
	s_mov_b32 s15, 0
	v_dual_mov_b32 v8, 8 :: v_dual_mov_b32 v9, 4
	v_add_co_u32 v2, s14, v0, s12
	s_delay_alu instid0(VALU_DEP_1) | instskip(SKIP_1) | instid1(VALU_DEP_3)
	v_add_co_ci_u32_e64 v3, null, 0, 0, s14
	v_lshl_add_u32 v0, ttmp9, 6, v6
	v_mul_lo_u32 v13, s7, v2
	v_mad_co_u64_u32 v[4:5], null, s6, v2, 0
	s_delay_alu instid0(VALU_DEP_4) | instskip(NEXT) | instid1(VALU_DEP_4)
	v_mul_lo_u32 v14, s6, v3
	v_lshlrev_b64_e32 v[15:16], 2, v[0:1]
	v_dual_mov_b32 v10, 12 :: v_dual_mov_b32 v11, 16
	v_mov_b32_e32 v0, 0
	s_wait_kmcnt 0x0
	s_and_b32 s2, s2, 0xffff
	s_lshl_b32 s14, s3, 6
	v_mad_u32_u24 v12, v7, s2, v6
	v_add3_u32 v5, v5, v14, v13
	v_dual_mov_b32 v13, 24 :: v_dual_mov_b32 v14, 28
	s_wait_alu 0xfffe
	s_mul_u64 s[18:19], s[6:7], s[14:15]
	v_dual_mov_b32 v12, 20 :: v_dual_and_b32 v19, 31, v12
	v_lshlrev_b64_e32 v[4:5], 2, v[4:5]
	s_lshl_b64 s[18:19], s[18:19], 2
	s_lshl_b64 s[6:7], s[6:7], 2
	s_delay_alu instid0(VALU_DEP_2) | instskip(NEXT) | instid1(VALU_DEP_1)
	v_add_co_u32 v2, vcc_lo, v2, v19
	v_add_co_ci_u32_e64 v3, null, 0, v3, vcc_lo
	s_delay_alu instid0(VALU_DEP_3) | instskip(SKIP_2) | instid1(VALU_DEP_3)
	v_add_co_u32 v15, vcc_lo, v4, v15
	s_wait_alu 0xfffd
	v_add_co_ci_u32_e64 v16, null, v5, v16, vcc_lo
	v_lshlrev_b64_e32 v[17:18], 2, v[2:3]
	v_cmp_gt_u32_e64 s2, 8, v19
	s_delay_alu instid0(VALU_DEP_2) | instskip(SKIP_1) | instid1(VALU_DEP_3)
	v_add_co_u32 v4, vcc_lo, s16, v17
	s_wait_alu 0xfffd
	v_add_co_ci_u32_e64 v5, null, s17, v18, vcc_lo
	s_lshl_b64 s[16:17], s[14:15], 2
	s_branch .LBB146_6
.LBB146_4:                              ;   in Loop: Header=BB146_6 Depth=1
	s_or_b32 exec_lo, exec_lo, s20
.LBB146_5:                              ;   in Loop: Header=BB146_6 Depth=1
	s_wait_alu 0xfffe
	s_or_b32 exec_lo, exec_lo, s3
	v_add_co_u32 v18, vcc_lo, s8, v15
	s_wait_alu 0xfffd
	v_add_co_ci_u32_e64 v19, null, s9, v16, vcc_lo
	v_add_co_u32 v20, vcc_lo, s10, v15
	s_wait_alu 0xfffd
	v_add_co_ci_u32_e64 v21, null, s11, v16, vcc_lo
	;; [unrolled: 3-line block ×5, first 2 shown]
	global_load_b32 v28, v[18:19], off
	global_load_b32 v29, v[20:21], off
	;; [unrolled: 1-line block ×5, first 2 shown]
	v_add_co_u32 v18, vcc_lo, v24, s6
	s_wait_alu 0xfffd
	v_add_co_ci_u32_e64 v19, null, s7, v25, vcc_lo
	v_add_co_u32 v20, vcc_lo, v26, s6
	s_wait_alu 0xfffd
	v_add_co_ci_u32_e64 v21, null, s7, v27, vcc_lo
	;; [unrolled: 3-line block ×5, first 2 shown]
	global_load_b32 v33, v[18:19], off
	global_load_b32 v34, v[20:21], off
	;; [unrolled: 1-line block ×5, first 2 shown]
	v_add_co_u32 v18, vcc_lo, v24, s6
	s_wait_alu 0xfffd
	v_add_co_ci_u32_e64 v19, null, s7, v25, vcc_lo
	v_add_co_u32 v20, vcc_lo, v26, s6
	s_wait_alu 0xfffd
	v_add_co_ci_u32_e64 v21, null, s7, v27, vcc_lo
	;; [unrolled: 3-line block ×4, first 2 shown]
	global_load_b32 v26, v[18:19], off
	global_load_b32 v27, v[20:21], off
	global_load_b32 v38, v[22:23], off
	global_load_b32 v39, v[24:25], off
	v_add_co_u32 v18, vcc_lo, v22, s6
	s_wait_alu 0xfffd
	v_add_co_ci_u32_e64 v19, null, s7, v23, vcc_lo
	v_add_co_u32 v20, vcc_lo, v24, s6
	s_wait_alu 0xfffd
	v_add_co_ci_u32_e64 v21, null, s7, v25, vcc_lo
	global_load_b32 v18, v[18:19], off
	global_load_b32 v19, v[20:21], off
	s_wait_loadcnt 0x10
	ds_bpermute_b32 v20, v1, v17
	ds_bpermute_b32 v21, v9, v17
	;; [unrolled: 1-line block ×4, first 2 shown]
	v_add_co_u32 v4, vcc_lo, v4, s16
	s_add_nc_u64 s[12:13], s[12:13], s[14:15]
	s_wait_alu 0xfffd
	v_add_co_ci_u32_e64 v5, null, s17, v5, vcc_lo
	v_add_co_u32 v2, vcc_lo, v2, s14
	s_wait_alu 0xfffe
	v_cmp_lt_i64_e64 s3, s[12:13], s[4:5]
	s_wait_alu 0xfffd
	v_add_co_ci_u32_e64 v3, null, 0, v3, vcc_lo
	v_add_co_u32 v15, vcc_lo, v15, s18
	s_wait_alu 0xfffd
	v_add_co_ci_u32_e64 v16, null, s19, v16, vcc_lo
	s_and_b32 vcc_lo, exec_lo, s3
	s_wait_loadcnt 0xe
	v_mul_f32_e32 v23, v28, v29
	s_wait_dscnt 0x3
	s_delay_alu instid0(VALU_DEP_1)
	v_fmac_f32_e32 v0, v23, v20
	s_wait_loadcnt 0xc
	v_mul_f32_e32 v20, v30, v31
	ds_bpermute_b32 v23, v11, v17
	s_wait_dscnt 0x3
	v_fmac_f32_e32 v0, v20, v21
	ds_bpermute_b32 v21, v12, v17
	s_wait_loadcnt 0xa
	v_mul_f32_e32 v20, v32, v33
	s_wait_dscnt 0x3
	s_delay_alu instid0(VALU_DEP_1)
	v_fmac_f32_e32 v0, v20, v22
	s_wait_loadcnt 0x8
	v_mul_f32_e32 v20, v34, v35
	ds_bpermute_b32 v22, v13, v17
	ds_bpermute_b32 v17, v14, v17
	s_wait_dscnt 0x4
	v_fmac_f32_e32 v0, v20, v24
	s_wait_loadcnt 0x6
	v_mul_f32_e32 v20, v36, v37
	s_wait_dscnt 0x3
	s_delay_alu instid0(VALU_DEP_1) | instskip(SKIP_3) | instid1(VALU_DEP_1)
	v_fmac_f32_e32 v0, v20, v23
	s_wait_loadcnt 0x4
	v_mul_f32_e32 v20, v26, v27
	s_wait_dscnt 0x2
	v_fmac_f32_e32 v0, v20, v21
	s_wait_loadcnt 0x2
	v_mul_f32_e32 v20, v38, v39
	s_wait_dscnt 0x1
	s_delay_alu instid0(VALU_DEP_1) | instskip(SKIP_3) | instid1(VALU_DEP_1)
	v_fmac_f32_e32 v0, v20, v22
	s_wait_loadcnt 0x0
	v_mul_f32_e32 v18, v18, v19
	s_wait_dscnt 0x0
	v_fmac_f32_e32 v0, v18, v17
	s_wait_alu 0xfffe
	s_cbranch_vccz .LBB146_9
.LBB146_6:                              ; =>This Inner Loop Header: Depth=1
	v_mov_b32_e32 v17, 0
	s_and_saveexec_b32 s3, s2
	s_cbranch_execz .LBB146_5
; %bb.7:                                ;   in Loop: Header=BB146_6 Depth=1
	v_mov_b32_e32 v17, 0
	s_mov_b32 s20, exec_lo
	v_cmpx_gt_i64_e64 s[4:5], v[2:3]
	s_cbranch_execz .LBB146_4
; %bb.8:                                ;   in Loop: Header=BB146_6 Depth=1
	global_load_b32 v17, v[4:5], off
	s_branch .LBB146_4
.LBB146_9:
	v_mov_b32_e32 v1, v7
.LBB146_10:
	s_load_b64 s[2:3], s[0:1], 0x30
	s_delay_alu instid0(VALU_DEP_1) | instskip(SKIP_2) | instid1(VALU_DEP_2)
	v_mad_u32_u24 v2, 0x41, v1, v6
	v_mov_b32_e32 v4, 0
	s_mov_b32 s0, exec_lo
	v_lshl_add_u32 v3, v2, 2, 0
	v_sub_nc_u32_e32 v1, v2, v1
	ds_store_b32 v3, v0
	ds_store_b32 v3, v4 offset:2080
	s_wait_dscnt 0x0
	s_barrier_signal -1
	s_barrier_wait -1
	global_inv scope:SCOPE_SE
	v_cmpx_gt_u32_e32 0x800, v1
	s_cbranch_execz .LBB146_30
; %bb.11:
	v_and_b32_e32 v0, 31, v6
	v_lshrrev_b32_e32 v3, 5, v1
                                        ; implicit-def: $vgpr5
	s_delay_alu instid0(VALU_DEP_2) | instskip(SKIP_1) | instid1(VALU_DEP_3)
	v_cmp_gt_u32_e32 vcc_lo, 8, v0
	v_mul_u32_u24_e32 v2, 0x41, v0
	v_lshlrev_b32_e32 v0, 2, v3
	s_and_saveexec_b32 s0, vcc_lo
; %bb.12:
	s_delay_alu instid0(VALU_DEP_2) | instskip(NEXT) | instid1(VALU_DEP_1)
	v_lshlrev_b32_e32 v3, 2, v2
	v_add3_u32 v3, 0, v0, v3
	ds_load_b32 v5, v3
; %bb.13:
	s_wait_alu 0xfffe
	s_or_b32 exec_lo, exec_lo, s0
	v_mbcnt_lo_u32_b32 v7, -1, 0
	s_mov_b32 s4, ttmp9
	s_wait_kmcnt 0x0
	s_cmp_lg_u64 s[2:3], 0
	s_mov_b32 s5, 0
	s_cselect_b32 s1, -1, 0
	v_xor_b32_e32 v3, 4, v7
	v_xor_b32_e32 v4, 2, v7
	;; [unrolled: 1-line block ×3, first 2 shown]
	s_wait_alu 0xfffe
	s_lshl_b64 s[4:5], s[4:5], 8
	s_wait_alu 0xfffe
	s_add_nc_u64 s[2:3], s[2:3], s[4:5]
	v_cmp_gt_i32_e64 s0, 32, v3
	s_wait_alu 0xf1ff
	s_delay_alu instid0(VALU_DEP_1) | instskip(SKIP_1) | instid1(VALU_DEP_2)
	v_cndmask_b32_e64 v3, v7, v3, s0
	v_cmp_gt_i32_e64 s0, 32, v4
	v_lshlrev_b32_e32 v3, 2, v3
	s_wait_alu 0xf1ff
	s_delay_alu instid0(VALU_DEP_2)
	v_cndmask_b32_e64 v4, v7, v4, s0
	v_cmp_gt_i32_e64 s0, 32, v9
	s_wait_dscnt 0x0
	ds_bpermute_b32 v8, v3, v5
	v_lshlrev_b32_e32 v4, 2, v4
	s_wait_alu 0xf1ff
	v_cndmask_b32_e64 v7, v7, v9, s0
	v_cmp_eq_u32_e64 s0, 0, v6
	s_and_b32 s1, s0, s1
	s_wait_dscnt 0x0
	v_add_f32_e32 v5, v5, v8
	ds_bpermute_b32 v8, v4, v5
	s_wait_dscnt 0x0
	v_dual_add_f32 v8, v5, v8 :: v_dual_lshlrev_b32 v5, 2, v7
	ds_bpermute_b32 v7, v5, v8
	s_wait_dscnt 0x0
	v_add_f32_e32 v6, v8, v7
	s_wait_alu 0xfffe
	s_and_saveexec_b32 s0, s1
	s_cbranch_execz .LBB146_15
; %bb.14:
	global_store_b32 v0, v6, s[2:3]
.LBB146_15:
	s_wait_alu 0xfffe
	s_or_b32 exec_lo, exec_lo, s0
	v_cmp_gt_u32_e64 s0, 0x600, v1
	s_and_b32 exec_lo, exec_lo, s0
	s_cbranch_execz .LBB146_30
; %bb.16:
	s_and_saveexec_b32 s0, vcc_lo
; %bb.17:
	v_lshlrev_b32_e32 v6, 2, v2
	s_delay_alu instid0(VALU_DEP_1)
	v_add3_u32 v6, 0, v0, v6
	ds_load_b32 v6, v6 offset:64
; %bb.18:
	s_wait_alu 0xfffe
	s_or_b32 exec_lo, exec_lo, s0
	s_wait_dscnt 0x0
	ds_bpermute_b32 v7, v3, v6
	s_wait_dscnt 0x0
	v_add_f32_e32 v6, v6, v7
	ds_bpermute_b32 v7, v4, v6
	s_wait_dscnt 0x0
	v_add_f32_e32 v6, v6, v7
	;; [unrolled: 3-line block ×3, first 2 shown]
	s_and_saveexec_b32 s0, s1
	s_cbranch_execz .LBB146_20
; %bb.19:
	global_store_b32 v0, v6, s[2:3] offset:64
.LBB146_20:
	s_wait_alu 0xfffe
	s_or_b32 exec_lo, exec_lo, s0
	v_cmp_gt_u32_e64 s0, 0x400, v1
	s_and_b32 exec_lo, exec_lo, s0
	s_cbranch_execz .LBB146_30
; %bb.21:
	s_and_saveexec_b32 s0, vcc_lo
; %bb.22:
	v_lshlrev_b32_e32 v6, 2, v2
	s_delay_alu instid0(VALU_DEP_1)
	v_add3_u32 v6, 0, v0, v6
	ds_load_b32 v6, v6 offset:128
; %bb.23:
	s_wait_alu 0xfffe
	s_or_b32 exec_lo, exec_lo, s0
	s_wait_dscnt 0x0
	ds_bpermute_b32 v7, v3, v6
	s_wait_dscnt 0x0
	v_add_f32_e32 v6, v6, v7
	ds_bpermute_b32 v7, v4, v6
	s_wait_dscnt 0x0
	v_add_f32_e32 v6, v6, v7
	;; [unrolled: 3-line block ×3, first 2 shown]
	s_and_saveexec_b32 s0, s1
	s_cbranch_execz .LBB146_25
; %bb.24:
	global_store_b32 v0, v6, s[2:3] offset:128
.LBB146_25:
	s_wait_alu 0xfffe
	s_or_b32 exec_lo, exec_lo, s0
	v_cmp_gt_u32_e64 s0, 0x200, v1
	s_and_b32 exec_lo, exec_lo, s0
	s_cbranch_execz .LBB146_30
; %bb.26:
	s_and_saveexec_b32 s0, vcc_lo
; %bb.27:
	v_lshlrev_b32_e32 v1, 2, v2
	s_delay_alu instid0(VALU_DEP_1)
	v_add3_u32 v1, 0, v0, v1
	ds_load_b32 v6, v1 offset:192
; %bb.28:
	s_wait_alu 0xfffe
	s_or_b32 exec_lo, exec_lo, s0
	s_wait_dscnt 0x0
	ds_bpermute_b32 v1, v3, v6
	s_wait_dscnt 0x0
	v_add_f32_e32 v1, v6, v1
	ds_bpermute_b32 v2, v4, v1
	s_wait_dscnt 0x0
	v_add_f32_e32 v1, v1, v2
	ds_bpermute_b32 v2, v5, v1
	s_and_saveexec_b32 s0, s1
	s_wait_alu 0xfffe
	s_xor_b32 s0, exec_lo, s0
	s_cbranch_execz .LBB146_30
; %bb.29:
	s_wait_dscnt 0x0
	v_add_f32_e32 v1, v1, v2
	global_store_b32 v0, v1, s[2:3] offset:192
.LBB146_30:
	s_endpgm
	.section	.rodata,"a",@progbits
	.p2align	6, 0x0
	.amdhsa_kernel _ZN2at6native12_GLOBAL__N_135GammaBetaBackwardCUDAKernelTemplateIffLj64ELj8ELj64ELb0ELb1ELb1EEEvllPKT_S5_PKT0_S8_PS3_S9_
		.amdhsa_group_segment_fixed_size 0
		.amdhsa_private_segment_fixed_size 0
		.amdhsa_kernarg_size 320
		.amdhsa_user_sgpr_count 2
		.amdhsa_user_sgpr_dispatch_ptr 0
		.amdhsa_user_sgpr_queue_ptr 0
		.amdhsa_user_sgpr_kernarg_segment_ptr 1
		.amdhsa_user_sgpr_dispatch_id 0
		.amdhsa_user_sgpr_private_segment_size 0
		.amdhsa_wavefront_size32 1
		.amdhsa_uses_dynamic_stack 0
		.amdhsa_enable_private_segment 0
		.amdhsa_system_sgpr_workgroup_id_x 1
		.amdhsa_system_sgpr_workgroup_id_y 1
		.amdhsa_system_sgpr_workgroup_id_z 0
		.amdhsa_system_sgpr_workgroup_info 0
		.amdhsa_system_vgpr_workitem_id 1
		.amdhsa_next_free_vgpr 40
		.amdhsa_next_free_sgpr 21
		.amdhsa_reserve_vcc 1
		.amdhsa_float_round_mode_32 0
		.amdhsa_float_round_mode_16_64 0
		.amdhsa_float_denorm_mode_32 3
		.amdhsa_float_denorm_mode_16_64 3
		.amdhsa_fp16_overflow 0
		.amdhsa_workgroup_processor_mode 1
		.amdhsa_memory_ordered 1
		.amdhsa_forward_progress 1
		.amdhsa_inst_pref_size 17
		.amdhsa_round_robin_scheduling 0
		.amdhsa_exception_fp_ieee_invalid_op 0
		.amdhsa_exception_fp_denorm_src 0
		.amdhsa_exception_fp_ieee_div_zero 0
		.amdhsa_exception_fp_ieee_overflow 0
		.amdhsa_exception_fp_ieee_underflow 0
		.amdhsa_exception_fp_ieee_inexact 0
		.amdhsa_exception_int_div_zero 0
	.end_amdhsa_kernel
	.section	.text._ZN2at6native12_GLOBAL__N_135GammaBetaBackwardCUDAKernelTemplateIffLj64ELj8ELj64ELb0ELb1ELb1EEEvllPKT_S5_PKT0_S8_PS3_S9_,"axG",@progbits,_ZN2at6native12_GLOBAL__N_135GammaBetaBackwardCUDAKernelTemplateIffLj64ELj8ELj64ELb0ELb1ELb1EEEvllPKT_S5_PKT0_S8_PS3_S9_,comdat
.Lfunc_end146:
	.size	_ZN2at6native12_GLOBAL__N_135GammaBetaBackwardCUDAKernelTemplateIffLj64ELj8ELj64ELb0ELb1ELb1EEEvllPKT_S5_PKT0_S8_PS3_S9_, .Lfunc_end146-_ZN2at6native12_GLOBAL__N_135GammaBetaBackwardCUDAKernelTemplateIffLj64ELj8ELj64ELb0ELb1ELb1EEEvllPKT_S5_PKT0_S8_PS3_S9_
                                        ; -- End function
	.set _ZN2at6native12_GLOBAL__N_135GammaBetaBackwardCUDAKernelTemplateIffLj64ELj8ELj64ELb0ELb1ELb1EEEvllPKT_S5_PKT0_S8_PS3_S9_.num_vgpr, 40
	.set _ZN2at6native12_GLOBAL__N_135GammaBetaBackwardCUDAKernelTemplateIffLj64ELj8ELj64ELb0ELb1ELb1EEEvllPKT_S5_PKT0_S8_PS3_S9_.num_agpr, 0
	.set _ZN2at6native12_GLOBAL__N_135GammaBetaBackwardCUDAKernelTemplateIffLj64ELj8ELj64ELb0ELb1ELb1EEEvllPKT_S5_PKT0_S8_PS3_S9_.numbered_sgpr, 21
	.set _ZN2at6native12_GLOBAL__N_135GammaBetaBackwardCUDAKernelTemplateIffLj64ELj8ELj64ELb0ELb1ELb1EEEvllPKT_S5_PKT0_S8_PS3_S9_.num_named_barrier, 0
	.set _ZN2at6native12_GLOBAL__N_135GammaBetaBackwardCUDAKernelTemplateIffLj64ELj8ELj64ELb0ELb1ELb1EEEvllPKT_S5_PKT0_S8_PS3_S9_.private_seg_size, 0
	.set _ZN2at6native12_GLOBAL__N_135GammaBetaBackwardCUDAKernelTemplateIffLj64ELj8ELj64ELb0ELb1ELb1EEEvllPKT_S5_PKT0_S8_PS3_S9_.uses_vcc, 1
	.set _ZN2at6native12_GLOBAL__N_135GammaBetaBackwardCUDAKernelTemplateIffLj64ELj8ELj64ELb0ELb1ELb1EEEvllPKT_S5_PKT0_S8_PS3_S9_.uses_flat_scratch, 0
	.set _ZN2at6native12_GLOBAL__N_135GammaBetaBackwardCUDAKernelTemplateIffLj64ELj8ELj64ELb0ELb1ELb1EEEvllPKT_S5_PKT0_S8_PS3_S9_.has_dyn_sized_stack, 0
	.set _ZN2at6native12_GLOBAL__N_135GammaBetaBackwardCUDAKernelTemplateIffLj64ELj8ELj64ELb0ELb1ELb1EEEvllPKT_S5_PKT0_S8_PS3_S9_.has_recursion, 0
	.set _ZN2at6native12_GLOBAL__N_135GammaBetaBackwardCUDAKernelTemplateIffLj64ELj8ELj64ELb0ELb1ELb1EEEvllPKT_S5_PKT0_S8_PS3_S9_.has_indirect_call, 0
	.section	.AMDGPU.csdata,"",@progbits
; Kernel info:
; codeLenInByte = 2056
; TotalNumSgprs: 23
; NumVgprs: 40
; ScratchSize: 0
; MemoryBound: 0
; FloatMode: 240
; IeeeMode: 1
; LDSByteSize: 0 bytes/workgroup (compile time only)
; SGPRBlocks: 0
; VGPRBlocks: 4
; NumSGPRsForWavesPerEU: 23
; NumVGPRsForWavesPerEU: 40
; Occupancy: 16
; WaveLimiterHint : 0
; COMPUTE_PGM_RSRC2:SCRATCH_EN: 0
; COMPUTE_PGM_RSRC2:USER_SGPR: 2
; COMPUTE_PGM_RSRC2:TRAP_HANDLER: 0
; COMPUTE_PGM_RSRC2:TGID_X_EN: 1
; COMPUTE_PGM_RSRC2:TGID_Y_EN: 1
; COMPUTE_PGM_RSRC2:TGID_Z_EN: 0
; COMPUTE_PGM_RSRC2:TIDIG_COMP_CNT: 1
	.section	.text._ZN2at6native12_GLOBAL__N_135GammaBetaBackwardCUDAKernelTemplateIffLj64ELj8ELj64ELb0ELb0ELb1EEEvllPKT_S5_PKT0_S8_PS3_S9_,"axG",@progbits,_ZN2at6native12_GLOBAL__N_135GammaBetaBackwardCUDAKernelTemplateIffLj64ELj8ELj64ELb0ELb0ELb1EEEvllPKT_S5_PKT0_S8_PS3_S9_,comdat
	.globl	_ZN2at6native12_GLOBAL__N_135GammaBetaBackwardCUDAKernelTemplateIffLj64ELj8ELj64ELb0ELb0ELb1EEEvllPKT_S5_PKT0_S8_PS3_S9_ ; -- Begin function _ZN2at6native12_GLOBAL__N_135GammaBetaBackwardCUDAKernelTemplateIffLj64ELj8ELj64ELb0ELb0ELb1EEEvllPKT_S5_PKT0_S8_PS3_S9_
	.p2align	8
	.type	_ZN2at6native12_GLOBAL__N_135GammaBetaBackwardCUDAKernelTemplateIffLj64ELj8ELj64ELb0ELb0ELb1EEEvllPKT_S5_PKT0_S8_PS3_S9_,@function
_ZN2at6native12_GLOBAL__N_135GammaBetaBackwardCUDAKernelTemplateIffLj64ELj8ELj64ELb0ELb0ELb1EEEvllPKT_S5_PKT0_S8_PS3_S9_: ; @_ZN2at6native12_GLOBAL__N_135GammaBetaBackwardCUDAKernelTemplateIffLj64ELj8ELj64ELb0ELb0ELb1EEEvllPKT_S5_PKT0_S8_PS3_S9_
; %bb.0:
	s_clause 0x1
	s_load_b256 s[4:11], s[0:1], 0x0
	s_load_b64 s[12:13], s[0:1], 0x28
	s_lshl_b32 s28, ttmp9, 6
	s_mov_b32 s15, 0
	s_or_b32 s14, s28, 63
	s_wait_kmcnt 0x0
	v_cmp_le_i64_e64 s2, s[6:7], s[14:15]
	s_lshl_b32 s14, ttmp7, 6
	s_wait_alu 0xfffe
	v_cmp_gt_i64_e64 s29, s[4:5], s[14:15]
	s_and_b32 vcc_lo, exec_lo, s2
	v_cndmask_b32_e64 v1, 0, 1, s29
	s_delay_alu instid0(VALU_DEP_1)
	v_cmp_ne_u32_e64 s2, 1, v1
	s_cbranch_vccz .LBB147_49
; %bb.1:
	v_mov_b32_e32 v86, 0
	s_and_b32 vcc_lo, exec_lo, s2
	s_cbranch_vccnz .LBB147_50
; %bb.2:
	v_bfe_u32 v20, v0, 10, 10
	v_dual_mov_b32 v1, 0 :: v_dual_and_b32 v22, 0x3ff, v0
	s_load_b32 s3, s[0:1], 0x44
	s_mov_b32 s17, 0
	s_delay_alu instid0(VALU_DEP_2) | instskip(NEXT) | instid1(VALU_DEP_2)
	v_lshlrev_b32_e32 v21, 3, v20
	v_dual_mov_b32 v3, v1 :: v_dual_add_nc_u32 v2, s28, v22
	s_mov_b32 s21, s17
	v_mov_b32_e32 v55, 0
	s_delay_alu instid0(VALU_DEP_3) | instskip(NEXT) | instid1(VALU_DEP_1)
	v_add_co_u32 v10, s2, v21, s14
	v_add_co_ci_u32_e64 v11, null, 0, 0, s2
	v_cmp_gt_i64_e64 s2, s[6:7], v[2:3]
	s_delay_alu instid0(VALU_DEP_3) | instskip(SKIP_1) | instid1(VALU_DEP_4)
	v_mul_lo_u32 v6, s7, v10
	v_mad_co_u64_u32 v[4:5], null, s6, v10, 0
	v_mul_lo_u32 v7, s6, v11
	v_add_co_u32 v8, vcc_lo, v10, 7
	s_delay_alu instid0(VALU_DEP_1) | instskip(SKIP_1) | instid1(VALU_DEP_3)
	v_add_co_ci_u32_e64 v9, null, 0, v11, vcc_lo
	v_lshlrev_b64_e32 v[18:19], 2, v[2:3]
	v_mul_lo_u32 v12, s7, v8
	s_wait_kmcnt 0x0
	s_lshl_b32 s20, s3, 6
	v_add3_u32 v5, v5, v7, v6
	v_mad_co_u64_u32 v[6:7], null, s6, v8, 0
	v_add_co_u32 v8, vcc_lo, v10, 6
	v_mul_lo_u32 v13, s6, v9
	s_wait_alu 0xfffd
	v_add_co_ci_u32_e64 v9, null, 0, v11, vcc_lo
	v_lshlrev_b64_e32 v[2:3], 2, v[4:5]
	v_mul_lo_u32 v14, s7, v8
	s_mul_u64 s[22:23], s[6:7], s[20:21]
	s_delay_alu instid0(VALU_DEP_3) | instskip(SKIP_1) | instid1(VALU_DEP_4)
	v_mul_lo_u32 v15, s6, v9
	v_mad_co_u64_u32 v[8:9], null, s6, v8, 0
	v_add_co_u32 v23, vcc_lo, s8, v2
	s_wait_alu 0xfffd
	v_add_co_ci_u32_e64 v24, null, s9, v3, vcc_lo
	v_add_co_u32 v25, vcc_lo, s10, v2
	v_add3_u32 v7, v7, v13, v12
	s_wait_alu 0xfffd
	v_add_co_ci_u32_e64 v26, null, s11, v3, vcc_lo
	v_add_co_u32 v12, vcc_lo, v10, 5
	v_add3_u32 v9, v9, v15, v14
	s_wait_alu 0xfffd
	v_add_co_ci_u32_e64 v13, null, 0, v11, vcc_lo
	v_lshlrev_b64_e32 v[2:3], 2, v[6:7]
	v_mul_lo_u32 v14, s7, v12
	v_lshlrev_b64_e32 v[6:7], 2, v[8:9]
	s_delay_alu instid0(VALU_DEP_4)
	v_mul_lo_u32 v13, s6, v13
	v_mad_co_u64_u32 v[8:9], null, s6, v12, 0
	v_add_co_u32 v27, vcc_lo, s8, v2
	s_wait_alu 0xfffd
	v_add_co_ci_u32_e64 v28, null, s9, v3, vcc_lo
	v_add_co_u32 v29, vcc_lo, s10, v2
	s_wait_alu 0xfffd
	v_add_co_ci_u32_e64 v30, null, s11, v3, vcc_lo
	v_add_co_u32 v31, vcc_lo, s8, v6
	v_add3_u32 v9, v9, v13, v14
	s_wait_alu 0xfffd
	v_add_co_ci_u32_e64 v32, null, s9, v7, vcc_lo
	v_add_co_u32 v12, vcc_lo, v10, 4
	v_add_co_u32 v33, s3, s10, v6
	s_wait_alu 0xfffd
	v_add_co_ci_u32_e64 v6, null, 0, v11, vcc_lo
	v_lshlrev_b64_e32 v[2:3], 2, v[8:9]
	v_add_co_u32 v8, vcc_lo, v10, 3
	s_wait_alu 0xfffd
	v_add_co_ci_u32_e64 v9, null, 0, v11, vcc_lo
	s_wait_alu 0xf1ff
	v_add_co_ci_u32_e64 v34, null, s11, v7, s3
	v_mul_lo_u32 v13, s7, v12
	v_mul_lo_u32 v14, s6, v6
	v_mad_co_u64_u32 v[6:7], null, s6, v12, 0
	v_mul_lo_u32 v12, s7, v8
	v_mul_lo_u32 v15, s6, v9
	v_mad_co_u64_u32 v[8:9], null, s6, v8, 0
	v_add_co_u32 v35, vcc_lo, s8, v2
	s_wait_alu 0xfffd
	v_add_co_ci_u32_e64 v36, null, s9, v3, vcc_lo
	v_add3_u32 v7, v7, v14, v13
	v_add_co_u32 v37, vcc_lo, s10, v2
	s_wait_alu 0xfffd
	v_add_co_ci_u32_e64 v38, null, s11, v3, vcc_lo
	v_add_co_u32 v10, vcc_lo, v10, 2
	v_add3_u32 v9, v9, v15, v12
	s_wait_alu 0xfffd
	v_add_co_ci_u32_e64 v11, null, 0, v11, vcc_lo
	v_lshlrev_b64_e32 v[2:3], 2, v[6:7]
	v_mul_lo_u32 v12, s7, v10
	v_lshlrev_b64_e32 v[6:7], 2, v[8:9]
	s_delay_alu instid0(VALU_DEP_4)
	v_mul_lo_u32 v11, s6, v11
	v_mad_co_u64_u32 v[8:9], null, s6, v10, 0
	v_add_co_u32 v39, vcc_lo, s8, v2
	s_wait_alu 0xfffd
	v_add_co_ci_u32_e64 v40, null, s9, v3, vcc_lo
	v_add_co_u32 v41, vcc_lo, s10, v2
	s_wait_alu 0xfffd
	v_add_co_ci_u32_e64 v42, null, s11, v3, vcc_lo
	;; [unrolled: 3-line block ×3, first 2 shown]
	v_add3_u32 v9, v9, v11, v12
	v_add_co_u32 v45, vcc_lo, s10, v6
	s_wait_alu 0xfffd
	v_add_co_ci_u32_e64 v46, null, s11, v7, vcc_lo
	v_add_co_u32 v4, vcc_lo, v4, s6
	s_wait_alu 0xfffd
	v_add_co_ci_u32_e64 v5, null, s7, v5, vcc_lo
	v_lshlrev_b64_e32 v[2:3], 2, v[8:9]
	s_add_nc_u64 s[18:19], s[0:1], 64
	s_lshl_b64 s[22:23], s[22:23], 2
	s_delay_alu instid0(VALU_DEP_2)
	v_lshlrev_b64_e32 v[4:5], 2, v[4:5]
	s_add_nc_u64 s[24:25], s[14:15], 63
	s_mov_b64 s[26:27], s[14:15]
	v_add_co_u32 v47, vcc_lo, s8, v2
	s_wait_alu 0xfffd
	v_add_co_ci_u32_e64 v48, null, s9, v3, vcc_lo
	v_add_co_u32 v49, vcc_lo, s10, v2
	s_wait_alu 0xfffd
	v_add_co_ci_u32_e64 v50, null, s11, v3, vcc_lo
	;; [unrolled: 3-line block ×4, first 2 shown]
.LBB147_3:                              ; =>This Inner Loop Header: Depth=1
	v_cmp_ge_i64_e64 s3, s[24:25], s[4:5]
	v_add_co_u32 v56, s16, v21, s24
	s_wait_alu 0xf1ff
	v_add_co_ci_u32_e64 v57, null, 0, s25, s16
                                        ; implicit-def: $vgpr2_vgpr3_vgpr4_vgpr5_vgpr6_vgpr7_vgpr8_vgpr9
                                        ; implicit-def: $vgpr86
                                        ; implicit-def: $vgpr10_vgpr11_vgpr12_vgpr13_vgpr14_vgpr15_vgpr16_vgpr17
                                        ; implicit-def: $vgpr2
	s_and_b32 vcc_lo, exec_lo, s3
	s_mov_b32 s3, -1
	s_wait_alu 0xfffe
	s_cbranch_vccz .LBB147_25
; %bb.4:                                ;   in Loop: Header=BB147_3 Depth=1
	s_load_b32 s3, s[18:19], 0xc
	v_mov_b32_e32 v58, 0
	s_wait_kmcnt 0x0
	s_and_b32 s3, s3, 0xffff
	s_wait_alu 0xfffe
	v_mad_u32_u24 v2, v20, s3, v22
	s_mov_b32 s3, exec_lo
	s_delay_alu instid0(VALU_DEP_1) | instskip(NEXT) | instid1(VALU_DEP_1)
	v_and_b32_e32 v2, 31, v2
	v_cmpx_gt_u32_e32 8, v2
	s_cbranch_execz .LBB147_8
; %bb.5:                                ;   in Loop: Header=BB147_3 Depth=1
	v_add_co_u32 v2, vcc_lo, v56, v2
	s_wait_alu 0xfffd
	v_add_co_ci_u32_e64 v3, null, 0, v57, vcc_lo
	v_mov_b32_e32 v58, 0
	s_delay_alu instid0(VALU_DEP_3) | instskip(SKIP_1) | instid1(VALU_DEP_3)
	v_add_co_u32 v2, vcc_lo, 0xffffffc1, v2
	s_wait_alu 0xfffd
	v_add_co_ci_u32_e64 v3, null, -1, v3, vcc_lo
	s_mov_b32 s16, exec_lo
	v_cmpx_gt_i64_e64 s[4:5], v[2:3]
	s_cbranch_execz .LBB147_7
; %bb.6:                                ;   in Loop: Header=BB147_3 Depth=1
	v_lshlrev_b64_e32 v[2:3], 2, v[2:3]
	s_delay_alu instid0(VALU_DEP_1) | instskip(SKIP_1) | instid1(VALU_DEP_2)
	v_add_co_u32 v2, vcc_lo, s12, v2
	s_wait_alu 0xfffd
	v_add_co_ci_u32_e64 v3, null, s13, v3, vcc_lo
	global_load_b32 v58, v[2:3], off
.LBB147_7:                              ;   in Loop: Header=BB147_3 Depth=1
	s_wait_alu 0xfffe
	s_or_b32 exec_lo, exec_lo, s16
.LBB147_8:                              ;   in Loop: Header=BB147_3 Depth=1
	s_wait_alu 0xfffe
	s_or_b32 exec_lo, exec_lo, s3
	v_add_co_u32 v9, vcc_lo, 0xffffffc1, v56
	s_wait_alu 0xfffd
	v_add_co_ci_u32_e64 v10, null, -1, v57, vcc_lo
	v_mov_b32_e32 v8, v1
	v_dual_mov_b32 v2, v1 :: v_dual_mov_b32 v3, v1
	v_dual_mov_b32 v4, v1 :: v_dual_mov_b32 v5, v1
	;; [unrolled: 1-line block ×3, first 2 shown]
	v_cmp_gt_i64_e32 vcc_lo, s[4:5], v[9:10]
	s_delay_alu instid0(VALU_DEP_3) | instskip(NEXT) | instid1(VALU_DEP_3)
	v_dual_mov_b32 v17, v8 :: v_dual_mov_b32 v14, v5
	v_dual_mov_b32 v15, v6 :: v_dual_mov_b32 v16, v7
	;; [unrolled: 1-line block ×4, first 2 shown]
	v_mov_b32_e32 v9, v8
	v_mov_b32_e32 v8, v7
	;; [unrolled: 1-line block ×8, first 2 shown]
	s_and_b32 s16, s2, vcc_lo
	s_wait_alu 0xfffe
	s_and_saveexec_b32 s3, s16
	s_cbranch_execz .LBB147_10
; %bb.9:                                ;   in Loop: Header=BB147_3 Depth=1
	v_add_co_u32 v2, vcc_lo, v23, v18
	s_wait_alu 0xfffd
	v_add_co_ci_u32_e64 v3, null, v24, v19, vcc_lo
	v_add_co_u32 v4, vcc_lo, v25, v18
	s_wait_alu 0xfffd
	v_add_co_ci_u32_e64 v5, null, v26, v19, vcc_lo
	global_load_b32 v2, v[2:3], off
	global_load_b32 v10, v[4:5], off
	v_dual_mov_b32 v3, v1 :: v_dual_mov_b32 v4, v1
	v_dual_mov_b32 v5, v1 :: v_dual_mov_b32 v6, v1
	;; [unrolled: 1-line block ×6, first 2 shown]
	v_mov_b32_e32 v15, v1
	v_mov_b32_e32 v17, v1
.LBB147_10:                             ;   in Loop: Header=BB147_3 Depth=1
	s_wait_alu 0xfffe
	s_or_b32 exec_lo, exec_lo, s3
	v_add_co_u32 v59, vcc_lo, 0xffffffc2, v56
	s_wait_alu 0xfffd
	v_add_co_ci_u32_e64 v60, null, -1, v57, vcc_lo
	s_delay_alu instid0(VALU_DEP_1)
	v_cmp_gt_i64_e32 vcc_lo, s[4:5], v[59:60]
	s_and_b32 s16, s2, vcc_lo
	s_wait_alu 0xfffe
	s_and_saveexec_b32 s3, s16
	s_cbranch_execz .LBB147_12
; %bb.11:                               ;   in Loop: Header=BB147_3 Depth=1
	v_add_co_u32 v59, vcc_lo, v51, v18
	s_wait_alu 0xfffd
	v_add_co_ci_u32_e64 v60, null, v52, v19, vcc_lo
	v_add_co_u32 v61, vcc_lo, v53, v18
	s_wait_alu 0xfffd
	v_add_co_ci_u32_e64 v62, null, v54, v19, vcc_lo
	global_load_b32 v3, v[59:60], off
	global_load_b32 v11, v[61:62], off
.LBB147_12:                             ;   in Loop: Header=BB147_3 Depth=1
	s_wait_alu 0xfffe
	s_or_b32 exec_lo, exec_lo, s3
	v_add_co_u32 v59, vcc_lo, 0xffffffc3, v56
	s_wait_alu 0xfffd
	v_add_co_ci_u32_e64 v60, null, -1, v57, vcc_lo
	s_delay_alu instid0(VALU_DEP_1)
	v_cmp_gt_i64_e32 vcc_lo, s[4:5], v[59:60]
	s_and_b32 s16, s2, vcc_lo
	s_wait_alu 0xfffe
	s_and_saveexec_b32 s3, s16
	s_cbranch_execz .LBB147_14
; %bb.13:                               ;   in Loop: Header=BB147_3 Depth=1
	v_add_co_u32 v59, vcc_lo, v47, v18
	s_wait_alu 0xfffd
	v_add_co_ci_u32_e64 v60, null, v48, v19, vcc_lo
	v_add_co_u32 v61, vcc_lo, v49, v18
	s_wait_alu 0xfffd
	v_add_co_ci_u32_e64 v62, null, v50, v19, vcc_lo
	global_load_b32 v4, v[59:60], off
	global_load_b32 v12, v[61:62], off
.LBB147_14:                             ;   in Loop: Header=BB147_3 Depth=1
	s_wait_alu 0xfffe
	s_or_b32 exec_lo, exec_lo, s3
	v_add_co_u32 v59, vcc_lo, 0xffffffc4, v56
	s_wait_alu 0xfffd
	v_add_co_ci_u32_e64 v60, null, -1, v57, vcc_lo
	s_delay_alu instid0(VALU_DEP_1)
	v_cmp_gt_i64_e32 vcc_lo, s[4:5], v[59:60]
	s_and_b32 s16, s2, vcc_lo
	s_wait_alu 0xfffe
	s_and_saveexec_b32 s3, s16
	s_cbranch_execz .LBB147_16
; %bb.15:                               ;   in Loop: Header=BB147_3 Depth=1
	v_add_co_u32 v59, vcc_lo, v43, v18
	s_wait_alu 0xfffd
	v_add_co_ci_u32_e64 v60, null, v44, v19, vcc_lo
	v_add_co_u32 v61, vcc_lo, v45, v18
	s_wait_alu 0xfffd
	v_add_co_ci_u32_e64 v62, null, v46, v19, vcc_lo
	global_load_b32 v5, v[59:60], off
	global_load_b32 v13, v[61:62], off
.LBB147_16:                             ;   in Loop: Header=BB147_3 Depth=1
	s_wait_alu 0xfffe
	s_or_b32 exec_lo, exec_lo, s3
	v_add_co_u32 v59, vcc_lo, 0xffffffc5, v56
	s_wait_alu 0xfffd
	v_add_co_ci_u32_e64 v60, null, -1, v57, vcc_lo
	s_delay_alu instid0(VALU_DEP_1)
	v_cmp_gt_i64_e32 vcc_lo, s[4:5], v[59:60]
	s_and_b32 s16, s2, vcc_lo
	s_wait_alu 0xfffe
	s_and_saveexec_b32 s3, s16
	s_cbranch_execz .LBB147_18
; %bb.17:                               ;   in Loop: Header=BB147_3 Depth=1
	v_add_co_u32 v59, vcc_lo, v39, v18
	s_wait_alu 0xfffd
	v_add_co_ci_u32_e64 v60, null, v40, v19, vcc_lo
	v_add_co_u32 v61, vcc_lo, v41, v18
	s_wait_alu 0xfffd
	v_add_co_ci_u32_e64 v62, null, v42, v19, vcc_lo
	global_load_b32 v6, v[59:60], off
	global_load_b32 v14, v[61:62], off
.LBB147_18:                             ;   in Loop: Header=BB147_3 Depth=1
	s_wait_alu 0xfffe
	s_or_b32 exec_lo, exec_lo, s3
	v_add_co_u32 v59, vcc_lo, 0xffffffc6, v56
	s_wait_alu 0xfffd
	v_add_co_ci_u32_e64 v60, null, -1, v57, vcc_lo
	s_delay_alu instid0(VALU_DEP_1)
	v_cmp_gt_i64_e32 vcc_lo, s[4:5], v[59:60]
	s_and_b32 s16, s2, vcc_lo
	s_wait_alu 0xfffe
	s_and_saveexec_b32 s3, s16
	s_cbranch_execz .LBB147_20
; %bb.19:                               ;   in Loop: Header=BB147_3 Depth=1
	v_add_co_u32 v59, vcc_lo, v35, v18
	s_wait_alu 0xfffd
	v_add_co_ci_u32_e64 v60, null, v36, v19, vcc_lo
	v_add_co_u32 v61, vcc_lo, v37, v18
	s_wait_alu 0xfffd
	v_add_co_ci_u32_e64 v62, null, v38, v19, vcc_lo
	global_load_b32 v7, v[59:60], off
	global_load_b32 v15, v[61:62], off
.LBB147_20:                             ;   in Loop: Header=BB147_3 Depth=1
	s_wait_alu 0xfffe
	s_or_b32 exec_lo, exec_lo, s3
	v_add_co_u32 v59, vcc_lo, 0xffffffc7, v56
	s_wait_alu 0xfffd
	v_add_co_ci_u32_e64 v60, null, -1, v57, vcc_lo
	s_delay_alu instid0(VALU_DEP_1)
	v_cmp_gt_i64_e32 vcc_lo, s[4:5], v[59:60]
	s_and_b32 s16, s2, vcc_lo
	s_wait_alu 0xfffe
	s_and_saveexec_b32 s3, s16
	s_cbranch_execz .LBB147_22
; %bb.21:                               ;   in Loop: Header=BB147_3 Depth=1
	v_add_co_u32 v59, vcc_lo, v31, v18
	s_wait_alu 0xfffd
	v_add_co_ci_u32_e64 v60, null, v32, v19, vcc_lo
	v_add_co_u32 v61, vcc_lo, v33, v18
	s_wait_alu 0xfffd
	v_add_co_ci_u32_e64 v62, null, v34, v19, vcc_lo
	global_load_b32 v8, v[59:60], off
	global_load_b32 v16, v[61:62], off
.LBB147_22:                             ;   in Loop: Header=BB147_3 Depth=1
	s_wait_alu 0xfffe
	s_or_b32 exec_lo, exec_lo, s3
	v_add_co_u32 v59, vcc_lo, 0xffffffc8, v56
	s_wait_alu 0xfffd
	v_add_co_ci_u32_e64 v60, null, -1, v57, vcc_lo
	s_delay_alu instid0(VALU_DEP_1)
	v_cmp_gt_i64_e32 vcc_lo, s[4:5], v[59:60]
	s_and_b32 s16, s2, vcc_lo
	s_wait_alu 0xfffe
	s_and_saveexec_b32 s3, s16
	s_cbranch_execz .LBB147_24
; %bb.23:                               ;   in Loop: Header=BB147_3 Depth=1
	v_add_co_u32 v59, vcc_lo, v27, v18
	s_wait_alu 0xfffd
	v_add_co_ci_u32_e64 v60, null, v28, v19, vcc_lo
	v_add_co_u32 v61, vcc_lo, v29, v18
	s_wait_alu 0xfffd
	v_add_co_ci_u32_e64 v62, null, v30, v19, vcc_lo
	global_load_b32 v9, v[59:60], off
	global_load_b32 v17, v[61:62], off
.LBB147_24:                             ;   in Loop: Header=BB147_3 Depth=1
	s_wait_alu 0xfffe
	s_or_b32 exec_lo, exec_lo, s3
	s_wait_loadcnt 0x0
	ds_bpermute_b32 v59, v1, v58
	ds_bpermute_b32 v60, v1, v58 offset:4
	ds_bpermute_b32 v61, v1, v58 offset:8
	v_dual_mul_f32 v2, v10, v2 :: v_dual_mul_f32 v3, v11, v3
	ds_bpermute_b32 v10, v1, v58 offset:12
	ds_bpermute_b32 v11, v1, v58 offset:16
	v_mul_f32_e32 v6, v14, v6
	s_mov_b32 s3, 0
	s_wait_dscnt 0x4
	v_fma_f32 v86, v2, v59, v55
	v_mul_f32_e32 v2, v12, v4
	ds_bpermute_b32 v4, v1, v58 offset:20
	s_wait_dscnt 0x4
	v_dual_fmac_f32 v86, v3, v60 :: v_dual_mul_f32 v3, v13, v5
	ds_bpermute_b32 v5, v1, v58 offset:24
	s_wait_dscnt 0x4
	v_fmac_f32_e32 v86, v2, v61
	ds_bpermute_b32 v2, v1, v58 offset:28
	s_wait_dscnt 0x4
	v_fmac_f32_e32 v86, v3, v10
	v_mul_f32_e32 v3, v15, v7
	s_wait_dscnt 0x3
	s_delay_alu instid0(VALU_DEP_2) | instskip(SKIP_1) | instid1(VALU_DEP_1)
	v_fmac_f32_e32 v86, v6, v11
	s_wait_dscnt 0x2
	v_fmac_f32_e32 v86, v3, v4
	v_mul_f32_e32 v3, v16, v8
	s_wait_dscnt 0x1
	s_delay_alu instid0(VALU_DEP_1)
	v_fmac_f32_e32 v86, v3, v5
.LBB147_25:                             ;   in Loop: Header=BB147_3 Depth=1
	s_wait_alu 0xfffe
	s_and_b32 vcc_lo, exec_lo, s3
	s_wait_alu 0xfffe
	s_cbranch_vccz .LBB147_40
; %bb.26:                               ;   in Loop: Header=BB147_3 Depth=1
	s_load_b32 s3, s[18:19], 0x0
	v_mov_b32_e32 v58, 0
	s_wait_kmcnt 0x0
	s_cmp_lt_u32 ttmp9, s3
	s_cselect_b32 s16, 12, 18
	s_wait_alu 0xfffe
	s_add_nc_u64 s[30:31], s[18:19], s[16:17]
	s_load_u16 s3, s[30:31], 0x0
	s_wait_dscnt 0x0
	s_wait_kmcnt 0x0
	v_mad_u32_u24 v2, v20, s3, v22
	s_mov_b32 s3, exec_lo
	s_delay_alu instid0(VALU_DEP_1) | instskip(NEXT) | instid1(VALU_DEP_1)
	v_and_b32_e32 v2, 31, v2
	v_cmpx_gt_u32_e32 8, v2
	s_cbranch_execz .LBB147_30
; %bb.27:                               ;   in Loop: Header=BB147_3 Depth=1
	v_add_co_u32 v2, vcc_lo, v56, v2
	s_wait_alu 0xfffd
	v_add_co_ci_u32_e64 v3, null, 0, v57, vcc_lo
	v_mov_b32_e32 v58, 0
	s_delay_alu instid0(VALU_DEP_3) | instskip(SKIP_1) | instid1(VALU_DEP_3)
	v_add_co_u32 v2, vcc_lo, 0xffffffc1, v2
	s_wait_alu 0xfffd
	v_add_co_ci_u32_e64 v3, null, -1, v3, vcc_lo
	s_mov_b32 s16, exec_lo
	v_cmpx_gt_i64_e64 s[4:5], v[2:3]
	s_cbranch_execz .LBB147_29
; %bb.28:                               ;   in Loop: Header=BB147_3 Depth=1
	v_lshlrev_b64_e32 v[2:3], 2, v[2:3]
	s_delay_alu instid0(VALU_DEP_1) | instskip(SKIP_1) | instid1(VALU_DEP_2)
	v_add_co_u32 v2, vcc_lo, s12, v2
	s_wait_alu 0xfffd
	v_add_co_ci_u32_e64 v3, null, s13, v3, vcc_lo
	global_load_b32 v58, v[2:3], off
.LBB147_29:                             ;   in Loop: Header=BB147_3 Depth=1
	s_wait_alu 0xfffe
	s_or_b32 exec_lo, exec_lo, s16
.LBB147_30:                             ;   in Loop: Header=BB147_3 Depth=1
	s_wait_alu 0xfffe
	s_or_b32 exec_lo, exec_lo, s3
	v_mov_b32_e32 v8, v1
	v_dual_mov_b32 v2, v1 :: v_dual_mov_b32 v3, v1
	v_dual_mov_b32 v4, v1 :: v_dual_mov_b32 v5, v1
	;; [unrolled: 1-line block ×3, first 2 shown]
	s_delay_alu instid0(VALU_DEP_4) | instskip(NEXT) | instid1(VALU_DEP_3)
	v_mov_b32_e32 v17, v8
	v_dual_mov_b32 v13, v4 :: v_dual_mov_b32 v12, v3
	s_delay_alu instid0(VALU_DEP_3) | instskip(NEXT) | instid1(VALU_DEP_4)
	v_dual_mov_b32 v15, v6 :: v_dual_mov_b32 v14, v5
	v_dual_mov_b32 v16, v7 :: v_dual_mov_b32 v11, v2
	;; [unrolled: 1-line block ×3, first 2 shown]
	v_mov_b32_e32 v8, v7
	v_mov_b32_e32 v7, v6
	v_mov_b32_e32 v6, v5
	v_mov_b32_e32 v5, v4
	v_mov_b32_e32 v4, v3
	v_mov_b32_e32 v3, v2
	v_mov_b32_e32 v2, v1
	s_and_saveexec_b32 s3, s2
	s_cbranch_execnz .LBB147_42
; %bb.31:                               ;   in Loop: Header=BB147_3 Depth=1
	s_wait_alu 0xfffe
	s_or_b32 exec_lo, exec_lo, s3
	s_and_saveexec_b32 s3, s2
	s_cbranch_execnz .LBB147_43
.LBB147_32:                             ;   in Loop: Header=BB147_3 Depth=1
	s_wait_alu 0xfffe
	s_or_b32 exec_lo, exec_lo, s3
	s_and_saveexec_b32 s3, s2
	s_cbranch_execnz .LBB147_44
.LBB147_33:                             ;   in Loop: Header=BB147_3 Depth=1
	s_wait_alu 0xfffe
	s_or_b32 exec_lo, exec_lo, s3
	s_and_saveexec_b32 s3, s2
	s_cbranch_execnz .LBB147_45
.LBB147_34:                             ;   in Loop: Header=BB147_3 Depth=1
	s_wait_alu 0xfffe
	s_or_b32 exec_lo, exec_lo, s3
	s_and_saveexec_b32 s3, s2
	s_cbranch_execnz .LBB147_46
.LBB147_35:                             ;   in Loop: Header=BB147_3 Depth=1
	s_wait_alu 0xfffe
	s_or_b32 exec_lo, exec_lo, s3
	s_and_saveexec_b32 s3, s2
	s_cbranch_execnz .LBB147_47
.LBB147_36:                             ;   in Loop: Header=BB147_3 Depth=1
	s_wait_alu 0xfffe
	s_or_b32 exec_lo, exec_lo, s3
	s_and_saveexec_b32 s3, s2
	s_cbranch_execnz .LBB147_48
.LBB147_37:                             ;   in Loop: Header=BB147_3 Depth=1
	s_wait_alu 0xfffe
	s_or_b32 exec_lo, exec_lo, s3
	s_and_saveexec_b32 s3, s2
	s_cbranch_execz .LBB147_39
.LBB147_38:                             ;   in Loop: Header=BB147_3 Depth=1
	v_add_co_u32 v56, vcc_lo, v27, v18
	s_wait_alu 0xfffd
	v_add_co_ci_u32_e64 v57, null, v28, v19, vcc_lo
	v_add_co_u32 v59, vcc_lo, v29, v18
	s_wait_alu 0xfffd
	v_add_co_ci_u32_e64 v60, null, v30, v19, vcc_lo
	global_load_b32 v9, v[56:57], off
	global_load_b32 v17, v[59:60], off
.LBB147_39:                             ;   in Loop: Header=BB147_3 Depth=1
	s_wait_alu 0xfffe
	s_or_b32 exec_lo, exec_lo, s3
	s_wait_loadcnt 0x0
	ds_bpermute_b32 v56, v1, v58
	ds_bpermute_b32 v57, v1, v58 offset:4
	ds_bpermute_b32 v59, v1, v58 offset:8
	v_dual_mul_f32 v2, v10, v2 :: v_dual_mul_f32 v3, v11, v3
	ds_bpermute_b32 v10, v1, v58 offset:12
	ds_bpermute_b32 v11, v1, v58 offset:16
	s_wait_dscnt 0x4
	v_fmac_f32_e32 v55, v2, v56
	v_mul_f32_e32 v2, v12, v4
	ds_bpermute_b32 v4, v1, v58 offset:20
	s_wait_dscnt 0x4
	v_fmac_f32_e32 v55, v3, v57
	v_mul_f32_e32 v3, v13, v5
	;; [unrolled: 4-line block ×3, first 2 shown]
	s_wait_dscnt 0x3
	s_delay_alu instid0(VALU_DEP_2) | instskip(SKIP_2) | instid1(VALU_DEP_2)
	v_fmac_f32_e32 v55, v3, v10
	v_mul_f32_e32 v3, v15, v7
	s_wait_dscnt 0x2
	v_fmac_f32_e32 v55, v2, v11
	ds_bpermute_b32 v2, v1, v58 offset:28
	s_wait_dscnt 0x2
	v_fmac_f32_e32 v55, v3, v4
	v_mul_f32_e32 v3, v16, v8
	s_wait_dscnt 0x1
	s_delay_alu instid0(VALU_DEP_1) | instskip(NEXT) | instid1(VALU_DEP_1)
	v_fmac_f32_e32 v55, v3, v5
	v_mov_b32_e32 v86, v55
.LBB147_40:                             ;   in Loop: Header=BB147_3 Depth=1
	v_add_co_u32 v23, vcc_lo, v23, s22
	s_wait_alu 0xfffd
	v_add_co_ci_u32_e64 v24, null, s23, v24, vcc_lo
	v_add_co_u32 v25, vcc_lo, v25, s22
	s_wait_alu 0xfffd
	v_add_co_ci_u32_e64 v26, null, s23, v26, vcc_lo
	;; [unrolled: 3-line block ×13, first 2 shown]
	v_add_co_u32 v49, vcc_lo, v49, s22
	v_mul_f32_e32 v3, v9, v17
	s_add_nc_u64 s[26:27], s[26:27], s[20:21]
	s_wait_alu 0xfffd
	v_add_co_ci_u32_e64 v50, null, s23, v50, vcc_lo
	v_add_co_u32 v51, vcc_lo, v51, s22
	s_wait_alu 0xfffe
	v_cmp_lt_i64_e64 s3, s[26:27], s[4:5]
	s_wait_alu 0xfffd
	v_add_co_ci_u32_e64 v52, null, s23, v52, vcc_lo
	v_add_co_u32 v53, vcc_lo, v53, s22
	s_wait_dscnt 0x0
	v_fmac_f32_e32 v86, v3, v2
	s_wait_alu 0xfffd
	v_add_co_ci_u32_e64 v54, null, s23, v54, vcc_lo
	s_and_b32 vcc_lo, exec_lo, s3
	s_add_nc_u64 s[24:25], s[24:25], s[20:21]
	s_wait_alu 0xfffe
	s_cbranch_vccz .LBB147_50
; %bb.41:                               ;   in Loop: Header=BB147_3 Depth=1
	v_mov_b32_e32 v55, v86
	s_branch .LBB147_3
.LBB147_42:                             ;   in Loop: Header=BB147_3 Depth=1
	v_add_co_u32 v2, vcc_lo, v23, v18
	s_wait_alu 0xfffd
	v_add_co_ci_u32_e64 v3, null, v24, v19, vcc_lo
	v_add_co_u32 v4, vcc_lo, v25, v18
	s_wait_alu 0xfffd
	v_add_co_ci_u32_e64 v5, null, v26, v19, vcc_lo
	global_load_b32 v2, v[2:3], off
	global_load_b32 v10, v[4:5], off
	v_dual_mov_b32 v3, v1 :: v_dual_mov_b32 v4, v1
	v_dual_mov_b32 v5, v1 :: v_dual_mov_b32 v6, v1
	;; [unrolled: 1-line block ×6, first 2 shown]
	v_mov_b32_e32 v15, v1
	v_mov_b32_e32 v17, v1
	s_wait_alu 0xfffe
	s_or_b32 exec_lo, exec_lo, s3
	s_and_saveexec_b32 s3, s2
	s_cbranch_execz .LBB147_32
.LBB147_43:                             ;   in Loop: Header=BB147_3 Depth=1
	v_add_co_u32 v56, vcc_lo, v51, v18
	s_wait_alu 0xfffd
	v_add_co_ci_u32_e64 v57, null, v52, v19, vcc_lo
	v_add_co_u32 v59, vcc_lo, v53, v18
	s_wait_alu 0xfffd
	v_add_co_ci_u32_e64 v60, null, v54, v19, vcc_lo
	global_load_b32 v3, v[56:57], off
	global_load_b32 v11, v[59:60], off
	s_wait_alu 0xfffe
	s_or_b32 exec_lo, exec_lo, s3
	s_and_saveexec_b32 s3, s2
	s_cbranch_execz .LBB147_33
.LBB147_44:                             ;   in Loop: Header=BB147_3 Depth=1
	v_add_co_u32 v56, vcc_lo, v47, v18
	s_wait_alu 0xfffd
	v_add_co_ci_u32_e64 v57, null, v48, v19, vcc_lo
	v_add_co_u32 v59, vcc_lo, v49, v18
	s_wait_alu 0xfffd
	v_add_co_ci_u32_e64 v60, null, v50, v19, vcc_lo
	global_load_b32 v4, v[56:57], off
	global_load_b32 v12, v[59:60], off
	s_wait_alu 0xfffe
	s_or_b32 exec_lo, exec_lo, s3
	s_and_saveexec_b32 s3, s2
	s_cbranch_execz .LBB147_34
.LBB147_45:                             ;   in Loop: Header=BB147_3 Depth=1
	v_add_co_u32 v56, vcc_lo, v43, v18
	s_wait_alu 0xfffd
	v_add_co_ci_u32_e64 v57, null, v44, v19, vcc_lo
	v_add_co_u32 v59, vcc_lo, v45, v18
	s_wait_alu 0xfffd
	v_add_co_ci_u32_e64 v60, null, v46, v19, vcc_lo
	global_load_b32 v5, v[56:57], off
	global_load_b32 v13, v[59:60], off
	s_wait_alu 0xfffe
	s_or_b32 exec_lo, exec_lo, s3
	s_and_saveexec_b32 s3, s2
	s_cbranch_execz .LBB147_35
.LBB147_46:                             ;   in Loop: Header=BB147_3 Depth=1
	v_add_co_u32 v56, vcc_lo, v39, v18
	s_wait_alu 0xfffd
	v_add_co_ci_u32_e64 v57, null, v40, v19, vcc_lo
	v_add_co_u32 v59, vcc_lo, v41, v18
	s_wait_alu 0xfffd
	v_add_co_ci_u32_e64 v60, null, v42, v19, vcc_lo
	global_load_b32 v6, v[56:57], off
	global_load_b32 v14, v[59:60], off
	s_wait_alu 0xfffe
	s_or_b32 exec_lo, exec_lo, s3
	s_and_saveexec_b32 s3, s2
	s_cbranch_execz .LBB147_36
.LBB147_47:                             ;   in Loop: Header=BB147_3 Depth=1
	v_add_co_u32 v56, vcc_lo, v35, v18
	s_wait_alu 0xfffd
	v_add_co_ci_u32_e64 v57, null, v36, v19, vcc_lo
	v_add_co_u32 v59, vcc_lo, v37, v18
	s_wait_alu 0xfffd
	v_add_co_ci_u32_e64 v60, null, v38, v19, vcc_lo
	global_load_b32 v7, v[56:57], off
	global_load_b32 v15, v[59:60], off
	s_wait_alu 0xfffe
	s_or_b32 exec_lo, exec_lo, s3
	s_and_saveexec_b32 s3, s2
	s_cbranch_execz .LBB147_37
.LBB147_48:                             ;   in Loop: Header=BB147_3 Depth=1
	v_add_co_u32 v56, vcc_lo, v31, v18
	s_wait_alu 0xfffd
	v_add_co_ci_u32_e64 v57, null, v32, v19, vcc_lo
	v_add_co_u32 v59, vcc_lo, v33, v18
	s_wait_alu 0xfffd
	v_add_co_ci_u32_e64 v60, null, v34, v19, vcc_lo
	global_load_b32 v8, v[56:57], off
	global_load_b32 v16, v[59:60], off
	s_wait_alu 0xfffe
	s_or_b32 exec_lo, exec_lo, s3
	s_and_saveexec_b32 s3, s2
	s_cbranch_execnz .LBB147_38
	s_branch .LBB147_39
.LBB147_49:
                                        ; implicit-def: $vgpr86
	s_branch .LBB147_51
.LBB147_50:
	s_cbranch_execnz .LBB147_83
.LBB147_51:
	v_mov_b32_e32 v86, 0
	s_and_not1_b32 vcc_lo, exec_lo, s29
	s_wait_alu 0xfffe
	s_cbranch_vccnz .LBB147_83
; %bb.52:
	v_bfe_u32 v48, v0, 10, 10
	v_dual_mov_b32 v1, 0 :: v_dual_and_b32 v50, 0x3ff, v0
	s_lshl_b64 s[18:19], s[14:15], 2
	s_mov_b32 s3, 0
	s_delay_alu instid0(VALU_DEP_2) | instskip(SKIP_2) | instid1(VALU_DEP_3)
	v_lshlrev_b32_e32 v49, 3, v48
	v_dual_mov_b32 v83, 0 :: v_dual_lshlrev_b32 v8, 5, v48
	v_dual_mov_b32 v5, v1 :: v_dual_add_nc_u32 v4, s28, v50
	v_add_co_u32 v10, s2, v49, s14
	s_wait_alu 0xf1ff
	v_add_co_ci_u32_e64 v11, null, 0, 0, s2
	s_delay_alu instid0(VALU_DEP_3) | instskip(NEXT) | instid1(VALU_DEP_3)
	v_lshlrev_b64_e32 v[18:19], 2, v[4:5]
	v_mul_lo_u32 v6, s7, v10
	v_mad_co_u64_u32 v[2:3], null, s6, v10, 0
	s_delay_alu instid0(VALU_DEP_4) | instskip(SKIP_2) | instid1(VALU_DEP_1)
	v_mul_lo_u32 v7, s6, v11
	s_load_b32 s2, s[0:1], 0x44
	s_mov_b32 s17, s3
	v_add3_u32 v3, v3, v7, v6
	v_add_co_u32 v6, s16, v8, s18
	s_wait_alu 0xf1ff
	v_add_co_ci_u32_e64 v7, null, 0, s19, s16
	s_delay_alu instid0(VALU_DEP_3) | instskip(NEXT) | instid1(VALU_DEP_3)
	v_lshlrev_b64_e32 v[4:5], 2, v[2:3]
	v_add_co_u32 v8, vcc_lo, v6, 4
	s_wait_alu 0xfffd
	s_delay_alu instid0(VALU_DEP_3) | instskip(NEXT) | instid1(VALU_DEP_3)
	v_add_co_ci_u32_e64 v9, null, 0, v7, vcc_lo
	v_add_co_u32 v51, vcc_lo, s8, v4
	s_wait_alu 0xfffd
	v_add_co_ci_u32_e64 v52, null, s9, v5, vcc_lo
	v_add_co_u32 v53, vcc_lo, s10, v4
	s_wait_alu 0xfffd
	;; [unrolled: 3-line block ×5, first 2 shown]
	v_add_co_ci_u32_e64 v28, null, 0, v7, vcc_lo
	v_add_co_u32 v42, vcc_lo, v6, 20
	v_mad_co_u64_u32 v[22:23], null, s6, v4, s[8:9]
	v_mul_lo_u32 v5, s6, v5
	v_mul_lo_u32 v15, s7, v4
	v_mad_co_u64_u32 v[36:37], null, s6, v4, s[10:11]
	s_wait_alu 0xfffd
	v_add_co_ci_u32_e64 v30, null, 0, v7, vcc_lo
	v_add_co_u32 v44, vcc_lo, v6, 24
	s_wait_alu 0xfffd
	v_add_co_ci_u32_e64 v32, null, 0, v7, vcc_lo
	v_add_co_u32 v6, vcc_lo, v6, 28
	v_mad_co_u64_u32 v[20:21], null, s6, v8, s[8:9]
	v_mul_lo_u32 v9, s6, v9
	v_mul_lo_u32 v12, s7, v8
	v_mad_co_u64_u32 v[34:35], null, s6, v8, s[10:11]
	s_wait_alu 0xfffd
	v_add_co_ci_u32_e64 v7, null, 0, v7, vcc_lo
	v_add_co_u32 v4, vcc_lo, v10, 7
	v_add3_u32 v23, v15, v23, v5
	v_add3_u32 v37, v15, v37, v5
	s_wait_alu 0xfffd
	v_add_co_ci_u32_e64 v5, null, 0, v11, vcc_lo
	v_mul_lo_u32 v61, s6, v7
	v_add_co_u32 v7, vcc_lo, v10, 6
	v_add3_u32 v21, v12, v21, v9
	v_add3_u32 v35, v12, v35, v9
	s_wait_alu 0xfffd
	v_add_co_ci_u32_e64 v12, null, 0, v11, vcc_lo
	v_mul_lo_u32 v8, s7, v4
	v_mul_lo_u32 v9, s6, v5
	v_mad_co_u64_u32 v[4:5], null, s6, v4, 0
	v_mad_co_u64_u32 v[24:25], null, s6, v13, s[8:9]
	v_mul_lo_u32 v17, s7, v13
	v_mul_lo_u32 v59, s6, v32
	v_mad_co_u64_u32 v[32:33], null, s6, v6, s[8:9]
	v_mul_lo_u32 v62, s7, v6
	v_mad_co_u64_u32 v[38:39], null, s6, v13, s[10:11]
	v_mad_co_u64_u32 v[46:47], null, s6, v6, s[10:11]
	v_mul_lo_u32 v13, s7, v7
	v_mul_lo_u32 v12, s6, v12
	v_mad_co_u64_u32 v[6:7], null, s6, v7, 0
	v_add3_u32 v5, v5, v9, v8
	v_add_co_u32 v8, vcc_lo, v10, 5
	v_mad_co_u64_u32 v[26:27], null, s6, v16, s[8:9]
	v_mul_lo_u32 v55, s6, v28
	v_mul_lo_u32 v56, s7, v16
	v_mad_co_u64_u32 v[40:41], null, s6, v16, s[10:11]
	s_wait_alu 0xfffd
	v_add_co_ci_u32_e64 v9, null, 0, v11, vcc_lo
	v_add3_u32 v7, v7, v12, v13
	v_mad_co_u64_u32 v[28:29], null, s6, v42, s[8:9]
	v_mul_lo_u32 v57, s6, v30
	v_mul_lo_u32 v58, s7, v42
	v_mad_co_u64_u32 v[42:43], null, s6, v42, s[10:11]
	v_lshlrev_b64_e32 v[4:5], 2, v[4:5]
	v_mad_co_u64_u32 v[30:31], null, s6, v44, s[8:9]
	v_mul_lo_u32 v60, s7, v44
	v_mad_co_u64_u32 v[44:45], null, s6, v44, s[10:11]
	v_mul_lo_u32 v12, s7, v8
	v_mul_lo_u32 v13, s6, v9
	v_mad_co_u64_u32 v[8:9], null, s6, v8, 0
	v_lshlrev_b64_e32 v[6:7], 2, v[6:7]
	v_add3_u32 v27, v56, v27, v55
	v_add3_u32 v41, v56, v41, v55
	v_add_co_u32 v55, vcc_lo, s8, v4
	v_add3_u32 v29, v58, v29, v57
	v_add3_u32 v43, v58, v43, v57
	s_wait_alu 0xfffd
	v_add_co_ci_u32_e64 v56, null, s9, v5, vcc_lo
	v_add_co_u32 v57, vcc_lo, s10, v4
	v_add3_u32 v31, v60, v31, v59
	v_add3_u32 v45, v60, v45, v59
	s_wait_alu 0xfffd
	v_add_co_ci_u32_e64 v58, null, s11, v5, vcc_lo
	v_add_co_u32 v59, vcc_lo, s8, v6
	v_mul_lo_u32 v14, s6, v14
	v_add3_u32 v9, v9, v13, v12
	s_wait_alu 0xfffd
	v_add_co_ci_u32_e64 v60, null, s9, v7, vcc_lo
	v_add_co_u32 v12, vcc_lo, v10, 4
	s_wait_kmcnt 0x0
	s_lshl_b32 s16, s2, 6
	v_add3_u32 v33, v62, v33, v61
	v_add3_u32 v47, v62, v47, v61
	v_add_co_u32 v61, s2, s10, v6
	s_wait_alu 0xfffd
	v_add_co_ci_u32_e64 v6, null, 0, v11, vcc_lo
	v_lshlrev_b64_e32 v[4:5], 2, v[8:9]
	v_add_co_u32 v8, vcc_lo, v10, 3
	s_wait_alu 0xfffd
	v_add_co_ci_u32_e64 v9, null, 0, v11, vcc_lo
	v_add3_u32 v25, v17, v25, v14
	v_add3_u32 v39, v17, v39, v14
	s_wait_alu 0xf1ff
	v_add_co_ci_u32_e64 v62, null, s11, v7, s2
	v_mul_lo_u32 v13, s7, v12
	v_mul_lo_u32 v14, s6, v6
	v_mad_co_u64_u32 v[6:7], null, s6, v12, 0
	v_mul_lo_u32 v12, s7, v8
	v_mul_lo_u32 v15, s6, v9
	v_mad_co_u64_u32 v[8:9], null, s6, v8, 0
	v_add_co_u32 v63, vcc_lo, s8, v4
	s_wait_alu 0xfffd
	v_add_co_ci_u32_e64 v64, null, s9, v5, vcc_lo
	v_add3_u32 v7, v7, v14, v13
	v_add_co_u32 v65, vcc_lo, s10, v4
	s_wait_alu 0xfffd
	v_add_co_ci_u32_e64 v66, null, s11, v5, vcc_lo
	v_add_co_u32 v10, vcc_lo, v10, 2
	v_add3_u32 v9, v9, v15, v12
	s_wait_alu 0xfffd
	v_add_co_ci_u32_e64 v11, null, 0, v11, vcc_lo
	v_lshlrev_b64_e32 v[4:5], 2, v[6:7]
	v_mul_lo_u32 v12, s7, v10
	v_lshlrev_b64_e32 v[6:7], 2, v[8:9]
	s_delay_alu instid0(VALU_DEP_4)
	v_mul_lo_u32 v11, s6, v11
	v_mad_co_u64_u32 v[8:9], null, s6, v10, 0
	v_add_co_u32 v67, vcc_lo, s8, v4
	s_wait_alu 0xfffd
	v_add_co_ci_u32_e64 v68, null, s9, v5, vcc_lo
	v_add_co_u32 v69, vcc_lo, s10, v4
	s_wait_alu 0xfffd
	v_add_co_ci_u32_e64 v70, null, s11, v5, vcc_lo
	;; [unrolled: 3-line block ×3, first 2 shown]
	v_add3_u32 v9, v9, v11, v12
	v_add_co_u32 v73, vcc_lo, s10, v6
	s_wait_alu 0xfffd
	v_add_co_ci_u32_e64 v74, null, s11, v7, vcc_lo
	v_add_co_u32 v2, vcc_lo, v2, s6
	s_wait_alu 0xfffd
	v_add_co_ci_u32_e64 v3, null, s7, v3, vcc_lo
	v_lshlrev_b64_e32 v[4:5], 2, v[8:9]
	s_wait_alu 0xfffe
	s_mul_u64 s[18:19], s[6:7], s[16:17]
	s_delay_alu instid0(VALU_DEP_2) | instskip(NEXT) | instid1(VALU_DEP_2)
	v_lshlrev_b64_e32 v[2:3], 2, v[2:3]
	v_add_co_u32 v75, vcc_lo, s8, v4
	s_wait_alu 0xfffd
	v_add_co_ci_u32_e64 v76, null, s9, v5, vcc_lo
	v_add_co_u32 v77, vcc_lo, s10, v4
	s_wait_alu 0xfffd
	v_add_co_ci_u32_e64 v78, null, s11, v5, vcc_lo
	v_add_co_u32 v79, vcc_lo, s8, v2
	s_wait_alu 0xfffd
	v_add_co_ci_u32_e64 v80, null, s9, v3, vcc_lo
	v_add_co_u32 v81, vcc_lo, s10, v2
	s_wait_alu 0xfffd
	v_add_co_ci_u32_e64 v82, null, s11, v3, vcc_lo
	s_add_nc_u64 s[8:9], s[0:1], 64
	s_wait_alu 0xfffe
	s_lshl_b64 s[10:11], s[18:19], 2
	s_add_nc_u64 s[18:19], s[14:15], 63
.LBB147_53:                             ; =>This Inner Loop Header: Depth=1
	s_wait_alu 0xfffe
	v_cmp_ge_i64_e64 s2, s[18:19], s[4:5]
	v_add_co_u32 v84, s20, v49, s18
	s_wait_alu 0xf1ff
	v_add_co_ci_u32_e64 v85, null, 0, s19, s20
                                        ; implicit-def: $vgpr86
	s_and_b32 vcc_lo, exec_lo, s2
	s_mov_b32 s2, -1
	s_wait_alu 0xfffe
	s_cbranch_vccz .LBB147_75
; %bb.54:                               ;   in Loop: Header=BB147_53 Depth=1
	s_load_b32 s2, s[8:9], 0xc
	v_mov_b32_e32 v87, 0
	s_wait_kmcnt 0x0
	s_and_b32 s2, s2, 0xffff
	s_wait_alu 0xfffe
	v_mad_u32_u24 v2, v48, s2, v50
	s_mov_b32 s2, exec_lo
	s_delay_alu instid0(VALU_DEP_1) | instskip(NEXT) | instid1(VALU_DEP_1)
	v_and_b32_e32 v2, 31, v2
	v_cmpx_gt_u32_e32 8, v2
	s_cbranch_execz .LBB147_58
; %bb.55:                               ;   in Loop: Header=BB147_53 Depth=1
	v_add_co_u32 v2, vcc_lo, v84, v2
	s_wait_alu 0xfffd
	v_add_co_ci_u32_e64 v3, null, 0, v85, vcc_lo
	v_mov_b32_e32 v87, 0
	s_delay_alu instid0(VALU_DEP_3) | instskip(SKIP_1) | instid1(VALU_DEP_3)
	v_add_co_u32 v2, vcc_lo, 0xffffffc1, v2
	s_wait_alu 0xfffd
	v_add_co_ci_u32_e64 v3, null, -1, v3, vcc_lo
	s_mov_b32 s20, exec_lo
	v_cmpx_gt_i64_e64 s[4:5], v[2:3]
	s_cbranch_execz .LBB147_57
; %bb.56:                               ;   in Loop: Header=BB147_53 Depth=1
	v_lshlrev_b64_e32 v[2:3], 2, v[2:3]
	s_delay_alu instid0(VALU_DEP_1) | instskip(SKIP_1) | instid1(VALU_DEP_2)
	v_add_co_u32 v2, vcc_lo, s12, v2
	s_wait_alu 0xfffd
	v_add_co_ci_u32_e64 v3, null, s13, v3, vcc_lo
	global_load_b32 v87, v[2:3], off
.LBB147_57:                             ;   in Loop: Header=BB147_53 Depth=1
	s_wait_alu 0xfffe
	s_or_b32 exec_lo, exec_lo, s20
.LBB147_58:                             ;   in Loop: Header=BB147_53 Depth=1
	s_wait_alu 0xfffe
	s_or_b32 exec_lo, exec_lo, s2
	v_add_co_u32 v9, vcc_lo, 0xffffffc1, v84
	s_wait_alu 0xfffd
	v_add_co_ci_u32_e64 v10, null, -1, v85, vcc_lo
	v_mov_b32_e32 v8, v1
	v_dual_mov_b32 v2, v1 :: v_dual_mov_b32 v3, v1
	v_dual_mov_b32 v4, v1 :: v_dual_mov_b32 v5, v1
	;; [unrolled: 1-line block ×3, first 2 shown]
	v_cmp_gt_i64_e32 vcc_lo, s[4:5], v[9:10]
	s_delay_alu instid0(VALU_DEP_3) | instskip(NEXT) | instid1(VALU_DEP_3)
	v_dual_mov_b32 v17, v8 :: v_dual_mov_b32 v14, v5
	v_dual_mov_b32 v15, v6 :: v_dual_mov_b32 v16, v7
	;; [unrolled: 1-line block ×4, first 2 shown]
	v_mov_b32_e32 v9, v8
	v_mov_b32_e32 v8, v7
	;; [unrolled: 1-line block ×8, first 2 shown]
	s_and_saveexec_b32 s2, vcc_lo
	s_cbranch_execz .LBB147_60
; %bb.59:                               ;   in Loop: Header=BB147_53 Depth=1
	v_add_co_u32 v2, vcc_lo, v51, v18
	s_wait_alu 0xfffd
	v_add_co_ci_u32_e64 v3, null, v52, v19, vcc_lo
	v_add_co_u32 v4, vcc_lo, v53, v18
	s_wait_alu 0xfffd
	v_add_co_ci_u32_e64 v5, null, v54, v19, vcc_lo
	global_load_b32 v2, v[2:3], off
	global_load_b32 v10, v[4:5], off
	v_dual_mov_b32 v3, v1 :: v_dual_mov_b32 v4, v1
	v_dual_mov_b32 v5, v1 :: v_dual_mov_b32 v6, v1
	;; [unrolled: 1-line block ×6, first 2 shown]
	v_mov_b32_e32 v15, v1
	v_mov_b32_e32 v17, v1
.LBB147_60:                             ;   in Loop: Header=BB147_53 Depth=1
	s_wait_alu 0xfffe
	s_or_b32 exec_lo, exec_lo, s2
	v_add_co_u32 v88, vcc_lo, 0xffffffc2, v84
	s_wait_alu 0xfffd
	v_add_co_ci_u32_e64 v89, null, -1, v85, vcc_lo
	s_mov_b32 s2, exec_lo
	v_cmpx_gt_i64_e64 s[4:5], v[88:89]
	s_cbranch_execz .LBB147_62
; %bb.61:                               ;   in Loop: Header=BB147_53 Depth=1
	v_add_co_u32 v88, vcc_lo, v79, v18
	s_wait_alu 0xfffd
	v_add_co_ci_u32_e64 v89, null, v80, v19, vcc_lo
	v_add_co_u32 v90, vcc_lo, v81, v18
	s_wait_alu 0xfffd
	v_add_co_ci_u32_e64 v91, null, v82, v19, vcc_lo
	global_load_b32 v3, v[88:89], off
	global_load_b32 v11, v[90:91], off
.LBB147_62:                             ;   in Loop: Header=BB147_53 Depth=1
	s_wait_alu 0xfffe
	s_or_b32 exec_lo, exec_lo, s2
	v_add_co_u32 v88, vcc_lo, 0xffffffc3, v84
	s_wait_alu 0xfffd
	v_add_co_ci_u32_e64 v89, null, -1, v85, vcc_lo
	s_mov_b32 s2, exec_lo
	v_cmpx_gt_i64_e64 s[4:5], v[88:89]
	s_cbranch_execz .LBB147_64
; %bb.63:                               ;   in Loop: Header=BB147_53 Depth=1
	v_add_co_u32 v88, vcc_lo, v75, v18
	s_wait_alu 0xfffd
	v_add_co_ci_u32_e64 v89, null, v76, v19, vcc_lo
	v_add_co_u32 v90, vcc_lo, v77, v18
	s_wait_alu 0xfffd
	v_add_co_ci_u32_e64 v91, null, v78, v19, vcc_lo
	global_load_b32 v4, v[88:89], off
	global_load_b32 v12, v[90:91], off
.LBB147_64:                             ;   in Loop: Header=BB147_53 Depth=1
	;; [unrolled: 18-line block ×7, first 2 shown]
	s_wait_alu 0xfffe
	s_or_b32 exec_lo, exec_lo, s2
	s_wait_loadcnt 0x0
	ds_bpermute_b32 v86, v1, v87
	ds_bpermute_b32 v88, v1, v87 offset:4
	ds_bpermute_b32 v89, v1, v87 offset:8
	v_dual_mul_f32 v2, v10, v2 :: v_dual_mul_f32 v3, v11, v3
	ds_bpermute_b32 v10, v1, v87 offset:12
	ds_bpermute_b32 v11, v1, v87 offset:16
	s_mov_b32 s2, 0
	s_wait_dscnt 0x4
	v_fma_f32 v86, v2, v86, v83
	v_mul_f32_e32 v2, v12, v4
	ds_bpermute_b32 v4, v1, v87 offset:20
	s_wait_dscnt 0x4
	v_dual_fmac_f32 v86, v3, v88 :: v_dual_mul_f32 v3, v13, v5
	ds_bpermute_b32 v5, v1, v87 offset:24
	s_wait_dscnt 0x4
	v_fmac_f32_e32 v86, v2, v89
	v_mul_f32_e32 v2, v14, v6
	v_mul_f32_e32 v6, v15, v7
	s_wait_dscnt 0x3
	s_delay_alu instid0(VALU_DEP_3)
	v_fmac_f32_e32 v86, v3, v10
	ds_bpermute_b32 v3, v1, v87 offset:28
	s_wait_dscnt 0x3
	v_fmac_f32_e32 v86, v2, v11
	v_mul_f32_e32 v2, v16, v8
	s_wait_dscnt 0x2
	s_delay_alu instid0(VALU_DEP_2) | instskip(SKIP_1) | instid1(VALU_DEP_1)
	v_fmac_f32_e32 v86, v6, v4
	s_wait_dscnt 0x1
	v_fmac_f32_e32 v86, v2, v5
	v_mul_f32_e32 v2, v17, v9
	s_wait_dscnt 0x0
	s_delay_alu instid0(VALU_DEP_1)
	v_fmac_f32_e32 v86, v2, v3
.LBB147_75:                             ;   in Loop: Header=BB147_53 Depth=1
	s_wait_alu 0xfffe
	s_and_b32 vcc_lo, exec_lo, s2
	s_wait_alu 0xfffe
	s_cbranch_vccz .LBB147_81
; %bb.76:                               ;   in Loop: Header=BB147_53 Depth=1
	s_load_b32 s2, s[8:9], 0x0
	v_mov_b32_e32 v4, 0
	s_wait_kmcnt 0x0
	s_cmp_lt_u32 ttmp9, s2
	s_cselect_b32 s2, 12, 18
	s_wait_alu 0xfffe
	s_add_nc_u64 s[20:21], s[8:9], s[2:3]
	s_load_u16 s2, s[20:21], 0x0
	s_wait_kmcnt 0x0
	v_mad_u32_u24 v2, v48, s2, v50
	s_mov_b32 s2, exec_lo
	s_delay_alu instid0(VALU_DEP_1) | instskip(NEXT) | instid1(VALU_DEP_1)
	v_and_b32_e32 v2, 31, v2
	v_cmpx_gt_u32_e32 8, v2
	s_cbranch_execz .LBB147_80
; %bb.77:                               ;   in Loop: Header=BB147_53 Depth=1
	v_add_co_u32 v2, vcc_lo, v84, v2
	s_wait_alu 0xfffd
	v_add_co_ci_u32_e64 v3, null, 0, v85, vcc_lo
	v_mov_b32_e32 v4, 0
	s_delay_alu instid0(VALU_DEP_3) | instskip(SKIP_1) | instid1(VALU_DEP_3)
	v_add_co_u32 v2, vcc_lo, 0xffffffc1, v2
	s_wait_alu 0xfffd
	v_add_co_ci_u32_e64 v3, null, -1, v3, vcc_lo
	s_mov_b32 s20, exec_lo
	v_cmpx_gt_i64_e64 s[4:5], v[2:3]
	s_cbranch_execz .LBB147_79
; %bb.78:                               ;   in Loop: Header=BB147_53 Depth=1
	v_lshlrev_b64_e32 v[2:3], 2, v[2:3]
	s_delay_alu instid0(VALU_DEP_1) | instskip(SKIP_1) | instid1(VALU_DEP_2)
	v_add_co_u32 v2, vcc_lo, s12, v2
	s_wait_alu 0xfffd
	v_add_co_ci_u32_e64 v3, null, s13, v3, vcc_lo
	global_load_b32 v4, v[2:3], off
.LBB147_79:                             ;   in Loop: Header=BB147_53 Depth=1
	s_wait_alu 0xfffe
	s_or_b32 exec_lo, exec_lo, s20
.LBB147_80:                             ;   in Loop: Header=BB147_53 Depth=1
	s_wait_alu 0xfffe
	s_or_b32 exec_lo, exec_lo, s2
	v_add_co_u32 v2, vcc_lo, v51, v18
	s_wait_alu 0xfffd
	v_add_co_ci_u32_e64 v3, null, v52, v19, vcc_lo
	v_add_co_u32 v5, vcc_lo, v53, v18
	s_wait_alu 0xfffd
	v_add_co_ci_u32_e64 v6, null, v54, v19, vcc_lo
	;; [unrolled: 3-line block ×4, first 2 shown]
	global_load_b32 v13, v[2:3], off
	global_load_b32 v14, v[5:6], off
	;; [unrolled: 1-line block ×4, first 2 shown]
	v_add_co_u32 v2, vcc_lo, v22, v18
	s_wait_alu 0xfffd
	v_add_co_ci_u32_e64 v3, null, v23, v19, vcc_lo
	v_add_co_u32 v5, vcc_lo, v36, v18
	s_wait_alu 0xfffd
	v_add_co_ci_u32_e64 v6, null, v37, v19, vcc_lo
	;; [unrolled: 3-line block ×5, first 2 shown]
	global_load_b32 v17, v[2:3], off
	global_load_b32 v84, v[5:6], off
	;; [unrolled: 1-line block ×5, first 2 shown]
	v_add_co_u32 v2, vcc_lo, v40, v18
	s_wait_alu 0xfffd
	v_add_co_ci_u32_e64 v3, null, v41, v19, vcc_lo
	v_add_co_u32 v5, vcc_lo, v28, v18
	s_wait_alu 0xfffd
	v_add_co_ci_u32_e64 v6, null, v29, v19, vcc_lo
	;; [unrolled: 3-line block ×5, first 2 shown]
	global_load_b32 v88, v[2:3], off
	global_load_b32 v89, v[5:6], off
	;; [unrolled: 1-line block ×5, first 2 shown]
	v_add_co_u32 v2, vcc_lo, v32, v18
	s_wait_alu 0xfffd
	v_add_co_ci_u32_e64 v3, null, v33, v19, vcc_lo
	v_add_co_u32 v5, vcc_lo, v46, v18
	s_wait_alu 0xfffd
	v_add_co_ci_u32_e64 v6, null, v47, v19, vcc_lo
	global_load_b32 v2, v[2:3], off
	global_load_b32 v3, v[5:6], off
	s_wait_loadcnt 0x10
	ds_bpermute_b32 v5, v1, v4
	ds_bpermute_b32 v6, v1, v4 offset:4
	ds_bpermute_b32 v10, v1, v4 offset:8
	;; [unrolled: 1-line block ×3, first 2 shown]
	s_wait_loadcnt 0xe
	v_mul_f32_e32 v12, v13, v14
	ds_bpermute_b32 v13, v1, v4 offset:16
	s_wait_loadcnt_dscnt 0xc04
	v_dual_mul_f32 v14, v15, v16 :: v_dual_fmac_f32 v83, v12, v5
	ds_bpermute_b32 v5, v1, v4 offset:20
	s_wait_dscnt 0x4
	v_fmac_f32_e32 v83, v14, v6
	ds_bpermute_b32 v6, v1, v4 offset:24
	ds_bpermute_b32 v4, v1, v4 offset:28
	s_wait_loadcnt 0xa
	v_mul_f32_e32 v12, v17, v84
	s_wait_loadcnt_dscnt 0x605
	s_delay_alu instid0(VALU_DEP_1) | instskip(SKIP_4) | instid1(VALU_DEP_2)
	v_dual_fmac_f32 v83, v12, v10 :: v_dual_mul_f32 v10, v87, v88
	v_mul_f32_e32 v14, v85, v86
	s_wait_loadcnt 0x2
	v_dual_mul_f32 v7, v89, v7 :: v_dual_mul_f32 v8, v8, v9
	s_wait_dscnt 0x4
	v_fmac_f32_e32 v83, v14, v11
	s_wait_dscnt 0x3
	s_delay_alu instid0(VALU_DEP_1) | instskip(SKIP_1) | instid1(VALU_DEP_1)
	v_fmac_f32_e32 v83, v10, v13
	s_wait_loadcnt_dscnt 0x2
	v_dual_mul_f32 v2, v2, v3 :: v_dual_fmac_f32 v83, v7, v5
	s_wait_dscnt 0x1
	s_delay_alu instid0(VALU_DEP_1) | instskip(SKIP_1) | instid1(VALU_DEP_1)
	v_fmac_f32_e32 v83, v8, v6
	s_wait_dscnt 0x0
	v_fmac_f32_e32 v83, v2, v4
	s_delay_alu instid0(VALU_DEP_1)
	v_mov_b32_e32 v86, v83
.LBB147_81:                             ;   in Loop: Header=BB147_53 Depth=1
	v_add_co_u32 v51, vcc_lo, v51, s10
	s_wait_alu 0xfffd
	v_add_co_ci_u32_e64 v52, null, s11, v52, vcc_lo
	v_add_co_u32 v53, vcc_lo, v53, s10
	s_wait_alu 0xfffd
	v_add_co_ci_u32_e64 v54, null, s11, v54, vcc_lo
	;; [unrolled: 3-line block ×27, first 2 shown]
	v_add_co_u32 v77, vcc_lo, v77, s10
	s_add_nc_u64 s[14:15], s[14:15], s[16:17]
	s_wait_alu 0xfffd
	v_add_co_ci_u32_e64 v78, null, s11, v78, vcc_lo
	v_add_co_u32 v79, vcc_lo, v79, s10
	s_wait_alu 0xfffe
	v_cmp_ge_i64_e64 s2, s[14:15], s[4:5]
	s_wait_alu 0xfffd
	v_add_co_ci_u32_e64 v80, null, s11, v80, vcc_lo
	v_add_co_u32 v81, vcc_lo, v81, s10
	s_wait_alu 0xfffd
	v_add_co_ci_u32_e64 v82, null, s11, v82, vcc_lo
	s_and_b32 vcc_lo, exec_lo, s2
	s_add_nc_u64 s[18:19], s[18:19], s[16:17]
	s_wait_alu 0xfffe
	s_cbranch_vccnz .LBB147_83
; %bb.82:                               ;   in Loop: Header=BB147_53 Depth=1
	v_mov_b32_e32 v83, v86
	s_branch .LBB147_53
.LBB147_83:
	v_and_b32_e32 v8, 0x3ff, v0
	v_bfe_u32 v0, v0, 10, 10
	v_mov_b32_e32 v4, 0
	s_mov_b32 s2, exec_lo
	s_delay_alu instid0(VALU_DEP_2) | instskip(NEXT) | instid1(VALU_DEP_1)
	v_mad_u32_u24 v1, 0x41, v0, v8
	v_lshl_add_u32 v2, v1, 2, 0
	v_sub_nc_u32_e32 v3, v1, v0
	ds_store_b32 v2, v86
	ds_store_b32 v2, v4 offset:2080
	s_wait_dscnt 0x0
	s_barrier_signal -1
	s_barrier_wait -1
	global_inv scope:SCOPE_SE
	v_cmpx_gt_u32_e32 0x800, v3
	s_cbranch_execz .LBB147_103
; %bb.84:
	s_load_b64 s[2:3], s[0:1], 0x30
	v_and_b32_e32 v0, 31, v8
	v_lshrrev_b32_e32 v2, 5, v3
	s_delay_alu instid0(VALU_DEP_2)
	v_cmp_gt_u32_e32 vcc_lo, 8, v0
	v_mul_u32_u24_e32 v4, 0x41, v0
                                        ; implicit-def: $vgpr0
	s_and_saveexec_b32 s0, vcc_lo
	s_cbranch_execz .LBB147_86
; %bb.85:
	v_lshlrev_b32_e32 v0, 2, v2
	s_delay_alu instid0(VALU_DEP_2) | instskip(NEXT) | instid1(VALU_DEP_1)
	v_lshlrev_b32_e32 v1, 2, v4
	v_add3_u32 v0, 0, v0, v1
	ds_load_b32 v0, v0
.LBB147_86:
	s_or_b32 exec_lo, exec_lo, s0
	v_mbcnt_lo_u32_b32 v1, -1, 0
	s_mov_b32 s4, ttmp9
	s_mov_b32 s5, 0
	s_wait_alu 0xfffe
	s_lshl_b64 s[4:5], s[4:5], 6
	v_xor_b32_e32 v5, 4, v1
	v_xor_b32_e32 v6, 2, v1
	;; [unrolled: 1-line block ×3, first 2 shown]
	s_wait_kmcnt 0x0
	s_cmp_eq_u64 s[2:3], 0
	s_cselect_b32 s8, -1, 0
	v_cmp_gt_i32_e64 s0, 32, v5
	s_delay_alu instid0(VALU_DEP_1) | instskip(SKIP_1) | instid1(VALU_DEP_2)
	v_cndmask_b32_e64 v5, v1, v5, s0
	v_cmp_gt_i32_e64 s0, 32, v6
	v_lshlrev_b32_e32 v5, 2, v5
	s_wait_alu 0xf1ff
	s_delay_alu instid0(VALU_DEP_2)
	v_cndmask_b32_e64 v6, v1, v6, s0
	v_cmp_gt_i32_e64 s0, 32, v9
	s_wait_dscnt 0x0
	ds_bpermute_b32 v7, v5, v0
	s_wait_alu 0xf1ff
	v_cndmask_b32_e64 v1, v1, v9, s0
	v_cmp_ne_u32_e64 s0, 0, v8
	s_wait_dscnt 0x0
	v_add_f32_e32 v0, v0, v7
	v_lshlrev_b32_e32 v6, 2, v6
	ds_bpermute_b32 v7, v6, v0
	s_wait_dscnt 0x0
	v_add_f32_e32 v9, v0, v7
	v_lshlrev_b32_e32 v7, 2, v1
	s_wait_alu 0xfffe
	v_or_b32_e32 v0, s4, v2
	v_mov_b32_e32 v1, s5
	ds_bpermute_b32 v10, v7, v9
	v_cmp_le_i64_e64 s1, s[6:7], v[0:1]
	s_or_b32 s1, s0, s1
	s_wait_alu 0xfffe
	s_nor_b32 s1, s8, s1
	s_wait_dscnt 0x0
	v_add_f32_e32 v8, v9, v10
	s_wait_alu 0xfffe
	s_and_saveexec_b32 s9, s1
	s_cbranch_execz .LBB147_88
; %bb.87:
	v_lshlrev_b64_e32 v[0:1], 2, v[0:1]
	s_delay_alu instid0(VALU_DEP_1) | instskip(SKIP_1) | instid1(VALU_DEP_2)
	v_add_co_u32 v0, s1, s2, v0
	s_wait_alu 0xf1ff
	v_add_co_ci_u32_e64 v1, null, s3, v1, s1
	global_store_b32 v[0:1], v8, off
.LBB147_88:
	s_wait_alu 0xfffe
	s_or_b32 exec_lo, exec_lo, s9
	v_cmp_gt_u32_e64 s1, 0x600, v3
	s_and_b32 exec_lo, exec_lo, s1
	s_cbranch_execz .LBB147_103
; %bb.89:
	s_and_saveexec_b32 s1, vcc_lo
	s_cbranch_execz .LBB147_91
; %bb.90:
	v_lshlrev_b32_e32 v0, 2, v2
	v_lshlrev_b32_e32 v1, 2, v4
	s_delay_alu instid0(VALU_DEP_1)
	v_add3_u32 v0, 0, v0, v1
	ds_load_b32 v8, v0 offset:64
.LBB147_91:
	s_wait_alu 0xfffe
	s_or_b32 exec_lo, exec_lo, s1
	s_wait_dscnt 0x0
	ds_bpermute_b32 v0, v5, v8
	s_wait_dscnt 0x0
	v_add_f32_e32 v0, v8, v0
	ds_bpermute_b32 v1, v6, v0
	s_wait_dscnt 0x0
	v_add_f32_e32 v8, v0, v1
	v_add_nc_u32_e32 v0, 16, v2
	ds_bpermute_b32 v9, v7, v8
	v_add_co_u32 v0, s1, s4, v0
	s_wait_alu 0xf1ff
	v_add_co_ci_u32_e64 v1, null, s5, 0, s1
	s_delay_alu instid0(VALU_DEP_1)
	v_cmp_le_i64_e64 s1, s[6:7], v[0:1]
	s_or_b32 s1, s0, s1
	s_wait_alu 0xfffe
	s_nor_b32 s1, s8, s1
	s_wait_dscnt 0x0
	v_add_f32_e32 v0, v8, v9
	s_wait_alu 0xfffe
	s_and_saveexec_b32 s9, s1
	s_cbranch_execz .LBB147_93
; %bb.92:
	v_add_co_u32 v8, s1, s4, v2
	s_wait_alu 0xf1ff
	v_add_co_ci_u32_e64 v9, null, s5, 0, s1
	s_delay_alu instid0(VALU_DEP_1) | instskip(NEXT) | instid1(VALU_DEP_1)
	v_lshlrev_b64_e32 v[8:9], 2, v[8:9]
	v_add_co_u32 v8, s1, s2, v8
	s_wait_alu 0xf1ff
	s_delay_alu instid0(VALU_DEP_2)
	v_add_co_ci_u32_e64 v9, null, s3, v9, s1
	global_store_b32 v[8:9], v0, off offset:64
.LBB147_93:
	s_wait_alu 0xfffe
	s_or_b32 exec_lo, exec_lo, s9
	v_cmp_gt_u32_e64 s1, 0x400, v3
	s_and_b32 exec_lo, exec_lo, s1
	s_cbranch_execz .LBB147_103
; %bb.94:
	s_and_saveexec_b32 s1, vcc_lo
	s_cbranch_execz .LBB147_96
; %bb.95:
	v_lshlrev_b32_e32 v0, 2, v2
	v_lshlrev_b32_e32 v1, 2, v4
	s_delay_alu instid0(VALU_DEP_1)
	v_add3_u32 v0, 0, v0, v1
	ds_load_b32 v0, v0 offset:128
.LBB147_96:
	s_wait_alu 0xfffe
	s_or_b32 exec_lo, exec_lo, s1
	s_wait_dscnt 0x0
	ds_bpermute_b32 v1, v5, v0
	s_wait_dscnt 0x0
	v_add_f32_e32 v0, v0, v1
	ds_bpermute_b32 v1, v6, v0
	s_wait_dscnt 0x0
	v_add_f32_e32 v8, v0, v1
	v_dual_mov_b32 v1, s5 :: v_dual_add_nc_u32 v0, 32, v2
	ds_bpermute_b32 v9, v7, v8
	v_or_b32_e32 v0, s4, v0
	s_delay_alu instid0(VALU_DEP_1)
	v_cmp_le_i64_e64 s1, s[6:7], v[0:1]
	s_or_b32 s1, s0, s1
	s_wait_alu 0xfffe
	s_nor_b32 s1, s8, s1
	s_wait_dscnt 0x0
	v_add_f32_e32 v0, v8, v9
	s_wait_alu 0xfffe
	s_and_saveexec_b32 s9, s1
	s_cbranch_execz .LBB147_98
; %bb.97:
	v_add_co_u32 v8, s1, s4, v2
	s_wait_alu 0xf1ff
	v_add_co_ci_u32_e64 v9, null, s5, 0, s1
	s_delay_alu instid0(VALU_DEP_1) | instskip(NEXT) | instid1(VALU_DEP_1)
	v_lshlrev_b64_e32 v[8:9], 2, v[8:9]
	v_add_co_u32 v8, s1, s2, v8
	s_wait_alu 0xf1ff
	s_delay_alu instid0(VALU_DEP_2)
	v_add_co_ci_u32_e64 v9, null, s3, v9, s1
	global_store_b32 v[8:9], v0, off offset:128
.LBB147_98:
	s_wait_alu 0xfffe
	s_or_b32 exec_lo, exec_lo, s9
	v_cmp_gt_u32_e64 s1, 0x200, v3
	s_and_b32 exec_lo, exec_lo, s1
	s_cbranch_execz .LBB147_103
; %bb.99:
	s_and_saveexec_b32 s1, vcc_lo
	s_cbranch_execz .LBB147_101
; %bb.100:
	v_lshlrev_b32_e32 v0, 2, v2
	v_lshlrev_b32_e32 v1, 2, v4
	s_delay_alu instid0(VALU_DEP_1)
	v_add3_u32 v0, 0, v0, v1
	ds_load_b32 v0, v0 offset:192
.LBB147_101:
	s_wait_alu 0xfffe
	s_or_b32 exec_lo, exec_lo, s1
	s_wait_dscnt 0x0
	ds_bpermute_b32 v1, v5, v0
	v_dual_mov_b32 v4, s5 :: v_dual_add_nc_u32 v3, 48, v2
	s_delay_alu instid0(VALU_DEP_1) | instskip(NEXT) | instid1(VALU_DEP_1)
	v_or_b32_e32 v3, s4, v3
	v_cmp_le_i64_e32 vcc_lo, s[6:7], v[3:4]
	s_or_b32 s0, s0, vcc_lo
	s_wait_dscnt 0x0
	v_add_f32_e32 v0, v0, v1
	s_wait_alu 0xfffe
	s_nor_b32 s0, s8, s0
	ds_bpermute_b32 v1, v6, v0
	s_wait_dscnt 0x0
	v_add_f32_e32 v0, v0, v1
	ds_bpermute_b32 v1, v7, v0
	s_wait_alu 0xfffe
	s_and_saveexec_b32 s1, s0
	s_wait_alu 0xfffe
	s_xor_b32 s1, exec_lo, s1
	s_cbranch_execz .LBB147_103
; %bb.102:
	v_add_co_u32 v2, s0, s4, v2
	s_wait_alu 0xf1ff
	v_add_co_ci_u32_e64 v3, null, s5, 0, s0
	s_wait_dscnt 0x0
	v_add_f32_e32 v4, v0, v1
	s_delay_alu instid0(VALU_DEP_2) | instskip(NEXT) | instid1(VALU_DEP_1)
	v_lshlrev_b64_e32 v[2:3], 2, v[2:3]
	v_add_co_u32 v0, vcc_lo, s2, v2
	s_wait_alu 0xfffd
	s_delay_alu instid0(VALU_DEP_2)
	v_add_co_ci_u32_e64 v1, null, s3, v3, vcc_lo
	global_store_b32 v[0:1], v4, off offset:192
.LBB147_103:
	s_endpgm
	.section	.rodata,"a",@progbits
	.p2align	6, 0x0
	.amdhsa_kernel _ZN2at6native12_GLOBAL__N_135GammaBetaBackwardCUDAKernelTemplateIffLj64ELj8ELj64ELb0ELb0ELb1EEEvllPKT_S5_PKT0_S8_PS3_S9_
		.amdhsa_group_segment_fixed_size 0
		.amdhsa_private_segment_fixed_size 0
		.amdhsa_kernarg_size 320
		.amdhsa_user_sgpr_count 2
		.amdhsa_user_sgpr_dispatch_ptr 0
		.amdhsa_user_sgpr_queue_ptr 0
		.amdhsa_user_sgpr_kernarg_segment_ptr 1
		.amdhsa_user_sgpr_dispatch_id 0
		.amdhsa_user_sgpr_private_segment_size 0
		.amdhsa_wavefront_size32 1
		.amdhsa_uses_dynamic_stack 0
		.amdhsa_enable_private_segment 0
		.amdhsa_system_sgpr_workgroup_id_x 1
		.amdhsa_system_sgpr_workgroup_id_y 1
		.amdhsa_system_sgpr_workgroup_id_z 0
		.amdhsa_system_sgpr_workgroup_info 0
		.amdhsa_system_vgpr_workitem_id 1
		.amdhsa_next_free_vgpr 92
		.amdhsa_next_free_sgpr 32
		.amdhsa_reserve_vcc 1
		.amdhsa_float_round_mode_32 0
		.amdhsa_float_round_mode_16_64 0
		.amdhsa_float_denorm_mode_32 3
		.amdhsa_float_denorm_mode_16_64 3
		.amdhsa_fp16_overflow 0
		.amdhsa_workgroup_processor_mode 1
		.amdhsa_memory_ordered 1
		.amdhsa_forward_progress 1
		.amdhsa_inst_pref_size 76
		.amdhsa_round_robin_scheduling 0
		.amdhsa_exception_fp_ieee_invalid_op 0
		.amdhsa_exception_fp_denorm_src 0
		.amdhsa_exception_fp_ieee_div_zero 0
		.amdhsa_exception_fp_ieee_overflow 0
		.amdhsa_exception_fp_ieee_underflow 0
		.amdhsa_exception_fp_ieee_inexact 0
		.amdhsa_exception_int_div_zero 0
	.end_amdhsa_kernel
	.section	.text._ZN2at6native12_GLOBAL__N_135GammaBetaBackwardCUDAKernelTemplateIffLj64ELj8ELj64ELb0ELb0ELb1EEEvllPKT_S5_PKT0_S8_PS3_S9_,"axG",@progbits,_ZN2at6native12_GLOBAL__N_135GammaBetaBackwardCUDAKernelTemplateIffLj64ELj8ELj64ELb0ELb0ELb1EEEvllPKT_S5_PKT0_S8_PS3_S9_,comdat
.Lfunc_end147:
	.size	_ZN2at6native12_GLOBAL__N_135GammaBetaBackwardCUDAKernelTemplateIffLj64ELj8ELj64ELb0ELb0ELb1EEEvllPKT_S5_PKT0_S8_PS3_S9_, .Lfunc_end147-_ZN2at6native12_GLOBAL__N_135GammaBetaBackwardCUDAKernelTemplateIffLj64ELj8ELj64ELb0ELb0ELb1EEEvllPKT_S5_PKT0_S8_PS3_S9_
                                        ; -- End function
	.set _ZN2at6native12_GLOBAL__N_135GammaBetaBackwardCUDAKernelTemplateIffLj64ELj8ELj64ELb0ELb0ELb1EEEvllPKT_S5_PKT0_S8_PS3_S9_.num_vgpr, 92
	.set _ZN2at6native12_GLOBAL__N_135GammaBetaBackwardCUDAKernelTemplateIffLj64ELj8ELj64ELb0ELb0ELb1EEEvllPKT_S5_PKT0_S8_PS3_S9_.num_agpr, 0
	.set _ZN2at6native12_GLOBAL__N_135GammaBetaBackwardCUDAKernelTemplateIffLj64ELj8ELj64ELb0ELb0ELb1EEEvllPKT_S5_PKT0_S8_PS3_S9_.numbered_sgpr, 32
	.set _ZN2at6native12_GLOBAL__N_135GammaBetaBackwardCUDAKernelTemplateIffLj64ELj8ELj64ELb0ELb0ELb1EEEvllPKT_S5_PKT0_S8_PS3_S9_.num_named_barrier, 0
	.set _ZN2at6native12_GLOBAL__N_135GammaBetaBackwardCUDAKernelTemplateIffLj64ELj8ELj64ELb0ELb0ELb1EEEvllPKT_S5_PKT0_S8_PS3_S9_.private_seg_size, 0
	.set _ZN2at6native12_GLOBAL__N_135GammaBetaBackwardCUDAKernelTemplateIffLj64ELj8ELj64ELb0ELb0ELb1EEEvllPKT_S5_PKT0_S8_PS3_S9_.uses_vcc, 1
	.set _ZN2at6native12_GLOBAL__N_135GammaBetaBackwardCUDAKernelTemplateIffLj64ELj8ELj64ELb0ELb0ELb1EEEvllPKT_S5_PKT0_S8_PS3_S9_.uses_flat_scratch, 0
	.set _ZN2at6native12_GLOBAL__N_135GammaBetaBackwardCUDAKernelTemplateIffLj64ELj8ELj64ELb0ELb0ELb1EEEvllPKT_S5_PKT0_S8_PS3_S9_.has_dyn_sized_stack, 0
	.set _ZN2at6native12_GLOBAL__N_135GammaBetaBackwardCUDAKernelTemplateIffLj64ELj8ELj64ELb0ELb0ELb1EEEvllPKT_S5_PKT0_S8_PS3_S9_.has_recursion, 0
	.set _ZN2at6native12_GLOBAL__N_135GammaBetaBackwardCUDAKernelTemplateIffLj64ELj8ELj64ELb0ELb0ELb1EEEvllPKT_S5_PKT0_S8_PS3_S9_.has_indirect_call, 0
	.section	.AMDGPU.csdata,"",@progbits
; Kernel info:
; codeLenInByte = 9684
; TotalNumSgprs: 34
; NumVgprs: 92
; ScratchSize: 0
; MemoryBound: 0
; FloatMode: 240
; IeeeMode: 1
; LDSByteSize: 0 bytes/workgroup (compile time only)
; SGPRBlocks: 0
; VGPRBlocks: 11
; NumSGPRsForWavesPerEU: 34
; NumVGPRsForWavesPerEU: 92
; Occupancy: 16
; WaveLimiterHint : 0
; COMPUTE_PGM_RSRC2:SCRATCH_EN: 0
; COMPUTE_PGM_RSRC2:USER_SGPR: 2
; COMPUTE_PGM_RSRC2:TRAP_HANDLER: 0
; COMPUTE_PGM_RSRC2:TGID_X_EN: 1
; COMPUTE_PGM_RSRC2:TGID_Y_EN: 1
; COMPUTE_PGM_RSRC2:TGID_Z_EN: 0
; COMPUTE_PGM_RSRC2:TIDIG_COMP_CNT: 1
	.section	.text._ZN2at6native12_GLOBAL__N_135GammaBetaBackwardCUDAKernelTemplateIffLj64ELj16ELj128ELb0ELb1ELb1EEEvllPKT_S5_PKT0_S8_PS3_S9_,"axG",@progbits,_ZN2at6native12_GLOBAL__N_135GammaBetaBackwardCUDAKernelTemplateIffLj64ELj16ELj128ELb0ELb1ELb1EEEvllPKT_S5_PKT0_S8_PS3_S9_,comdat
	.globl	_ZN2at6native12_GLOBAL__N_135GammaBetaBackwardCUDAKernelTemplateIffLj64ELj16ELj128ELb0ELb1ELb1EEEvllPKT_S5_PKT0_S8_PS3_S9_ ; -- Begin function _ZN2at6native12_GLOBAL__N_135GammaBetaBackwardCUDAKernelTemplateIffLj64ELj16ELj128ELb0ELb1ELb1EEEvllPKT_S5_PKT0_S8_PS3_S9_
	.p2align	8
	.type	_ZN2at6native12_GLOBAL__N_135GammaBetaBackwardCUDAKernelTemplateIffLj64ELj16ELj128ELb0ELb1ELb1EEEvllPKT_S5_PKT0_S8_PS3_S9_,@function
_ZN2at6native12_GLOBAL__N_135GammaBetaBackwardCUDAKernelTemplateIffLj64ELj16ELj128ELb0ELb1ELb1EEEvllPKT_S5_PKT0_S8_PS3_S9_: ; @_ZN2at6native12_GLOBAL__N_135GammaBetaBackwardCUDAKernelTemplateIffLj64ELj16ELj128ELb0ELb1ELb1EEEvllPKT_S5_PKT0_S8_PS3_S9_
; %bb.0:
	s_load_b128 s[4:7], s[0:1], 0x0
	s_lshl_b32 s12, ttmp7, 7
	s_mov_b32 s13, 0
	v_bfe_u32 v7, v0, 10, 10
	s_wait_kmcnt 0x0
	v_cmp_gt_i64_e64 s2, s[4:5], s[12:13]
	s_and_b32 vcc_lo, exec_lo, s2
	s_cbranch_vccnz .LBB148_2
; %bb.1:
	v_bfe_u32 v1, v0, 10, 10
	s_mov_b32 s2, s13
	v_and_b32_e32 v6, 0x3ff, v0
	v_mov_b32_e32 v0, 0
	s_and_not1_b32 vcc_lo, exec_lo, s2
	s_cbranch_vccz .LBB148_3
	s_branch .LBB148_10
.LBB148_2:
                                        ; implicit-def: $vgpr1
	v_and_b32_e32 v6, 0x3ff, v0
	v_mov_b32_e32 v0, 0
.LBB148_3:
	s_load_b32 s2, s[0:1], 0x4c
	v_dual_mov_b32 v1, 0 :: v_dual_lshlrev_b32 v0, 3, v7
	s_clause 0x2
	s_load_b32 s3, s[0:1], 0x44
	s_load_b128 s[8:11], s[0:1], 0x10
	s_load_b64 s[16:17], s[0:1], 0x28
	s_mov_b32 s15, 0
	v_dual_mov_b32 v8, 8 :: v_dual_mov_b32 v9, 4
	v_add_co_u32 v2, s14, v0, s12
	s_delay_alu instid0(VALU_DEP_1) | instskip(SKIP_1) | instid1(VALU_DEP_3)
	v_add_co_ci_u32_e64 v3, null, 0, 0, s14
	v_lshl_add_u32 v0, ttmp9, 6, v6
	v_mul_lo_u32 v13, s7, v2
	v_mad_co_u64_u32 v[4:5], null, s6, v2, 0
	s_delay_alu instid0(VALU_DEP_4) | instskip(NEXT) | instid1(VALU_DEP_4)
	v_mul_lo_u32 v14, s6, v3
	v_lshlrev_b64_e32 v[15:16], 2, v[0:1]
	v_dual_mov_b32 v10, 12 :: v_dual_mov_b32 v11, 16
	v_mov_b32_e32 v0, 0
	s_wait_kmcnt 0x0
	s_and_b32 s2, s2, 0xffff
	s_lshl_b32 s14, s3, 7
	v_mad_u32_u24 v12, v7, s2, v6
	v_add3_u32 v5, v5, v14, v13
	v_dual_mov_b32 v13, 24 :: v_dual_mov_b32 v14, 28
	s_wait_alu 0xfffe
	s_mul_u64 s[18:19], s[6:7], s[14:15]
	v_dual_mov_b32 v12, 20 :: v_dual_and_b32 v19, 31, v12
	v_lshlrev_b64_e32 v[4:5], 2, v[4:5]
	s_lshl_b64 s[18:19], s[18:19], 2
	s_lshl_b64 s[6:7], s[6:7], 2
	s_delay_alu instid0(VALU_DEP_2) | instskip(NEXT) | instid1(VALU_DEP_1)
	v_add_co_u32 v2, vcc_lo, v2, v19
	v_add_co_ci_u32_e64 v3, null, 0, v3, vcc_lo
	s_delay_alu instid0(VALU_DEP_3) | instskip(SKIP_2) | instid1(VALU_DEP_3)
	v_add_co_u32 v15, vcc_lo, v4, v15
	s_wait_alu 0xfffd
	v_add_co_ci_u32_e64 v16, null, v5, v16, vcc_lo
	v_lshlrev_b64_e32 v[17:18], 2, v[2:3]
	v_cmp_gt_u32_e64 s2, 8, v19
	s_delay_alu instid0(VALU_DEP_2) | instskip(SKIP_1) | instid1(VALU_DEP_3)
	v_add_co_u32 v4, vcc_lo, s16, v17
	s_wait_alu 0xfffd
	v_add_co_ci_u32_e64 v5, null, s17, v18, vcc_lo
	s_lshl_b64 s[16:17], s[14:15], 2
	s_branch .LBB148_6
.LBB148_4:                              ;   in Loop: Header=BB148_6 Depth=1
	s_or_b32 exec_lo, exec_lo, s20
.LBB148_5:                              ;   in Loop: Header=BB148_6 Depth=1
	s_wait_alu 0xfffe
	s_or_b32 exec_lo, exec_lo, s3
	v_add_co_u32 v18, vcc_lo, s8, v15
	s_wait_alu 0xfffd
	v_add_co_ci_u32_e64 v19, null, s9, v16, vcc_lo
	v_add_co_u32 v20, vcc_lo, s10, v15
	s_wait_alu 0xfffd
	v_add_co_ci_u32_e64 v21, null, s11, v16, vcc_lo
	;; [unrolled: 3-line block ×5, first 2 shown]
	global_load_b32 v28, v[18:19], off
	global_load_b32 v29, v[20:21], off
	;; [unrolled: 1-line block ×5, first 2 shown]
	v_add_co_u32 v18, vcc_lo, v24, s6
	s_wait_alu 0xfffd
	v_add_co_ci_u32_e64 v19, null, s7, v25, vcc_lo
	v_add_co_u32 v20, vcc_lo, v26, s6
	s_wait_alu 0xfffd
	v_add_co_ci_u32_e64 v21, null, s7, v27, vcc_lo
	;; [unrolled: 3-line block ×5, first 2 shown]
	global_load_b32 v33, v[18:19], off
	global_load_b32 v34, v[20:21], off
	;; [unrolled: 1-line block ×5, first 2 shown]
	v_add_co_u32 v18, vcc_lo, v24, s6
	s_wait_alu 0xfffd
	v_add_co_ci_u32_e64 v19, null, s7, v25, vcc_lo
	v_add_co_u32 v20, vcc_lo, v26, s6
	s_wait_alu 0xfffd
	v_add_co_ci_u32_e64 v21, null, s7, v27, vcc_lo
	;; [unrolled: 3-line block ×4, first 2 shown]
	global_load_b32 v26, v[18:19], off
	global_load_b32 v27, v[20:21], off
	;; [unrolled: 1-line block ×4, first 2 shown]
	v_add_co_u32 v18, vcc_lo, v22, s6
	s_wait_alu 0xfffd
	v_add_co_ci_u32_e64 v19, null, s7, v23, vcc_lo
	v_add_co_u32 v20, vcc_lo, v24, s6
	s_wait_alu 0xfffd
	v_add_co_ci_u32_e64 v21, null, s7, v25, vcc_lo
	global_load_b32 v18, v[18:19], off
	global_load_b32 v19, v[20:21], off
	s_wait_loadcnt 0x10
	ds_bpermute_b32 v20, v1, v17
	ds_bpermute_b32 v21, v9, v17
	;; [unrolled: 1-line block ×4, first 2 shown]
	v_add_co_u32 v4, vcc_lo, v4, s16
	s_add_nc_u64 s[12:13], s[12:13], s[14:15]
	s_wait_alu 0xfffd
	v_add_co_ci_u32_e64 v5, null, s17, v5, vcc_lo
	v_add_co_u32 v2, vcc_lo, v2, s14
	s_wait_alu 0xfffe
	v_cmp_lt_i64_e64 s3, s[12:13], s[4:5]
	s_wait_alu 0xfffd
	v_add_co_ci_u32_e64 v3, null, 0, v3, vcc_lo
	v_add_co_u32 v15, vcc_lo, v15, s18
	s_wait_alu 0xfffd
	v_add_co_ci_u32_e64 v16, null, s19, v16, vcc_lo
	s_and_b32 vcc_lo, exec_lo, s3
	s_wait_loadcnt 0xe
	v_mul_f32_e32 v23, v28, v29
	s_wait_dscnt 0x3
	s_delay_alu instid0(VALU_DEP_1)
	v_fmac_f32_e32 v0, v23, v20
	s_wait_loadcnt 0xc
	v_mul_f32_e32 v20, v30, v31
	ds_bpermute_b32 v23, v11, v17
	s_wait_dscnt 0x3
	v_fmac_f32_e32 v0, v20, v21
	ds_bpermute_b32 v21, v12, v17
	s_wait_loadcnt 0xa
	v_mul_f32_e32 v20, v32, v33
	s_wait_dscnt 0x3
	s_delay_alu instid0(VALU_DEP_1)
	v_fmac_f32_e32 v0, v20, v22
	s_wait_loadcnt 0x8
	v_mul_f32_e32 v20, v34, v35
	ds_bpermute_b32 v22, v13, v17
	ds_bpermute_b32 v17, v14, v17
	s_wait_dscnt 0x4
	v_fmac_f32_e32 v0, v20, v24
	s_wait_loadcnt 0x6
	v_mul_f32_e32 v20, v36, v37
	s_wait_dscnt 0x3
	s_delay_alu instid0(VALU_DEP_1) | instskip(SKIP_3) | instid1(VALU_DEP_1)
	v_fmac_f32_e32 v0, v20, v23
	s_wait_loadcnt 0x4
	v_mul_f32_e32 v20, v26, v27
	s_wait_dscnt 0x2
	v_fmac_f32_e32 v0, v20, v21
	s_wait_loadcnt 0x2
	v_mul_f32_e32 v20, v38, v39
	s_wait_dscnt 0x1
	s_delay_alu instid0(VALU_DEP_1) | instskip(SKIP_3) | instid1(VALU_DEP_1)
	v_fmac_f32_e32 v0, v20, v22
	s_wait_loadcnt 0x0
	v_mul_f32_e32 v18, v18, v19
	s_wait_dscnt 0x0
	v_fmac_f32_e32 v0, v18, v17
	s_wait_alu 0xfffe
	s_cbranch_vccz .LBB148_9
.LBB148_6:                              ; =>This Inner Loop Header: Depth=1
	v_mov_b32_e32 v17, 0
	s_and_saveexec_b32 s3, s2
	s_cbranch_execz .LBB148_5
; %bb.7:                                ;   in Loop: Header=BB148_6 Depth=1
	v_mov_b32_e32 v17, 0
	s_mov_b32 s20, exec_lo
	v_cmpx_gt_i64_e64 s[4:5], v[2:3]
	s_cbranch_execz .LBB148_4
; %bb.8:                                ;   in Loop: Header=BB148_6 Depth=1
	global_load_b32 v17, v[4:5], off
	s_branch .LBB148_4
.LBB148_9:
	v_mov_b32_e32 v1, v7
.LBB148_10:
	s_load_b64 s[2:3], s[0:1], 0x30
	s_delay_alu instid0(VALU_DEP_1) | instskip(SKIP_2) | instid1(VALU_DEP_2)
	v_mad_u32_u24 v2, 0x41, v1, v6
	v_mov_b32_e32 v4, 0
	s_mov_b32 s0, exec_lo
	v_lshl_add_u32 v3, v2, 2, 0
	v_sub_nc_u32_e32 v1, v2, v1
	ds_store_b32 v3, v0
	ds_store_b32 v3, v4 offset:4160
	s_wait_dscnt 0x0
	s_barrier_signal -1
	s_barrier_wait -1
	global_inv scope:SCOPE_SE
	v_cmpx_gt_u32_e32 0x800, v1
	s_cbranch_execz .LBB148_20
; %bb.11:
	v_and_b32_e32 v0, 31, v6
	v_lshrrev_b32_e32 v3, 5, v1
                                        ; implicit-def: $vgpr5
	s_delay_alu instid0(VALU_DEP_2) | instskip(SKIP_1) | instid1(VALU_DEP_3)
	v_cmp_gt_u32_e32 vcc_lo, 16, v0
	v_mul_u32_u24_e32 v2, 0x41, v0
	v_lshlrev_b32_e32 v0, 2, v3
	s_and_saveexec_b32 s0, vcc_lo
; %bb.12:
	s_delay_alu instid0(VALU_DEP_2) | instskip(NEXT) | instid1(VALU_DEP_1)
	v_lshlrev_b32_e32 v3, 2, v2
	v_add3_u32 v3, 0, v0, v3
	ds_load_b32 v5, v3
; %bb.13:
	s_wait_alu 0xfffe
	s_or_b32 exec_lo, exec_lo, s0
	v_mbcnt_lo_u32_b32 v7, -1, 0
	s_mov_b32 s4, ttmp9
	s_wait_kmcnt 0x0
	s_cmp_lg_u64 s[2:3], 0
	s_mov_b32 s5, 0
	s_cselect_b32 s1, -1, 0
	v_xor_b32_e32 v3, 8, v7
	v_xor_b32_e32 v4, 4, v7
	v_xor_b32_e32 v10, 1, v7
	s_wait_alu 0xfffe
	s_lshl_b64 s[4:5], s[4:5], 8
	s_wait_alu 0xfffe
	s_add_nc_u64 s[2:3], s[2:3], s[4:5]
	v_cmp_gt_i32_e64 s0, 32, v3
	s_wait_alu 0xf1ff
	s_delay_alu instid0(VALU_DEP_1) | instskip(SKIP_1) | instid1(VALU_DEP_2)
	v_cndmask_b32_e64 v3, v7, v3, s0
	v_cmp_gt_i32_e64 s0, 32, v4
	v_lshlrev_b32_e32 v3, 2, v3
	s_wait_alu 0xf1ff
	s_delay_alu instid0(VALU_DEP_2)
	v_cndmask_b32_e64 v4, v7, v4, s0
	s_wait_dscnt 0x0
	ds_bpermute_b32 v8, v3, v5
	v_lshlrev_b32_e32 v4, 2, v4
	s_wait_dscnt 0x0
	v_add_f32_e32 v8, v5, v8
	v_xor_b32_e32 v5, 2, v7
	ds_bpermute_b32 v9, v4, v8
	v_cmp_gt_i32_e64 s0, 32, v5
	s_wait_alu 0xf1ff
	s_delay_alu instid0(VALU_DEP_1) | instskip(SKIP_1) | instid1(VALU_DEP_2)
	v_cndmask_b32_e64 v5, v7, v5, s0
	v_cmp_gt_i32_e64 s0, 32, v10
	v_lshlrev_b32_e32 v5, 2, v5
	s_wait_alu 0xf1ff
	s_delay_alu instid0(VALU_DEP_2) | instskip(SKIP_1) | instid1(VALU_DEP_2)
	v_cndmask_b32_e64 v7, v7, v10, s0
	v_cmp_eq_u32_e64 s0, 0, v6
	v_lshlrev_b32_e32 v7, 2, v7
	s_and_b32 s1, s0, s1
	s_wait_dscnt 0x0
	v_add_f32_e32 v8, v8, v9
	ds_bpermute_b32 v9, v5, v8
	s_wait_dscnt 0x0
	v_add_f32_e32 v8, v8, v9
	ds_bpermute_b32 v9, v7, v8
	s_wait_dscnt 0x0
	v_add_f32_e32 v6, v8, v9
	s_wait_alu 0xfffe
	s_and_saveexec_b32 s0, s1
	s_cbranch_execz .LBB148_15
; %bb.14:
	global_store_b32 v0, v6, s[2:3]
.LBB148_15:
	s_wait_alu 0xfffe
	s_or_b32 exec_lo, exec_lo, s0
	v_cmp_gt_u32_e64 s0, 0x400, v1
	s_and_b32 exec_lo, exec_lo, s0
	s_cbranch_execz .LBB148_20
; %bb.16:
	s_and_saveexec_b32 s0, vcc_lo
; %bb.17:
	v_lshlrev_b32_e32 v1, 2, v2
	s_delay_alu instid0(VALU_DEP_1)
	v_add3_u32 v1, 0, v0, v1
	ds_load_b32 v6, v1 offset:128
; %bb.18:
	s_wait_alu 0xfffe
	s_or_b32 exec_lo, exec_lo, s0
	s_wait_dscnt 0x0
	ds_bpermute_b32 v1, v3, v6
	s_wait_dscnt 0x0
	v_add_f32_e32 v1, v6, v1
	ds_bpermute_b32 v2, v4, v1
	s_wait_dscnt 0x0
	v_add_f32_e32 v1, v1, v2
	;; [unrolled: 3-line block ×3, first 2 shown]
	ds_bpermute_b32 v2, v7, v1
	s_and_saveexec_b32 s0, s1
	s_wait_alu 0xfffe
	s_xor_b32 s0, exec_lo, s0
	s_cbranch_execz .LBB148_20
; %bb.19:
	s_wait_dscnt 0x0
	v_add_f32_e32 v1, v1, v2
	global_store_b32 v0, v1, s[2:3] offset:128
.LBB148_20:
	s_endpgm
	.section	.rodata,"a",@progbits
	.p2align	6, 0x0
	.amdhsa_kernel _ZN2at6native12_GLOBAL__N_135GammaBetaBackwardCUDAKernelTemplateIffLj64ELj16ELj128ELb0ELb1ELb1EEEvllPKT_S5_PKT0_S8_PS3_S9_
		.amdhsa_group_segment_fixed_size 0
		.amdhsa_private_segment_fixed_size 0
		.amdhsa_kernarg_size 320
		.amdhsa_user_sgpr_count 2
		.amdhsa_user_sgpr_dispatch_ptr 0
		.amdhsa_user_sgpr_queue_ptr 0
		.amdhsa_user_sgpr_kernarg_segment_ptr 1
		.amdhsa_user_sgpr_dispatch_id 0
		.amdhsa_user_sgpr_private_segment_size 0
		.amdhsa_wavefront_size32 1
		.amdhsa_uses_dynamic_stack 0
		.amdhsa_enable_private_segment 0
		.amdhsa_system_sgpr_workgroup_id_x 1
		.amdhsa_system_sgpr_workgroup_id_y 1
		.amdhsa_system_sgpr_workgroup_id_z 0
		.amdhsa_system_sgpr_workgroup_info 0
		.amdhsa_system_vgpr_workitem_id 1
		.amdhsa_next_free_vgpr 40
		.amdhsa_next_free_sgpr 21
		.amdhsa_reserve_vcc 1
		.amdhsa_float_round_mode_32 0
		.amdhsa_float_round_mode_16_64 0
		.amdhsa_float_denorm_mode_32 3
		.amdhsa_float_denorm_mode_16_64 3
		.amdhsa_fp16_overflow 0
		.amdhsa_workgroup_processor_mode 1
		.amdhsa_memory_ordered 1
		.amdhsa_forward_progress 1
		.amdhsa_inst_pref_size 15
		.amdhsa_round_robin_scheduling 0
		.amdhsa_exception_fp_ieee_invalid_op 0
		.amdhsa_exception_fp_denorm_src 0
		.amdhsa_exception_fp_ieee_div_zero 0
		.amdhsa_exception_fp_ieee_overflow 0
		.amdhsa_exception_fp_ieee_underflow 0
		.amdhsa_exception_fp_ieee_inexact 0
		.amdhsa_exception_int_div_zero 0
	.end_amdhsa_kernel
	.section	.text._ZN2at6native12_GLOBAL__N_135GammaBetaBackwardCUDAKernelTemplateIffLj64ELj16ELj128ELb0ELb1ELb1EEEvllPKT_S5_PKT0_S8_PS3_S9_,"axG",@progbits,_ZN2at6native12_GLOBAL__N_135GammaBetaBackwardCUDAKernelTemplateIffLj64ELj16ELj128ELb0ELb1ELb1EEEvllPKT_S5_PKT0_S8_PS3_S9_,comdat
.Lfunc_end148:
	.size	_ZN2at6native12_GLOBAL__N_135GammaBetaBackwardCUDAKernelTemplateIffLj64ELj16ELj128ELb0ELb1ELb1EEEvllPKT_S5_PKT0_S8_PS3_S9_, .Lfunc_end148-_ZN2at6native12_GLOBAL__N_135GammaBetaBackwardCUDAKernelTemplateIffLj64ELj16ELj128ELb0ELb1ELb1EEEvllPKT_S5_PKT0_S8_PS3_S9_
                                        ; -- End function
	.set _ZN2at6native12_GLOBAL__N_135GammaBetaBackwardCUDAKernelTemplateIffLj64ELj16ELj128ELb0ELb1ELb1EEEvllPKT_S5_PKT0_S8_PS3_S9_.num_vgpr, 40
	.set _ZN2at6native12_GLOBAL__N_135GammaBetaBackwardCUDAKernelTemplateIffLj64ELj16ELj128ELb0ELb1ELb1EEEvllPKT_S5_PKT0_S8_PS3_S9_.num_agpr, 0
	.set _ZN2at6native12_GLOBAL__N_135GammaBetaBackwardCUDAKernelTemplateIffLj64ELj16ELj128ELb0ELb1ELb1EEEvllPKT_S5_PKT0_S8_PS3_S9_.numbered_sgpr, 21
	.set _ZN2at6native12_GLOBAL__N_135GammaBetaBackwardCUDAKernelTemplateIffLj64ELj16ELj128ELb0ELb1ELb1EEEvllPKT_S5_PKT0_S8_PS3_S9_.num_named_barrier, 0
	.set _ZN2at6native12_GLOBAL__N_135GammaBetaBackwardCUDAKernelTemplateIffLj64ELj16ELj128ELb0ELb1ELb1EEEvllPKT_S5_PKT0_S8_PS3_S9_.private_seg_size, 0
	.set _ZN2at6native12_GLOBAL__N_135GammaBetaBackwardCUDAKernelTemplateIffLj64ELj16ELj128ELb0ELb1ELb1EEEvllPKT_S5_PKT0_S8_PS3_S9_.uses_vcc, 1
	.set _ZN2at6native12_GLOBAL__N_135GammaBetaBackwardCUDAKernelTemplateIffLj64ELj16ELj128ELb0ELb1ELb1EEEvllPKT_S5_PKT0_S8_PS3_S9_.uses_flat_scratch, 0
	.set _ZN2at6native12_GLOBAL__N_135GammaBetaBackwardCUDAKernelTemplateIffLj64ELj16ELj128ELb0ELb1ELb1EEEvllPKT_S5_PKT0_S8_PS3_S9_.has_dyn_sized_stack, 0
	.set _ZN2at6native12_GLOBAL__N_135GammaBetaBackwardCUDAKernelTemplateIffLj64ELj16ELj128ELb0ELb1ELb1EEEvllPKT_S5_PKT0_S8_PS3_S9_.has_recursion, 0
	.set _ZN2at6native12_GLOBAL__N_135GammaBetaBackwardCUDAKernelTemplateIffLj64ELj16ELj128ELb0ELb1ELb1EEEvllPKT_S5_PKT0_S8_PS3_S9_.has_indirect_call, 0
	.section	.AMDGPU.csdata,"",@progbits
; Kernel info:
; codeLenInByte = 1852
; TotalNumSgprs: 23
; NumVgprs: 40
; ScratchSize: 0
; MemoryBound: 0
; FloatMode: 240
; IeeeMode: 1
; LDSByteSize: 0 bytes/workgroup (compile time only)
; SGPRBlocks: 0
; VGPRBlocks: 4
; NumSGPRsForWavesPerEU: 23
; NumVGPRsForWavesPerEU: 40
; Occupancy: 16
; WaveLimiterHint : 0
; COMPUTE_PGM_RSRC2:SCRATCH_EN: 0
; COMPUTE_PGM_RSRC2:USER_SGPR: 2
; COMPUTE_PGM_RSRC2:TRAP_HANDLER: 0
; COMPUTE_PGM_RSRC2:TGID_X_EN: 1
; COMPUTE_PGM_RSRC2:TGID_Y_EN: 1
; COMPUTE_PGM_RSRC2:TGID_Z_EN: 0
; COMPUTE_PGM_RSRC2:TIDIG_COMP_CNT: 1
	.section	.text._ZN2at6native12_GLOBAL__N_135GammaBetaBackwardCUDAKernelTemplateIffLj64ELj16ELj128ELb0ELb0ELb1EEEvllPKT_S5_PKT0_S8_PS3_S9_,"axG",@progbits,_ZN2at6native12_GLOBAL__N_135GammaBetaBackwardCUDAKernelTemplateIffLj64ELj16ELj128ELb0ELb0ELb1EEEvllPKT_S5_PKT0_S8_PS3_S9_,comdat
	.globl	_ZN2at6native12_GLOBAL__N_135GammaBetaBackwardCUDAKernelTemplateIffLj64ELj16ELj128ELb0ELb0ELb1EEEvllPKT_S5_PKT0_S8_PS3_S9_ ; -- Begin function _ZN2at6native12_GLOBAL__N_135GammaBetaBackwardCUDAKernelTemplateIffLj64ELj16ELj128ELb0ELb0ELb1EEEvllPKT_S5_PKT0_S8_PS3_S9_
	.p2align	8
	.type	_ZN2at6native12_GLOBAL__N_135GammaBetaBackwardCUDAKernelTemplateIffLj64ELj16ELj128ELb0ELb0ELb1EEEvllPKT_S5_PKT0_S8_PS3_S9_,@function
_ZN2at6native12_GLOBAL__N_135GammaBetaBackwardCUDAKernelTemplateIffLj64ELj16ELj128ELb0ELb0ELb1EEEvllPKT_S5_PKT0_S8_PS3_S9_: ; @_ZN2at6native12_GLOBAL__N_135GammaBetaBackwardCUDAKernelTemplateIffLj64ELj16ELj128ELb0ELb0ELb1EEEvllPKT_S5_PKT0_S8_PS3_S9_
; %bb.0:
	s_clause 0x1
	s_load_b256 s[4:11], s[0:1], 0x0
	s_load_b64 s[12:13], s[0:1], 0x28
	s_lshl_b32 s28, ttmp9, 6
	s_mov_b32 s15, 0
	s_or_b32 s14, s28, 63
	s_wait_kmcnt 0x0
	v_cmp_le_i64_e64 s2, s[6:7], s[14:15]
	s_lshl_b32 s14, ttmp7, 7
	s_wait_alu 0xfffe
	v_cmp_gt_i64_e64 s29, s[4:5], s[14:15]
	s_and_b32 vcc_lo, exec_lo, s2
	v_cndmask_b32_e64 v1, 0, 1, s29
	s_delay_alu instid0(VALU_DEP_1)
	v_cmp_ne_u32_e64 s2, 1, v1
	s_cbranch_vccz .LBB149_49
; %bb.1:
	v_mov_b32_e32 v86, 0
	s_and_b32 vcc_lo, exec_lo, s2
	s_cbranch_vccnz .LBB149_50
; %bb.2:
	v_bfe_u32 v20, v0, 10, 10
	v_dual_mov_b32 v1, 0 :: v_dual_and_b32 v22, 0x3ff, v0
	s_load_b32 s3, s[0:1], 0x44
	s_mov_b32 s17, 0
	s_delay_alu instid0(VALU_DEP_2) | instskip(NEXT) | instid1(VALU_DEP_2)
	v_lshlrev_b32_e32 v21, 3, v20
	v_dual_mov_b32 v3, v1 :: v_dual_add_nc_u32 v2, s28, v22
	s_mov_b32 s21, s17
	v_mov_b32_e32 v55, 0
	s_delay_alu instid0(VALU_DEP_3) | instskip(NEXT) | instid1(VALU_DEP_1)
	v_add_co_u32 v10, s2, v21, s14
	v_add_co_ci_u32_e64 v11, null, 0, 0, s2
	v_cmp_gt_i64_e64 s2, s[6:7], v[2:3]
	s_delay_alu instid0(VALU_DEP_3) | instskip(SKIP_1) | instid1(VALU_DEP_4)
	v_mul_lo_u32 v6, s7, v10
	v_mad_co_u64_u32 v[4:5], null, s6, v10, 0
	v_mul_lo_u32 v7, s6, v11
	v_add_co_u32 v8, vcc_lo, v10, 7
	s_delay_alu instid0(VALU_DEP_1) | instskip(SKIP_1) | instid1(VALU_DEP_3)
	v_add_co_ci_u32_e64 v9, null, 0, v11, vcc_lo
	v_lshlrev_b64_e32 v[18:19], 2, v[2:3]
	v_mul_lo_u32 v12, s7, v8
	s_wait_kmcnt 0x0
	s_lshl_b32 s20, s3, 7
	v_add3_u32 v5, v5, v7, v6
	v_mad_co_u64_u32 v[6:7], null, s6, v8, 0
	v_add_co_u32 v8, vcc_lo, v10, 6
	v_mul_lo_u32 v13, s6, v9
	s_wait_alu 0xfffd
	v_add_co_ci_u32_e64 v9, null, 0, v11, vcc_lo
	v_lshlrev_b64_e32 v[2:3], 2, v[4:5]
	v_mul_lo_u32 v14, s7, v8
	s_mul_u64 s[22:23], s[6:7], s[20:21]
	s_delay_alu instid0(VALU_DEP_3) | instskip(SKIP_1) | instid1(VALU_DEP_4)
	v_mul_lo_u32 v15, s6, v9
	v_mad_co_u64_u32 v[8:9], null, s6, v8, 0
	v_add_co_u32 v23, vcc_lo, s8, v2
	s_wait_alu 0xfffd
	v_add_co_ci_u32_e64 v24, null, s9, v3, vcc_lo
	v_add_co_u32 v25, vcc_lo, s10, v2
	v_add3_u32 v7, v7, v13, v12
	s_wait_alu 0xfffd
	v_add_co_ci_u32_e64 v26, null, s11, v3, vcc_lo
	v_add_co_u32 v12, vcc_lo, v10, 5
	v_add3_u32 v9, v9, v15, v14
	s_wait_alu 0xfffd
	v_add_co_ci_u32_e64 v13, null, 0, v11, vcc_lo
	v_lshlrev_b64_e32 v[2:3], 2, v[6:7]
	v_mul_lo_u32 v14, s7, v12
	v_lshlrev_b64_e32 v[6:7], 2, v[8:9]
	s_delay_alu instid0(VALU_DEP_4)
	v_mul_lo_u32 v13, s6, v13
	v_mad_co_u64_u32 v[8:9], null, s6, v12, 0
	v_add_co_u32 v27, vcc_lo, s8, v2
	s_wait_alu 0xfffd
	v_add_co_ci_u32_e64 v28, null, s9, v3, vcc_lo
	v_add_co_u32 v29, vcc_lo, s10, v2
	s_wait_alu 0xfffd
	v_add_co_ci_u32_e64 v30, null, s11, v3, vcc_lo
	v_add_co_u32 v31, vcc_lo, s8, v6
	v_add3_u32 v9, v9, v13, v14
	s_wait_alu 0xfffd
	v_add_co_ci_u32_e64 v32, null, s9, v7, vcc_lo
	v_add_co_u32 v12, vcc_lo, v10, 4
	v_add_co_u32 v33, s3, s10, v6
	s_wait_alu 0xfffd
	v_add_co_ci_u32_e64 v6, null, 0, v11, vcc_lo
	v_lshlrev_b64_e32 v[2:3], 2, v[8:9]
	v_add_co_u32 v8, vcc_lo, v10, 3
	s_wait_alu 0xfffd
	v_add_co_ci_u32_e64 v9, null, 0, v11, vcc_lo
	s_wait_alu 0xf1ff
	v_add_co_ci_u32_e64 v34, null, s11, v7, s3
	v_mul_lo_u32 v13, s7, v12
	v_mul_lo_u32 v14, s6, v6
	v_mad_co_u64_u32 v[6:7], null, s6, v12, 0
	v_mul_lo_u32 v12, s7, v8
	v_mul_lo_u32 v15, s6, v9
	v_mad_co_u64_u32 v[8:9], null, s6, v8, 0
	v_add_co_u32 v35, vcc_lo, s8, v2
	s_wait_alu 0xfffd
	v_add_co_ci_u32_e64 v36, null, s9, v3, vcc_lo
	v_add3_u32 v7, v7, v14, v13
	v_add_co_u32 v37, vcc_lo, s10, v2
	s_wait_alu 0xfffd
	v_add_co_ci_u32_e64 v38, null, s11, v3, vcc_lo
	v_add_co_u32 v10, vcc_lo, v10, 2
	v_add3_u32 v9, v9, v15, v12
	s_wait_alu 0xfffd
	v_add_co_ci_u32_e64 v11, null, 0, v11, vcc_lo
	v_lshlrev_b64_e32 v[2:3], 2, v[6:7]
	v_mul_lo_u32 v12, s7, v10
	v_lshlrev_b64_e32 v[6:7], 2, v[8:9]
	s_delay_alu instid0(VALU_DEP_4)
	v_mul_lo_u32 v11, s6, v11
	v_mad_co_u64_u32 v[8:9], null, s6, v10, 0
	v_add_co_u32 v39, vcc_lo, s8, v2
	s_wait_alu 0xfffd
	v_add_co_ci_u32_e64 v40, null, s9, v3, vcc_lo
	v_add_co_u32 v41, vcc_lo, s10, v2
	s_wait_alu 0xfffd
	v_add_co_ci_u32_e64 v42, null, s11, v3, vcc_lo
	;; [unrolled: 3-line block ×3, first 2 shown]
	v_add3_u32 v9, v9, v11, v12
	v_add_co_u32 v45, vcc_lo, s10, v6
	s_wait_alu 0xfffd
	v_add_co_ci_u32_e64 v46, null, s11, v7, vcc_lo
	v_add_co_u32 v4, vcc_lo, v4, s6
	s_wait_alu 0xfffd
	v_add_co_ci_u32_e64 v5, null, s7, v5, vcc_lo
	v_lshlrev_b64_e32 v[2:3], 2, v[8:9]
	s_add_nc_u64 s[18:19], s[0:1], 64
	s_lshl_b64 s[22:23], s[22:23], 2
	s_delay_alu instid0(VALU_DEP_2)
	v_lshlrev_b64_e32 v[4:5], 2, v[4:5]
	s_add_nc_u64 s[24:25], s[14:15], 0x7f
	s_mov_b64 s[26:27], s[14:15]
	v_add_co_u32 v47, vcc_lo, s8, v2
	s_wait_alu 0xfffd
	v_add_co_ci_u32_e64 v48, null, s9, v3, vcc_lo
	v_add_co_u32 v49, vcc_lo, s10, v2
	s_wait_alu 0xfffd
	v_add_co_ci_u32_e64 v50, null, s11, v3, vcc_lo
	;; [unrolled: 3-line block ×4, first 2 shown]
.LBB149_3:                              ; =>This Inner Loop Header: Depth=1
	v_cmp_ge_i64_e64 s3, s[24:25], s[4:5]
	v_add_co_u32 v56, s16, v21, s24
	s_wait_alu 0xf1ff
	v_add_co_ci_u32_e64 v57, null, 0, s25, s16
                                        ; implicit-def: $vgpr2_vgpr3_vgpr4_vgpr5_vgpr6_vgpr7_vgpr8_vgpr9
                                        ; implicit-def: $vgpr86
                                        ; implicit-def: $vgpr10_vgpr11_vgpr12_vgpr13_vgpr14_vgpr15_vgpr16_vgpr17
                                        ; implicit-def: $vgpr2
	s_and_b32 vcc_lo, exec_lo, s3
	s_mov_b32 s3, -1
	s_wait_alu 0xfffe
	s_cbranch_vccz .LBB149_25
; %bb.4:                                ;   in Loop: Header=BB149_3 Depth=1
	s_load_b32 s3, s[18:19], 0xc
	v_mov_b32_e32 v58, 0
	s_wait_kmcnt 0x0
	s_and_b32 s3, s3, 0xffff
	s_wait_alu 0xfffe
	v_mad_u32_u24 v2, v20, s3, v22
	s_mov_b32 s3, exec_lo
	s_delay_alu instid0(VALU_DEP_1) | instskip(NEXT) | instid1(VALU_DEP_1)
	v_and_b32_e32 v2, 31, v2
	v_cmpx_gt_u32_e32 8, v2
	s_cbranch_execz .LBB149_8
; %bb.5:                                ;   in Loop: Header=BB149_3 Depth=1
	v_add_co_u32 v2, vcc_lo, v56, v2
	s_wait_alu 0xfffd
	v_add_co_ci_u32_e64 v3, null, 0, v57, vcc_lo
	v_mov_b32_e32 v58, 0
	s_delay_alu instid0(VALU_DEP_3) | instskip(SKIP_1) | instid1(VALU_DEP_3)
	v_add_co_u32 v2, vcc_lo, 0xffffff81, v2
	s_wait_alu 0xfffd
	v_add_co_ci_u32_e64 v3, null, -1, v3, vcc_lo
	s_mov_b32 s16, exec_lo
	v_cmpx_gt_i64_e64 s[4:5], v[2:3]
	s_cbranch_execz .LBB149_7
; %bb.6:                                ;   in Loop: Header=BB149_3 Depth=1
	v_lshlrev_b64_e32 v[2:3], 2, v[2:3]
	s_delay_alu instid0(VALU_DEP_1) | instskip(SKIP_1) | instid1(VALU_DEP_2)
	v_add_co_u32 v2, vcc_lo, s12, v2
	s_wait_alu 0xfffd
	v_add_co_ci_u32_e64 v3, null, s13, v3, vcc_lo
	global_load_b32 v58, v[2:3], off
.LBB149_7:                              ;   in Loop: Header=BB149_3 Depth=1
	s_wait_alu 0xfffe
	s_or_b32 exec_lo, exec_lo, s16
.LBB149_8:                              ;   in Loop: Header=BB149_3 Depth=1
	s_wait_alu 0xfffe
	s_or_b32 exec_lo, exec_lo, s3
	v_add_co_u32 v9, vcc_lo, 0xffffff81, v56
	s_wait_alu 0xfffd
	v_add_co_ci_u32_e64 v10, null, -1, v57, vcc_lo
	v_mov_b32_e32 v8, v1
	v_dual_mov_b32 v2, v1 :: v_dual_mov_b32 v3, v1
	v_dual_mov_b32 v4, v1 :: v_dual_mov_b32 v5, v1
	;; [unrolled: 1-line block ×3, first 2 shown]
	v_cmp_gt_i64_e32 vcc_lo, s[4:5], v[9:10]
	s_delay_alu instid0(VALU_DEP_3) | instskip(NEXT) | instid1(VALU_DEP_3)
	v_dual_mov_b32 v17, v8 :: v_dual_mov_b32 v14, v5
	v_dual_mov_b32 v15, v6 :: v_dual_mov_b32 v16, v7
	;; [unrolled: 1-line block ×4, first 2 shown]
	v_mov_b32_e32 v9, v8
	v_mov_b32_e32 v8, v7
	;; [unrolled: 1-line block ×8, first 2 shown]
	s_and_b32 s16, s2, vcc_lo
	s_wait_alu 0xfffe
	s_and_saveexec_b32 s3, s16
	s_cbranch_execz .LBB149_10
; %bb.9:                                ;   in Loop: Header=BB149_3 Depth=1
	v_add_co_u32 v2, vcc_lo, v23, v18
	s_wait_alu 0xfffd
	v_add_co_ci_u32_e64 v3, null, v24, v19, vcc_lo
	v_add_co_u32 v4, vcc_lo, v25, v18
	s_wait_alu 0xfffd
	v_add_co_ci_u32_e64 v5, null, v26, v19, vcc_lo
	global_load_b32 v2, v[2:3], off
	global_load_b32 v10, v[4:5], off
	v_dual_mov_b32 v3, v1 :: v_dual_mov_b32 v4, v1
	v_dual_mov_b32 v5, v1 :: v_dual_mov_b32 v6, v1
	v_dual_mov_b32 v7, v1 :: v_dual_mov_b32 v8, v1
	v_dual_mov_b32 v9, v1 :: v_dual_mov_b32 v12, v1
	v_dual_mov_b32 v11, v1 :: v_dual_mov_b32 v14, v1
	v_dual_mov_b32 v13, v1 :: v_dual_mov_b32 v16, v1
	v_mov_b32_e32 v15, v1
	v_mov_b32_e32 v17, v1
.LBB149_10:                             ;   in Loop: Header=BB149_3 Depth=1
	s_wait_alu 0xfffe
	s_or_b32 exec_lo, exec_lo, s3
	v_add_co_u32 v59, vcc_lo, 0xffffff82, v56
	s_wait_alu 0xfffd
	v_add_co_ci_u32_e64 v60, null, -1, v57, vcc_lo
	s_delay_alu instid0(VALU_DEP_1)
	v_cmp_gt_i64_e32 vcc_lo, s[4:5], v[59:60]
	s_and_b32 s16, s2, vcc_lo
	s_wait_alu 0xfffe
	s_and_saveexec_b32 s3, s16
	s_cbranch_execz .LBB149_12
; %bb.11:                               ;   in Loop: Header=BB149_3 Depth=1
	v_add_co_u32 v59, vcc_lo, v51, v18
	s_wait_alu 0xfffd
	v_add_co_ci_u32_e64 v60, null, v52, v19, vcc_lo
	v_add_co_u32 v61, vcc_lo, v53, v18
	s_wait_alu 0xfffd
	v_add_co_ci_u32_e64 v62, null, v54, v19, vcc_lo
	global_load_b32 v3, v[59:60], off
	global_load_b32 v11, v[61:62], off
.LBB149_12:                             ;   in Loop: Header=BB149_3 Depth=1
	s_wait_alu 0xfffe
	s_or_b32 exec_lo, exec_lo, s3
	v_add_co_u32 v59, vcc_lo, 0xffffff83, v56
	s_wait_alu 0xfffd
	v_add_co_ci_u32_e64 v60, null, -1, v57, vcc_lo
	s_delay_alu instid0(VALU_DEP_1)
	v_cmp_gt_i64_e32 vcc_lo, s[4:5], v[59:60]
	s_and_b32 s16, s2, vcc_lo
	s_wait_alu 0xfffe
	s_and_saveexec_b32 s3, s16
	s_cbranch_execz .LBB149_14
; %bb.13:                               ;   in Loop: Header=BB149_3 Depth=1
	v_add_co_u32 v59, vcc_lo, v47, v18
	s_wait_alu 0xfffd
	v_add_co_ci_u32_e64 v60, null, v48, v19, vcc_lo
	v_add_co_u32 v61, vcc_lo, v49, v18
	s_wait_alu 0xfffd
	v_add_co_ci_u32_e64 v62, null, v50, v19, vcc_lo
	global_load_b32 v4, v[59:60], off
	global_load_b32 v12, v[61:62], off
.LBB149_14:                             ;   in Loop: Header=BB149_3 Depth=1
	;; [unrolled: 21-line block ×7, first 2 shown]
	s_wait_alu 0xfffe
	s_or_b32 exec_lo, exec_lo, s3
	s_wait_loadcnt 0x0
	ds_bpermute_b32 v59, v1, v58
	ds_bpermute_b32 v60, v1, v58 offset:4
	ds_bpermute_b32 v61, v1, v58 offset:8
	v_dual_mul_f32 v2, v10, v2 :: v_dual_mul_f32 v3, v11, v3
	ds_bpermute_b32 v10, v1, v58 offset:12
	ds_bpermute_b32 v11, v1, v58 offset:16
	v_mul_f32_e32 v6, v14, v6
	s_mov_b32 s3, 0
	s_wait_dscnt 0x4
	v_fma_f32 v86, v2, v59, v55
	v_mul_f32_e32 v2, v12, v4
	ds_bpermute_b32 v4, v1, v58 offset:20
	s_wait_dscnt 0x4
	v_dual_fmac_f32 v86, v3, v60 :: v_dual_mul_f32 v3, v13, v5
	ds_bpermute_b32 v5, v1, v58 offset:24
	s_wait_dscnt 0x4
	v_fmac_f32_e32 v86, v2, v61
	ds_bpermute_b32 v2, v1, v58 offset:28
	s_wait_dscnt 0x4
	v_fmac_f32_e32 v86, v3, v10
	v_mul_f32_e32 v3, v15, v7
	s_wait_dscnt 0x3
	s_delay_alu instid0(VALU_DEP_2) | instskip(SKIP_1) | instid1(VALU_DEP_1)
	v_fmac_f32_e32 v86, v6, v11
	s_wait_dscnt 0x2
	v_fmac_f32_e32 v86, v3, v4
	v_mul_f32_e32 v3, v16, v8
	s_wait_dscnt 0x1
	s_delay_alu instid0(VALU_DEP_1)
	v_fmac_f32_e32 v86, v3, v5
.LBB149_25:                             ;   in Loop: Header=BB149_3 Depth=1
	s_wait_alu 0xfffe
	s_and_b32 vcc_lo, exec_lo, s3
	s_wait_alu 0xfffe
	s_cbranch_vccz .LBB149_40
; %bb.26:                               ;   in Loop: Header=BB149_3 Depth=1
	s_load_b32 s3, s[18:19], 0x0
	v_mov_b32_e32 v58, 0
	s_wait_kmcnt 0x0
	s_cmp_lt_u32 ttmp9, s3
	s_cselect_b32 s16, 12, 18
	s_wait_alu 0xfffe
	s_add_nc_u64 s[30:31], s[18:19], s[16:17]
	s_load_u16 s3, s[30:31], 0x0
	s_wait_dscnt 0x0
	s_wait_kmcnt 0x0
	v_mad_u32_u24 v2, v20, s3, v22
	s_mov_b32 s3, exec_lo
	s_delay_alu instid0(VALU_DEP_1) | instskip(NEXT) | instid1(VALU_DEP_1)
	v_and_b32_e32 v2, 31, v2
	v_cmpx_gt_u32_e32 8, v2
	s_cbranch_execz .LBB149_30
; %bb.27:                               ;   in Loop: Header=BB149_3 Depth=1
	v_add_co_u32 v2, vcc_lo, v56, v2
	s_wait_alu 0xfffd
	v_add_co_ci_u32_e64 v3, null, 0, v57, vcc_lo
	v_mov_b32_e32 v58, 0
	s_delay_alu instid0(VALU_DEP_3) | instskip(SKIP_1) | instid1(VALU_DEP_3)
	v_add_co_u32 v2, vcc_lo, 0xffffff81, v2
	s_wait_alu 0xfffd
	v_add_co_ci_u32_e64 v3, null, -1, v3, vcc_lo
	s_mov_b32 s16, exec_lo
	v_cmpx_gt_i64_e64 s[4:5], v[2:3]
	s_cbranch_execz .LBB149_29
; %bb.28:                               ;   in Loop: Header=BB149_3 Depth=1
	v_lshlrev_b64_e32 v[2:3], 2, v[2:3]
	s_delay_alu instid0(VALU_DEP_1) | instskip(SKIP_1) | instid1(VALU_DEP_2)
	v_add_co_u32 v2, vcc_lo, s12, v2
	s_wait_alu 0xfffd
	v_add_co_ci_u32_e64 v3, null, s13, v3, vcc_lo
	global_load_b32 v58, v[2:3], off
.LBB149_29:                             ;   in Loop: Header=BB149_3 Depth=1
	s_wait_alu 0xfffe
	s_or_b32 exec_lo, exec_lo, s16
.LBB149_30:                             ;   in Loop: Header=BB149_3 Depth=1
	s_wait_alu 0xfffe
	s_or_b32 exec_lo, exec_lo, s3
	v_mov_b32_e32 v8, v1
	v_dual_mov_b32 v2, v1 :: v_dual_mov_b32 v3, v1
	v_dual_mov_b32 v4, v1 :: v_dual_mov_b32 v5, v1
	;; [unrolled: 1-line block ×3, first 2 shown]
	s_delay_alu instid0(VALU_DEP_4) | instskip(NEXT) | instid1(VALU_DEP_3)
	v_mov_b32_e32 v17, v8
	v_dual_mov_b32 v13, v4 :: v_dual_mov_b32 v12, v3
	s_delay_alu instid0(VALU_DEP_3) | instskip(NEXT) | instid1(VALU_DEP_4)
	v_dual_mov_b32 v15, v6 :: v_dual_mov_b32 v14, v5
	v_dual_mov_b32 v16, v7 :: v_dual_mov_b32 v11, v2
	;; [unrolled: 1-line block ×3, first 2 shown]
	v_mov_b32_e32 v8, v7
	v_mov_b32_e32 v7, v6
	;; [unrolled: 1-line block ×7, first 2 shown]
	s_and_saveexec_b32 s3, s2
	s_cbranch_execnz .LBB149_42
; %bb.31:                               ;   in Loop: Header=BB149_3 Depth=1
	s_wait_alu 0xfffe
	s_or_b32 exec_lo, exec_lo, s3
	s_and_saveexec_b32 s3, s2
	s_cbranch_execnz .LBB149_43
.LBB149_32:                             ;   in Loop: Header=BB149_3 Depth=1
	s_wait_alu 0xfffe
	s_or_b32 exec_lo, exec_lo, s3
	s_and_saveexec_b32 s3, s2
	s_cbranch_execnz .LBB149_44
.LBB149_33:                             ;   in Loop: Header=BB149_3 Depth=1
	s_wait_alu 0xfffe
	s_or_b32 exec_lo, exec_lo, s3
	s_and_saveexec_b32 s3, s2
	s_cbranch_execnz .LBB149_45
.LBB149_34:                             ;   in Loop: Header=BB149_3 Depth=1
	s_wait_alu 0xfffe
	s_or_b32 exec_lo, exec_lo, s3
	s_and_saveexec_b32 s3, s2
	s_cbranch_execnz .LBB149_46
.LBB149_35:                             ;   in Loop: Header=BB149_3 Depth=1
	s_wait_alu 0xfffe
	s_or_b32 exec_lo, exec_lo, s3
	s_and_saveexec_b32 s3, s2
	s_cbranch_execnz .LBB149_47
.LBB149_36:                             ;   in Loop: Header=BB149_3 Depth=1
	s_wait_alu 0xfffe
	s_or_b32 exec_lo, exec_lo, s3
	s_and_saveexec_b32 s3, s2
	s_cbranch_execnz .LBB149_48
.LBB149_37:                             ;   in Loop: Header=BB149_3 Depth=1
	s_wait_alu 0xfffe
	s_or_b32 exec_lo, exec_lo, s3
	s_and_saveexec_b32 s3, s2
	s_cbranch_execz .LBB149_39
.LBB149_38:                             ;   in Loop: Header=BB149_3 Depth=1
	v_add_co_u32 v56, vcc_lo, v27, v18
	s_wait_alu 0xfffd
	v_add_co_ci_u32_e64 v57, null, v28, v19, vcc_lo
	v_add_co_u32 v59, vcc_lo, v29, v18
	s_wait_alu 0xfffd
	v_add_co_ci_u32_e64 v60, null, v30, v19, vcc_lo
	global_load_b32 v9, v[56:57], off
	global_load_b32 v17, v[59:60], off
.LBB149_39:                             ;   in Loop: Header=BB149_3 Depth=1
	s_wait_alu 0xfffe
	s_or_b32 exec_lo, exec_lo, s3
	s_wait_loadcnt 0x0
	ds_bpermute_b32 v56, v1, v58
	ds_bpermute_b32 v57, v1, v58 offset:4
	ds_bpermute_b32 v59, v1, v58 offset:8
	v_dual_mul_f32 v2, v10, v2 :: v_dual_mul_f32 v3, v11, v3
	ds_bpermute_b32 v10, v1, v58 offset:12
	ds_bpermute_b32 v11, v1, v58 offset:16
	s_wait_dscnt 0x4
	v_fmac_f32_e32 v55, v2, v56
	v_mul_f32_e32 v2, v12, v4
	ds_bpermute_b32 v4, v1, v58 offset:20
	s_wait_dscnt 0x4
	v_fmac_f32_e32 v55, v3, v57
	v_mul_f32_e32 v3, v13, v5
	;; [unrolled: 4-line block ×3, first 2 shown]
	s_wait_dscnt 0x3
	s_delay_alu instid0(VALU_DEP_2) | instskip(SKIP_2) | instid1(VALU_DEP_2)
	v_fmac_f32_e32 v55, v3, v10
	v_mul_f32_e32 v3, v15, v7
	s_wait_dscnt 0x2
	v_fmac_f32_e32 v55, v2, v11
	ds_bpermute_b32 v2, v1, v58 offset:28
	s_wait_dscnt 0x2
	v_fmac_f32_e32 v55, v3, v4
	v_mul_f32_e32 v3, v16, v8
	s_wait_dscnt 0x1
	s_delay_alu instid0(VALU_DEP_1) | instskip(NEXT) | instid1(VALU_DEP_1)
	v_fmac_f32_e32 v55, v3, v5
	v_mov_b32_e32 v86, v55
.LBB149_40:                             ;   in Loop: Header=BB149_3 Depth=1
	v_add_co_u32 v23, vcc_lo, v23, s22
	s_wait_alu 0xfffd
	v_add_co_ci_u32_e64 v24, null, s23, v24, vcc_lo
	v_add_co_u32 v25, vcc_lo, v25, s22
	s_wait_alu 0xfffd
	v_add_co_ci_u32_e64 v26, null, s23, v26, vcc_lo
	;; [unrolled: 3-line block ×13, first 2 shown]
	v_add_co_u32 v49, vcc_lo, v49, s22
	v_mul_f32_e32 v3, v9, v17
	s_add_nc_u64 s[26:27], s[26:27], s[20:21]
	s_wait_alu 0xfffd
	v_add_co_ci_u32_e64 v50, null, s23, v50, vcc_lo
	v_add_co_u32 v51, vcc_lo, v51, s22
	s_wait_alu 0xfffe
	v_cmp_lt_i64_e64 s3, s[26:27], s[4:5]
	s_wait_alu 0xfffd
	v_add_co_ci_u32_e64 v52, null, s23, v52, vcc_lo
	v_add_co_u32 v53, vcc_lo, v53, s22
	s_wait_dscnt 0x0
	v_fmac_f32_e32 v86, v3, v2
	s_wait_alu 0xfffd
	v_add_co_ci_u32_e64 v54, null, s23, v54, vcc_lo
	s_and_b32 vcc_lo, exec_lo, s3
	s_add_nc_u64 s[24:25], s[24:25], s[20:21]
	s_wait_alu 0xfffe
	s_cbranch_vccz .LBB149_50
; %bb.41:                               ;   in Loop: Header=BB149_3 Depth=1
	v_mov_b32_e32 v55, v86
	s_branch .LBB149_3
.LBB149_42:                             ;   in Loop: Header=BB149_3 Depth=1
	v_add_co_u32 v2, vcc_lo, v23, v18
	s_wait_alu 0xfffd
	v_add_co_ci_u32_e64 v3, null, v24, v19, vcc_lo
	v_add_co_u32 v4, vcc_lo, v25, v18
	s_wait_alu 0xfffd
	v_add_co_ci_u32_e64 v5, null, v26, v19, vcc_lo
	global_load_b32 v2, v[2:3], off
	global_load_b32 v10, v[4:5], off
	v_dual_mov_b32 v3, v1 :: v_dual_mov_b32 v4, v1
	v_dual_mov_b32 v5, v1 :: v_dual_mov_b32 v6, v1
	;; [unrolled: 1-line block ×6, first 2 shown]
	v_mov_b32_e32 v15, v1
	v_mov_b32_e32 v17, v1
	s_wait_alu 0xfffe
	s_or_b32 exec_lo, exec_lo, s3
	s_and_saveexec_b32 s3, s2
	s_cbranch_execz .LBB149_32
.LBB149_43:                             ;   in Loop: Header=BB149_3 Depth=1
	v_add_co_u32 v56, vcc_lo, v51, v18
	s_wait_alu 0xfffd
	v_add_co_ci_u32_e64 v57, null, v52, v19, vcc_lo
	v_add_co_u32 v59, vcc_lo, v53, v18
	s_wait_alu 0xfffd
	v_add_co_ci_u32_e64 v60, null, v54, v19, vcc_lo
	global_load_b32 v3, v[56:57], off
	global_load_b32 v11, v[59:60], off
	s_wait_alu 0xfffe
	s_or_b32 exec_lo, exec_lo, s3
	s_and_saveexec_b32 s3, s2
	s_cbranch_execz .LBB149_33
.LBB149_44:                             ;   in Loop: Header=BB149_3 Depth=1
	v_add_co_u32 v56, vcc_lo, v47, v18
	s_wait_alu 0xfffd
	v_add_co_ci_u32_e64 v57, null, v48, v19, vcc_lo
	v_add_co_u32 v59, vcc_lo, v49, v18
	s_wait_alu 0xfffd
	v_add_co_ci_u32_e64 v60, null, v50, v19, vcc_lo
	global_load_b32 v4, v[56:57], off
	global_load_b32 v12, v[59:60], off
	s_wait_alu 0xfffe
	s_or_b32 exec_lo, exec_lo, s3
	s_and_saveexec_b32 s3, s2
	s_cbranch_execz .LBB149_34
.LBB149_45:                             ;   in Loop: Header=BB149_3 Depth=1
	v_add_co_u32 v56, vcc_lo, v43, v18
	s_wait_alu 0xfffd
	v_add_co_ci_u32_e64 v57, null, v44, v19, vcc_lo
	v_add_co_u32 v59, vcc_lo, v45, v18
	s_wait_alu 0xfffd
	v_add_co_ci_u32_e64 v60, null, v46, v19, vcc_lo
	global_load_b32 v5, v[56:57], off
	global_load_b32 v13, v[59:60], off
	s_wait_alu 0xfffe
	s_or_b32 exec_lo, exec_lo, s3
	s_and_saveexec_b32 s3, s2
	s_cbranch_execz .LBB149_35
.LBB149_46:                             ;   in Loop: Header=BB149_3 Depth=1
	v_add_co_u32 v56, vcc_lo, v39, v18
	s_wait_alu 0xfffd
	v_add_co_ci_u32_e64 v57, null, v40, v19, vcc_lo
	v_add_co_u32 v59, vcc_lo, v41, v18
	s_wait_alu 0xfffd
	v_add_co_ci_u32_e64 v60, null, v42, v19, vcc_lo
	global_load_b32 v6, v[56:57], off
	global_load_b32 v14, v[59:60], off
	s_wait_alu 0xfffe
	s_or_b32 exec_lo, exec_lo, s3
	s_and_saveexec_b32 s3, s2
	s_cbranch_execz .LBB149_36
.LBB149_47:                             ;   in Loop: Header=BB149_3 Depth=1
	v_add_co_u32 v56, vcc_lo, v35, v18
	s_wait_alu 0xfffd
	v_add_co_ci_u32_e64 v57, null, v36, v19, vcc_lo
	v_add_co_u32 v59, vcc_lo, v37, v18
	s_wait_alu 0xfffd
	v_add_co_ci_u32_e64 v60, null, v38, v19, vcc_lo
	global_load_b32 v7, v[56:57], off
	global_load_b32 v15, v[59:60], off
	s_wait_alu 0xfffe
	s_or_b32 exec_lo, exec_lo, s3
	s_and_saveexec_b32 s3, s2
	s_cbranch_execz .LBB149_37
.LBB149_48:                             ;   in Loop: Header=BB149_3 Depth=1
	v_add_co_u32 v56, vcc_lo, v31, v18
	s_wait_alu 0xfffd
	v_add_co_ci_u32_e64 v57, null, v32, v19, vcc_lo
	v_add_co_u32 v59, vcc_lo, v33, v18
	s_wait_alu 0xfffd
	v_add_co_ci_u32_e64 v60, null, v34, v19, vcc_lo
	global_load_b32 v8, v[56:57], off
	global_load_b32 v16, v[59:60], off
	s_wait_alu 0xfffe
	s_or_b32 exec_lo, exec_lo, s3
	s_and_saveexec_b32 s3, s2
	s_cbranch_execnz .LBB149_38
	s_branch .LBB149_39
.LBB149_49:
                                        ; implicit-def: $vgpr86
	s_branch .LBB149_51
.LBB149_50:
	s_cbranch_execnz .LBB149_83
.LBB149_51:
	v_mov_b32_e32 v86, 0
	s_and_not1_b32 vcc_lo, exec_lo, s29
	s_wait_alu 0xfffe
	s_cbranch_vccnz .LBB149_83
; %bb.52:
	v_bfe_u32 v48, v0, 10, 10
	v_dual_mov_b32 v1, 0 :: v_dual_and_b32 v50, 0x3ff, v0
	s_lshl_b64 s[18:19], s[14:15], 2
	s_mov_b32 s3, 0
	s_delay_alu instid0(VALU_DEP_2) | instskip(SKIP_2) | instid1(VALU_DEP_3)
	v_lshlrev_b32_e32 v49, 3, v48
	v_dual_mov_b32 v83, 0 :: v_dual_lshlrev_b32 v8, 5, v48
	v_dual_mov_b32 v5, v1 :: v_dual_add_nc_u32 v4, s28, v50
	v_add_co_u32 v10, s2, v49, s14
	s_wait_alu 0xf1ff
	v_add_co_ci_u32_e64 v11, null, 0, 0, s2
	s_delay_alu instid0(VALU_DEP_3) | instskip(NEXT) | instid1(VALU_DEP_3)
	v_lshlrev_b64_e32 v[18:19], 2, v[4:5]
	v_mul_lo_u32 v6, s7, v10
	v_mad_co_u64_u32 v[2:3], null, s6, v10, 0
	s_delay_alu instid0(VALU_DEP_4) | instskip(SKIP_2) | instid1(VALU_DEP_1)
	v_mul_lo_u32 v7, s6, v11
	s_load_b32 s2, s[0:1], 0x44
	s_mov_b32 s17, s3
	v_add3_u32 v3, v3, v7, v6
	v_add_co_u32 v6, s16, v8, s18
	s_wait_alu 0xf1ff
	v_add_co_ci_u32_e64 v7, null, 0, s19, s16
	s_delay_alu instid0(VALU_DEP_3) | instskip(NEXT) | instid1(VALU_DEP_3)
	v_lshlrev_b64_e32 v[4:5], 2, v[2:3]
	v_add_co_u32 v8, vcc_lo, v6, 4
	s_wait_alu 0xfffd
	s_delay_alu instid0(VALU_DEP_3) | instskip(NEXT) | instid1(VALU_DEP_3)
	v_add_co_ci_u32_e64 v9, null, 0, v7, vcc_lo
	v_add_co_u32 v51, vcc_lo, s8, v4
	s_wait_alu 0xfffd
	v_add_co_ci_u32_e64 v52, null, s9, v5, vcc_lo
	v_add_co_u32 v53, vcc_lo, s10, v4
	s_wait_alu 0xfffd
	;; [unrolled: 3-line block ×5, first 2 shown]
	v_add_co_ci_u32_e64 v28, null, 0, v7, vcc_lo
	v_add_co_u32 v42, vcc_lo, v6, 20
	v_mad_co_u64_u32 v[22:23], null, s6, v4, s[8:9]
	v_mul_lo_u32 v5, s6, v5
	v_mul_lo_u32 v15, s7, v4
	v_mad_co_u64_u32 v[36:37], null, s6, v4, s[10:11]
	s_wait_alu 0xfffd
	v_add_co_ci_u32_e64 v30, null, 0, v7, vcc_lo
	v_add_co_u32 v44, vcc_lo, v6, 24
	s_wait_alu 0xfffd
	v_add_co_ci_u32_e64 v32, null, 0, v7, vcc_lo
	v_add_co_u32 v6, vcc_lo, v6, 28
	v_mad_co_u64_u32 v[20:21], null, s6, v8, s[8:9]
	v_mul_lo_u32 v9, s6, v9
	v_mul_lo_u32 v12, s7, v8
	v_mad_co_u64_u32 v[34:35], null, s6, v8, s[10:11]
	s_wait_alu 0xfffd
	v_add_co_ci_u32_e64 v7, null, 0, v7, vcc_lo
	v_add_co_u32 v4, vcc_lo, v10, 7
	v_add3_u32 v23, v15, v23, v5
	v_add3_u32 v37, v15, v37, v5
	s_wait_alu 0xfffd
	v_add_co_ci_u32_e64 v5, null, 0, v11, vcc_lo
	v_mul_lo_u32 v61, s6, v7
	v_add_co_u32 v7, vcc_lo, v10, 6
	v_add3_u32 v21, v12, v21, v9
	v_add3_u32 v35, v12, v35, v9
	s_wait_alu 0xfffd
	v_add_co_ci_u32_e64 v12, null, 0, v11, vcc_lo
	v_mul_lo_u32 v8, s7, v4
	v_mul_lo_u32 v9, s6, v5
	v_mad_co_u64_u32 v[4:5], null, s6, v4, 0
	v_mad_co_u64_u32 v[24:25], null, s6, v13, s[8:9]
	v_mul_lo_u32 v17, s7, v13
	v_mul_lo_u32 v59, s6, v32
	v_mad_co_u64_u32 v[32:33], null, s6, v6, s[8:9]
	v_mul_lo_u32 v62, s7, v6
	v_mad_co_u64_u32 v[38:39], null, s6, v13, s[10:11]
	v_mad_co_u64_u32 v[46:47], null, s6, v6, s[10:11]
	v_mul_lo_u32 v13, s7, v7
	v_mul_lo_u32 v12, s6, v12
	v_mad_co_u64_u32 v[6:7], null, s6, v7, 0
	v_add3_u32 v5, v5, v9, v8
	v_add_co_u32 v8, vcc_lo, v10, 5
	v_mad_co_u64_u32 v[26:27], null, s6, v16, s[8:9]
	v_mul_lo_u32 v55, s6, v28
	v_mul_lo_u32 v56, s7, v16
	v_mad_co_u64_u32 v[40:41], null, s6, v16, s[10:11]
	s_wait_alu 0xfffd
	v_add_co_ci_u32_e64 v9, null, 0, v11, vcc_lo
	v_add3_u32 v7, v7, v12, v13
	v_mad_co_u64_u32 v[28:29], null, s6, v42, s[8:9]
	v_mul_lo_u32 v57, s6, v30
	v_mul_lo_u32 v58, s7, v42
	v_mad_co_u64_u32 v[42:43], null, s6, v42, s[10:11]
	v_lshlrev_b64_e32 v[4:5], 2, v[4:5]
	v_mad_co_u64_u32 v[30:31], null, s6, v44, s[8:9]
	v_mul_lo_u32 v60, s7, v44
	v_mad_co_u64_u32 v[44:45], null, s6, v44, s[10:11]
	v_mul_lo_u32 v12, s7, v8
	v_mul_lo_u32 v13, s6, v9
	v_mad_co_u64_u32 v[8:9], null, s6, v8, 0
	v_lshlrev_b64_e32 v[6:7], 2, v[6:7]
	v_add3_u32 v27, v56, v27, v55
	v_add3_u32 v41, v56, v41, v55
	v_add_co_u32 v55, vcc_lo, s8, v4
	v_add3_u32 v29, v58, v29, v57
	v_add3_u32 v43, v58, v43, v57
	s_wait_alu 0xfffd
	v_add_co_ci_u32_e64 v56, null, s9, v5, vcc_lo
	v_add_co_u32 v57, vcc_lo, s10, v4
	v_add3_u32 v31, v60, v31, v59
	v_add3_u32 v45, v60, v45, v59
	s_wait_alu 0xfffd
	v_add_co_ci_u32_e64 v58, null, s11, v5, vcc_lo
	v_add_co_u32 v59, vcc_lo, s8, v6
	v_mul_lo_u32 v14, s6, v14
	v_add3_u32 v9, v9, v13, v12
	s_wait_alu 0xfffd
	v_add_co_ci_u32_e64 v60, null, s9, v7, vcc_lo
	v_add_co_u32 v12, vcc_lo, v10, 4
	s_wait_kmcnt 0x0
	s_lshl_b32 s16, s2, 7
	v_add3_u32 v33, v62, v33, v61
	v_add3_u32 v47, v62, v47, v61
	v_add_co_u32 v61, s2, s10, v6
	s_wait_alu 0xfffd
	v_add_co_ci_u32_e64 v6, null, 0, v11, vcc_lo
	v_lshlrev_b64_e32 v[4:5], 2, v[8:9]
	v_add_co_u32 v8, vcc_lo, v10, 3
	s_wait_alu 0xfffd
	v_add_co_ci_u32_e64 v9, null, 0, v11, vcc_lo
	v_add3_u32 v25, v17, v25, v14
	v_add3_u32 v39, v17, v39, v14
	s_wait_alu 0xf1ff
	v_add_co_ci_u32_e64 v62, null, s11, v7, s2
	v_mul_lo_u32 v13, s7, v12
	v_mul_lo_u32 v14, s6, v6
	v_mad_co_u64_u32 v[6:7], null, s6, v12, 0
	v_mul_lo_u32 v12, s7, v8
	v_mul_lo_u32 v15, s6, v9
	v_mad_co_u64_u32 v[8:9], null, s6, v8, 0
	v_add_co_u32 v63, vcc_lo, s8, v4
	s_wait_alu 0xfffd
	v_add_co_ci_u32_e64 v64, null, s9, v5, vcc_lo
	v_add3_u32 v7, v7, v14, v13
	v_add_co_u32 v65, vcc_lo, s10, v4
	s_wait_alu 0xfffd
	v_add_co_ci_u32_e64 v66, null, s11, v5, vcc_lo
	v_add_co_u32 v10, vcc_lo, v10, 2
	v_add3_u32 v9, v9, v15, v12
	s_wait_alu 0xfffd
	v_add_co_ci_u32_e64 v11, null, 0, v11, vcc_lo
	v_lshlrev_b64_e32 v[4:5], 2, v[6:7]
	v_mul_lo_u32 v12, s7, v10
	v_lshlrev_b64_e32 v[6:7], 2, v[8:9]
	s_delay_alu instid0(VALU_DEP_4)
	v_mul_lo_u32 v11, s6, v11
	v_mad_co_u64_u32 v[8:9], null, s6, v10, 0
	v_add_co_u32 v67, vcc_lo, s8, v4
	s_wait_alu 0xfffd
	v_add_co_ci_u32_e64 v68, null, s9, v5, vcc_lo
	v_add_co_u32 v69, vcc_lo, s10, v4
	s_wait_alu 0xfffd
	v_add_co_ci_u32_e64 v70, null, s11, v5, vcc_lo
	;; [unrolled: 3-line block ×3, first 2 shown]
	v_add3_u32 v9, v9, v11, v12
	v_add_co_u32 v73, vcc_lo, s10, v6
	s_wait_alu 0xfffd
	v_add_co_ci_u32_e64 v74, null, s11, v7, vcc_lo
	v_add_co_u32 v2, vcc_lo, v2, s6
	s_wait_alu 0xfffd
	v_add_co_ci_u32_e64 v3, null, s7, v3, vcc_lo
	v_lshlrev_b64_e32 v[4:5], 2, v[8:9]
	s_wait_alu 0xfffe
	s_mul_u64 s[18:19], s[6:7], s[16:17]
	s_delay_alu instid0(VALU_DEP_2) | instskip(NEXT) | instid1(VALU_DEP_2)
	v_lshlrev_b64_e32 v[2:3], 2, v[2:3]
	v_add_co_u32 v75, vcc_lo, s8, v4
	s_wait_alu 0xfffd
	v_add_co_ci_u32_e64 v76, null, s9, v5, vcc_lo
	v_add_co_u32 v77, vcc_lo, s10, v4
	s_wait_alu 0xfffd
	v_add_co_ci_u32_e64 v78, null, s11, v5, vcc_lo
	v_add_co_u32 v79, vcc_lo, s8, v2
	s_wait_alu 0xfffd
	v_add_co_ci_u32_e64 v80, null, s9, v3, vcc_lo
	v_add_co_u32 v81, vcc_lo, s10, v2
	s_wait_alu 0xfffd
	v_add_co_ci_u32_e64 v82, null, s11, v3, vcc_lo
	s_add_nc_u64 s[8:9], s[0:1], 64
	s_wait_alu 0xfffe
	s_lshl_b64 s[10:11], s[18:19], 2
	s_add_nc_u64 s[18:19], s[14:15], 0x7f
.LBB149_53:                             ; =>This Inner Loop Header: Depth=1
	s_wait_alu 0xfffe
	v_cmp_ge_i64_e64 s2, s[18:19], s[4:5]
	v_add_co_u32 v84, s20, v49, s18
	s_wait_alu 0xf1ff
	v_add_co_ci_u32_e64 v85, null, 0, s19, s20
                                        ; implicit-def: $vgpr86
	s_and_b32 vcc_lo, exec_lo, s2
	s_mov_b32 s2, -1
	s_wait_alu 0xfffe
	s_cbranch_vccz .LBB149_75
; %bb.54:                               ;   in Loop: Header=BB149_53 Depth=1
	s_load_b32 s2, s[8:9], 0xc
	v_mov_b32_e32 v87, 0
	s_wait_kmcnt 0x0
	s_and_b32 s2, s2, 0xffff
	s_wait_alu 0xfffe
	v_mad_u32_u24 v2, v48, s2, v50
	s_mov_b32 s2, exec_lo
	s_delay_alu instid0(VALU_DEP_1) | instskip(NEXT) | instid1(VALU_DEP_1)
	v_and_b32_e32 v2, 31, v2
	v_cmpx_gt_u32_e32 8, v2
	s_cbranch_execz .LBB149_58
; %bb.55:                               ;   in Loop: Header=BB149_53 Depth=1
	v_add_co_u32 v2, vcc_lo, v84, v2
	s_wait_alu 0xfffd
	v_add_co_ci_u32_e64 v3, null, 0, v85, vcc_lo
	v_mov_b32_e32 v87, 0
	s_delay_alu instid0(VALU_DEP_3) | instskip(SKIP_1) | instid1(VALU_DEP_3)
	v_add_co_u32 v2, vcc_lo, 0xffffff81, v2
	s_wait_alu 0xfffd
	v_add_co_ci_u32_e64 v3, null, -1, v3, vcc_lo
	s_mov_b32 s20, exec_lo
	v_cmpx_gt_i64_e64 s[4:5], v[2:3]
	s_cbranch_execz .LBB149_57
; %bb.56:                               ;   in Loop: Header=BB149_53 Depth=1
	v_lshlrev_b64_e32 v[2:3], 2, v[2:3]
	s_delay_alu instid0(VALU_DEP_1) | instskip(SKIP_1) | instid1(VALU_DEP_2)
	v_add_co_u32 v2, vcc_lo, s12, v2
	s_wait_alu 0xfffd
	v_add_co_ci_u32_e64 v3, null, s13, v3, vcc_lo
	global_load_b32 v87, v[2:3], off
.LBB149_57:                             ;   in Loop: Header=BB149_53 Depth=1
	s_wait_alu 0xfffe
	s_or_b32 exec_lo, exec_lo, s20
.LBB149_58:                             ;   in Loop: Header=BB149_53 Depth=1
	s_wait_alu 0xfffe
	s_or_b32 exec_lo, exec_lo, s2
	v_add_co_u32 v9, vcc_lo, 0xffffff81, v84
	s_wait_alu 0xfffd
	v_add_co_ci_u32_e64 v10, null, -1, v85, vcc_lo
	v_mov_b32_e32 v8, v1
	v_dual_mov_b32 v2, v1 :: v_dual_mov_b32 v3, v1
	v_dual_mov_b32 v4, v1 :: v_dual_mov_b32 v5, v1
	;; [unrolled: 1-line block ×3, first 2 shown]
	v_cmp_gt_i64_e32 vcc_lo, s[4:5], v[9:10]
	s_delay_alu instid0(VALU_DEP_3) | instskip(NEXT) | instid1(VALU_DEP_3)
	v_dual_mov_b32 v17, v8 :: v_dual_mov_b32 v14, v5
	v_dual_mov_b32 v15, v6 :: v_dual_mov_b32 v16, v7
	v_dual_mov_b32 v13, v4 :: v_dual_mov_b32 v12, v3
	v_dual_mov_b32 v11, v2 :: v_dual_mov_b32 v10, v1
	v_mov_b32_e32 v9, v8
	v_mov_b32_e32 v8, v7
	;; [unrolled: 1-line block ×8, first 2 shown]
	s_and_saveexec_b32 s2, vcc_lo
	s_cbranch_execz .LBB149_60
; %bb.59:                               ;   in Loop: Header=BB149_53 Depth=1
	v_add_co_u32 v2, vcc_lo, v51, v18
	s_wait_alu 0xfffd
	v_add_co_ci_u32_e64 v3, null, v52, v19, vcc_lo
	v_add_co_u32 v4, vcc_lo, v53, v18
	s_wait_alu 0xfffd
	v_add_co_ci_u32_e64 v5, null, v54, v19, vcc_lo
	global_load_b32 v2, v[2:3], off
	global_load_b32 v10, v[4:5], off
	v_dual_mov_b32 v3, v1 :: v_dual_mov_b32 v4, v1
	v_dual_mov_b32 v5, v1 :: v_dual_mov_b32 v6, v1
	v_dual_mov_b32 v7, v1 :: v_dual_mov_b32 v8, v1
	v_dual_mov_b32 v9, v1 :: v_dual_mov_b32 v12, v1
	v_dual_mov_b32 v11, v1 :: v_dual_mov_b32 v14, v1
	v_dual_mov_b32 v13, v1 :: v_dual_mov_b32 v16, v1
	v_mov_b32_e32 v15, v1
	v_mov_b32_e32 v17, v1
.LBB149_60:                             ;   in Loop: Header=BB149_53 Depth=1
	s_wait_alu 0xfffe
	s_or_b32 exec_lo, exec_lo, s2
	v_add_co_u32 v88, vcc_lo, 0xffffff82, v84
	s_wait_alu 0xfffd
	v_add_co_ci_u32_e64 v89, null, -1, v85, vcc_lo
	s_mov_b32 s2, exec_lo
	v_cmpx_gt_i64_e64 s[4:5], v[88:89]
	s_cbranch_execz .LBB149_62
; %bb.61:                               ;   in Loop: Header=BB149_53 Depth=1
	v_add_co_u32 v88, vcc_lo, v79, v18
	s_wait_alu 0xfffd
	v_add_co_ci_u32_e64 v89, null, v80, v19, vcc_lo
	v_add_co_u32 v90, vcc_lo, v81, v18
	s_wait_alu 0xfffd
	v_add_co_ci_u32_e64 v91, null, v82, v19, vcc_lo
	global_load_b32 v3, v[88:89], off
	global_load_b32 v11, v[90:91], off
.LBB149_62:                             ;   in Loop: Header=BB149_53 Depth=1
	s_wait_alu 0xfffe
	s_or_b32 exec_lo, exec_lo, s2
	v_add_co_u32 v88, vcc_lo, 0xffffff83, v84
	s_wait_alu 0xfffd
	v_add_co_ci_u32_e64 v89, null, -1, v85, vcc_lo
	s_mov_b32 s2, exec_lo
	v_cmpx_gt_i64_e64 s[4:5], v[88:89]
	s_cbranch_execz .LBB149_64
; %bb.63:                               ;   in Loop: Header=BB149_53 Depth=1
	v_add_co_u32 v88, vcc_lo, v75, v18
	s_wait_alu 0xfffd
	v_add_co_ci_u32_e64 v89, null, v76, v19, vcc_lo
	v_add_co_u32 v90, vcc_lo, v77, v18
	s_wait_alu 0xfffd
	v_add_co_ci_u32_e64 v91, null, v78, v19, vcc_lo
	global_load_b32 v4, v[88:89], off
	global_load_b32 v12, v[90:91], off
.LBB149_64:                             ;   in Loop: Header=BB149_53 Depth=1
	;; [unrolled: 18-line block ×7, first 2 shown]
	s_wait_alu 0xfffe
	s_or_b32 exec_lo, exec_lo, s2
	s_wait_loadcnt 0x0
	ds_bpermute_b32 v86, v1, v87
	ds_bpermute_b32 v88, v1, v87 offset:4
	ds_bpermute_b32 v89, v1, v87 offset:8
	v_dual_mul_f32 v2, v10, v2 :: v_dual_mul_f32 v3, v11, v3
	ds_bpermute_b32 v10, v1, v87 offset:12
	ds_bpermute_b32 v11, v1, v87 offset:16
	s_mov_b32 s2, 0
	s_wait_dscnt 0x4
	v_fma_f32 v86, v2, v86, v83
	v_mul_f32_e32 v2, v12, v4
	ds_bpermute_b32 v4, v1, v87 offset:20
	s_wait_dscnt 0x4
	v_dual_fmac_f32 v86, v3, v88 :: v_dual_mul_f32 v3, v13, v5
	ds_bpermute_b32 v5, v1, v87 offset:24
	s_wait_dscnt 0x4
	v_fmac_f32_e32 v86, v2, v89
	v_mul_f32_e32 v2, v14, v6
	v_mul_f32_e32 v6, v15, v7
	s_wait_dscnt 0x3
	s_delay_alu instid0(VALU_DEP_3)
	v_fmac_f32_e32 v86, v3, v10
	ds_bpermute_b32 v3, v1, v87 offset:28
	s_wait_dscnt 0x3
	v_fmac_f32_e32 v86, v2, v11
	v_mul_f32_e32 v2, v16, v8
	s_wait_dscnt 0x2
	s_delay_alu instid0(VALU_DEP_2) | instskip(SKIP_1) | instid1(VALU_DEP_1)
	v_fmac_f32_e32 v86, v6, v4
	s_wait_dscnt 0x1
	v_fmac_f32_e32 v86, v2, v5
	v_mul_f32_e32 v2, v17, v9
	s_wait_dscnt 0x0
	s_delay_alu instid0(VALU_DEP_1)
	v_fmac_f32_e32 v86, v2, v3
.LBB149_75:                             ;   in Loop: Header=BB149_53 Depth=1
	s_wait_alu 0xfffe
	s_and_b32 vcc_lo, exec_lo, s2
	s_wait_alu 0xfffe
	s_cbranch_vccz .LBB149_81
; %bb.76:                               ;   in Loop: Header=BB149_53 Depth=1
	s_load_b32 s2, s[8:9], 0x0
	v_mov_b32_e32 v4, 0
	s_wait_kmcnt 0x0
	s_cmp_lt_u32 ttmp9, s2
	s_cselect_b32 s2, 12, 18
	s_wait_alu 0xfffe
	s_add_nc_u64 s[20:21], s[8:9], s[2:3]
	s_load_u16 s2, s[20:21], 0x0
	s_wait_kmcnt 0x0
	v_mad_u32_u24 v2, v48, s2, v50
	s_mov_b32 s2, exec_lo
	s_delay_alu instid0(VALU_DEP_1) | instskip(NEXT) | instid1(VALU_DEP_1)
	v_and_b32_e32 v2, 31, v2
	v_cmpx_gt_u32_e32 8, v2
	s_cbranch_execz .LBB149_80
; %bb.77:                               ;   in Loop: Header=BB149_53 Depth=1
	v_add_co_u32 v2, vcc_lo, v84, v2
	s_wait_alu 0xfffd
	v_add_co_ci_u32_e64 v3, null, 0, v85, vcc_lo
	v_mov_b32_e32 v4, 0
	s_delay_alu instid0(VALU_DEP_3) | instskip(SKIP_1) | instid1(VALU_DEP_3)
	v_add_co_u32 v2, vcc_lo, 0xffffff81, v2
	s_wait_alu 0xfffd
	v_add_co_ci_u32_e64 v3, null, -1, v3, vcc_lo
	s_mov_b32 s20, exec_lo
	v_cmpx_gt_i64_e64 s[4:5], v[2:3]
	s_cbranch_execz .LBB149_79
; %bb.78:                               ;   in Loop: Header=BB149_53 Depth=1
	v_lshlrev_b64_e32 v[2:3], 2, v[2:3]
	s_delay_alu instid0(VALU_DEP_1) | instskip(SKIP_1) | instid1(VALU_DEP_2)
	v_add_co_u32 v2, vcc_lo, s12, v2
	s_wait_alu 0xfffd
	v_add_co_ci_u32_e64 v3, null, s13, v3, vcc_lo
	global_load_b32 v4, v[2:3], off
.LBB149_79:                             ;   in Loop: Header=BB149_53 Depth=1
	s_wait_alu 0xfffe
	s_or_b32 exec_lo, exec_lo, s20
.LBB149_80:                             ;   in Loop: Header=BB149_53 Depth=1
	s_wait_alu 0xfffe
	s_or_b32 exec_lo, exec_lo, s2
	v_add_co_u32 v2, vcc_lo, v51, v18
	s_wait_alu 0xfffd
	v_add_co_ci_u32_e64 v3, null, v52, v19, vcc_lo
	v_add_co_u32 v5, vcc_lo, v53, v18
	s_wait_alu 0xfffd
	v_add_co_ci_u32_e64 v6, null, v54, v19, vcc_lo
	;; [unrolled: 3-line block ×4, first 2 shown]
	global_load_b32 v13, v[2:3], off
	global_load_b32 v14, v[5:6], off
	;; [unrolled: 1-line block ×4, first 2 shown]
	v_add_co_u32 v2, vcc_lo, v22, v18
	s_wait_alu 0xfffd
	v_add_co_ci_u32_e64 v3, null, v23, v19, vcc_lo
	v_add_co_u32 v5, vcc_lo, v36, v18
	s_wait_alu 0xfffd
	v_add_co_ci_u32_e64 v6, null, v37, v19, vcc_lo
	;; [unrolled: 3-line block ×5, first 2 shown]
	global_load_b32 v17, v[2:3], off
	global_load_b32 v84, v[5:6], off
	;; [unrolled: 1-line block ×5, first 2 shown]
	v_add_co_u32 v2, vcc_lo, v40, v18
	s_wait_alu 0xfffd
	v_add_co_ci_u32_e64 v3, null, v41, v19, vcc_lo
	v_add_co_u32 v5, vcc_lo, v28, v18
	s_wait_alu 0xfffd
	v_add_co_ci_u32_e64 v6, null, v29, v19, vcc_lo
	;; [unrolled: 3-line block ×5, first 2 shown]
	global_load_b32 v88, v[2:3], off
	global_load_b32 v89, v[5:6], off
	;; [unrolled: 1-line block ×5, first 2 shown]
	v_add_co_u32 v2, vcc_lo, v32, v18
	s_wait_alu 0xfffd
	v_add_co_ci_u32_e64 v3, null, v33, v19, vcc_lo
	v_add_co_u32 v5, vcc_lo, v46, v18
	s_wait_alu 0xfffd
	v_add_co_ci_u32_e64 v6, null, v47, v19, vcc_lo
	global_load_b32 v2, v[2:3], off
	global_load_b32 v3, v[5:6], off
	s_wait_loadcnt 0x10
	ds_bpermute_b32 v5, v1, v4
	ds_bpermute_b32 v6, v1, v4 offset:4
	ds_bpermute_b32 v10, v1, v4 offset:8
	;; [unrolled: 1-line block ×3, first 2 shown]
	s_wait_loadcnt 0xe
	v_mul_f32_e32 v12, v13, v14
	ds_bpermute_b32 v13, v1, v4 offset:16
	s_wait_loadcnt_dscnt 0xc04
	v_dual_mul_f32 v14, v15, v16 :: v_dual_fmac_f32 v83, v12, v5
	ds_bpermute_b32 v5, v1, v4 offset:20
	s_wait_dscnt 0x4
	v_fmac_f32_e32 v83, v14, v6
	ds_bpermute_b32 v6, v1, v4 offset:24
	ds_bpermute_b32 v4, v1, v4 offset:28
	s_wait_loadcnt 0xa
	v_mul_f32_e32 v12, v17, v84
	s_wait_loadcnt_dscnt 0x605
	s_delay_alu instid0(VALU_DEP_1) | instskip(SKIP_4) | instid1(VALU_DEP_2)
	v_dual_fmac_f32 v83, v12, v10 :: v_dual_mul_f32 v10, v87, v88
	v_mul_f32_e32 v14, v85, v86
	s_wait_loadcnt 0x2
	v_dual_mul_f32 v7, v89, v7 :: v_dual_mul_f32 v8, v8, v9
	s_wait_dscnt 0x4
	v_fmac_f32_e32 v83, v14, v11
	s_wait_dscnt 0x3
	s_delay_alu instid0(VALU_DEP_1) | instskip(SKIP_1) | instid1(VALU_DEP_1)
	v_fmac_f32_e32 v83, v10, v13
	s_wait_loadcnt_dscnt 0x2
	v_dual_mul_f32 v2, v2, v3 :: v_dual_fmac_f32 v83, v7, v5
	s_wait_dscnt 0x1
	s_delay_alu instid0(VALU_DEP_1) | instskip(SKIP_1) | instid1(VALU_DEP_1)
	v_fmac_f32_e32 v83, v8, v6
	s_wait_dscnt 0x0
	v_fmac_f32_e32 v83, v2, v4
	s_delay_alu instid0(VALU_DEP_1)
	v_mov_b32_e32 v86, v83
.LBB149_81:                             ;   in Loop: Header=BB149_53 Depth=1
	v_add_co_u32 v51, vcc_lo, v51, s10
	s_wait_alu 0xfffd
	v_add_co_ci_u32_e64 v52, null, s11, v52, vcc_lo
	v_add_co_u32 v53, vcc_lo, v53, s10
	s_wait_alu 0xfffd
	v_add_co_ci_u32_e64 v54, null, s11, v54, vcc_lo
	;; [unrolled: 3-line block ×27, first 2 shown]
	v_add_co_u32 v77, vcc_lo, v77, s10
	s_add_nc_u64 s[14:15], s[14:15], s[16:17]
	s_wait_alu 0xfffd
	v_add_co_ci_u32_e64 v78, null, s11, v78, vcc_lo
	v_add_co_u32 v79, vcc_lo, v79, s10
	s_wait_alu 0xfffe
	v_cmp_ge_i64_e64 s2, s[14:15], s[4:5]
	s_wait_alu 0xfffd
	v_add_co_ci_u32_e64 v80, null, s11, v80, vcc_lo
	v_add_co_u32 v81, vcc_lo, v81, s10
	s_wait_alu 0xfffd
	v_add_co_ci_u32_e64 v82, null, s11, v82, vcc_lo
	s_and_b32 vcc_lo, exec_lo, s2
	s_add_nc_u64 s[18:19], s[18:19], s[16:17]
	s_wait_alu 0xfffe
	s_cbranch_vccnz .LBB149_83
; %bb.82:                               ;   in Loop: Header=BB149_53 Depth=1
	v_mov_b32_e32 v83, v86
	s_branch .LBB149_53
.LBB149_83:
	v_dual_mov_b32 v4, 0 :: v_dual_and_b32 v5, 0x3ff, v0
	v_bfe_u32 v0, v0, 10, 10
	s_mov_b32 s2, exec_lo
	s_delay_alu instid0(VALU_DEP_1) | instskip(NEXT) | instid1(VALU_DEP_1)
	v_mad_u32_u24 v1, 0x41, v0, v5
	v_lshl_add_u32 v2, v1, 2, 0
	v_sub_nc_u32_e32 v3, v1, v0
	ds_store_b32 v2, v86
	ds_store_b32 v2, v4 offset:4160
	s_wait_dscnt 0x0
	s_barrier_signal -1
	s_barrier_wait -1
	global_inv scope:SCOPE_SE
	v_cmpx_gt_u32_e32 0x800, v3
	s_cbranch_execz .LBB149_93
; %bb.84:
	s_load_b64 s[2:3], s[0:1], 0x30
	v_and_b32_e32 v0, 31, v5
	v_lshrrev_b32_e32 v2, 5, v3
	s_delay_alu instid0(VALU_DEP_2)
	v_cmp_gt_u32_e32 vcc_lo, 16, v0
	v_mul_u32_u24_e32 v4, 0x41, v0
                                        ; implicit-def: $vgpr0
	s_and_saveexec_b32 s0, vcc_lo
	s_cbranch_execz .LBB149_86
; %bb.85:
	v_lshlrev_b32_e32 v0, 2, v2
	s_delay_alu instid0(VALU_DEP_2) | instskip(NEXT) | instid1(VALU_DEP_1)
	v_lshlrev_b32_e32 v1, 2, v4
	v_add3_u32 v0, 0, v0, v1
	ds_load_b32 v0, v0
.LBB149_86:
	s_or_b32 exec_lo, exec_lo, s0
	v_mbcnt_lo_u32_b32 v1, -1, 0
	s_mov_b32 s4, ttmp9
	s_mov_b32 s5, 0
	s_wait_alu 0xfffe
	s_lshl_b64 s[4:5], s[4:5], 6
	v_xor_b32_e32 v6, 8, v1
	v_xor_b32_e32 v7, 4, v1
	;; [unrolled: 1-line block ×3, first 2 shown]
	s_wait_kmcnt 0x0
	s_cmp_eq_u64 s[2:3], 0
	s_cselect_b32 s8, -1, 0
	v_cmp_gt_i32_e64 s0, 32, v6
	s_delay_alu instid0(VALU_DEP_1) | instskip(SKIP_1) | instid1(VALU_DEP_2)
	v_cndmask_b32_e64 v6, v1, v6, s0
	v_cmp_gt_i32_e64 s0, 32, v7
	v_lshlrev_b32_e32 v6, 2, v6
	s_wait_alu 0xf1ff
	s_delay_alu instid0(VALU_DEP_2)
	v_cndmask_b32_e64 v7, v1, v7, s0
	s_wait_dscnt 0x0
	ds_bpermute_b32 v8, v6, v0
	s_wait_dscnt 0x0
	v_dual_add_f32 v0, v0, v8 :: v_dual_lshlrev_b32 v7, 2, v7
	v_xor_b32_e32 v8, 2, v1
	ds_bpermute_b32 v9, v7, v0
	v_cmp_gt_i32_e64 s0, 32, v8
	s_wait_alu 0xf1ff
	s_delay_alu instid0(VALU_DEP_1) | instskip(SKIP_1) | instid1(VALU_DEP_2)
	v_cndmask_b32_e64 v8, v1, v8, s0
	v_cmp_gt_i32_e64 s0, 32, v10
	v_lshlrev_b32_e32 v8, 2, v8
	s_wait_alu 0xf1ff
	s_delay_alu instid0(VALU_DEP_2)
	v_cndmask_b32_e64 v1, v1, v10, s0
	v_cmp_ne_u32_e64 s0, 0, v5
	s_wait_dscnt 0x0
	v_add_f32_e32 v0, v0, v9
	ds_bpermute_b32 v9, v8, v0
	s_wait_dscnt 0x0
	v_add_f32_e32 v10, v0, v9
	v_lshlrev_b32_e32 v9, 2, v1
	s_wait_alu 0xfffe
	v_or_b32_e32 v0, s4, v2
	v_mov_b32_e32 v1, s5
	ds_bpermute_b32 v11, v9, v10
	v_cmp_le_i64_e64 s1, s[6:7], v[0:1]
	s_or_b32 s1, s0, s1
	s_wait_alu 0xfffe
	s_nor_b32 s1, s8, s1
	s_wait_dscnt 0x0
	v_add_f32_e32 v5, v10, v11
	s_wait_alu 0xfffe
	s_and_saveexec_b32 s9, s1
	s_cbranch_execz .LBB149_88
; %bb.87:
	v_lshlrev_b64_e32 v[0:1], 2, v[0:1]
	s_delay_alu instid0(VALU_DEP_1) | instskip(SKIP_1) | instid1(VALU_DEP_2)
	v_add_co_u32 v0, s1, s2, v0
	s_wait_alu 0xf1ff
	v_add_co_ci_u32_e64 v1, null, s3, v1, s1
	global_store_b32 v[0:1], v5, off
.LBB149_88:
	s_wait_alu 0xfffe
	s_or_b32 exec_lo, exec_lo, s9
	v_cmp_gt_u32_e64 s1, 0x400, v3
	s_and_b32 exec_lo, exec_lo, s1
	s_cbranch_execz .LBB149_93
; %bb.89:
	s_and_saveexec_b32 s1, vcc_lo
	s_cbranch_execz .LBB149_91
; %bb.90:
	v_lshlrev_b32_e32 v0, 2, v2
	v_lshlrev_b32_e32 v1, 2, v4
	s_delay_alu instid0(VALU_DEP_1)
	v_add3_u32 v0, 0, v0, v1
	ds_load_b32 v5, v0 offset:128
.LBB149_91:
	s_wait_alu 0xfffe
	s_or_b32 exec_lo, exec_lo, s1
	s_wait_dscnt 0x0
	ds_bpermute_b32 v0, v6, v5
	v_dual_mov_b32 v4, s5 :: v_dual_add_nc_u32 v3, 32, v2
	s_delay_alu instid0(VALU_DEP_1) | instskip(NEXT) | instid1(VALU_DEP_1)
	v_or_b32_e32 v3, s4, v3
	v_cmp_le_i64_e32 vcc_lo, s[6:7], v[3:4]
	s_or_b32 s0, s0, vcc_lo
	s_wait_dscnt 0x0
	v_add_f32_e32 v0, v5, v0
	s_wait_alu 0xfffe
	s_nor_b32 s0, s8, s0
	ds_bpermute_b32 v1, v7, v0
	s_wait_dscnt 0x0
	v_add_f32_e32 v0, v0, v1
	ds_bpermute_b32 v1, v8, v0
	s_wait_dscnt 0x0
	v_add_f32_e32 v0, v0, v1
	ds_bpermute_b32 v1, v9, v0
	s_wait_alu 0xfffe
	s_and_saveexec_b32 s1, s0
	s_wait_alu 0xfffe
	s_xor_b32 s1, exec_lo, s1
	s_cbranch_execz .LBB149_93
; %bb.92:
	v_add_co_u32 v2, s0, s4, v2
	s_wait_alu 0xf1ff
	v_add_co_ci_u32_e64 v3, null, s5, 0, s0
	s_wait_dscnt 0x0
	v_add_f32_e32 v4, v0, v1
	s_delay_alu instid0(VALU_DEP_2) | instskip(NEXT) | instid1(VALU_DEP_1)
	v_lshlrev_b64_e32 v[2:3], 2, v[2:3]
	v_add_co_u32 v0, vcc_lo, s2, v2
	s_wait_alu 0xfffd
	s_delay_alu instid0(VALU_DEP_2)
	v_add_co_ci_u32_e64 v1, null, s3, v3, vcc_lo
	global_store_b32 v[0:1], v4, off offset:128
.LBB149_93:
	s_endpgm
	.section	.rodata,"a",@progbits
	.p2align	6, 0x0
	.amdhsa_kernel _ZN2at6native12_GLOBAL__N_135GammaBetaBackwardCUDAKernelTemplateIffLj64ELj16ELj128ELb0ELb0ELb1EEEvllPKT_S5_PKT0_S8_PS3_S9_
		.amdhsa_group_segment_fixed_size 0
		.amdhsa_private_segment_fixed_size 0
		.amdhsa_kernarg_size 320
		.amdhsa_user_sgpr_count 2
		.amdhsa_user_sgpr_dispatch_ptr 0
		.amdhsa_user_sgpr_queue_ptr 0
		.amdhsa_user_sgpr_kernarg_segment_ptr 1
		.amdhsa_user_sgpr_dispatch_id 0
		.amdhsa_user_sgpr_private_segment_size 0
		.amdhsa_wavefront_size32 1
		.amdhsa_uses_dynamic_stack 0
		.amdhsa_enable_private_segment 0
		.amdhsa_system_sgpr_workgroup_id_x 1
		.amdhsa_system_sgpr_workgroup_id_y 1
		.amdhsa_system_sgpr_workgroup_id_z 0
		.amdhsa_system_sgpr_workgroup_info 0
		.amdhsa_system_vgpr_workitem_id 1
		.amdhsa_next_free_vgpr 92
		.amdhsa_next_free_sgpr 32
		.amdhsa_reserve_vcc 1
		.amdhsa_float_round_mode_32 0
		.amdhsa_float_round_mode_16_64 0
		.amdhsa_float_denorm_mode_32 3
		.amdhsa_float_denorm_mode_16_64 3
		.amdhsa_fp16_overflow 0
		.amdhsa_workgroup_processor_mode 1
		.amdhsa_memory_ordered 1
		.amdhsa_forward_progress 1
		.amdhsa_inst_pref_size 73
		.amdhsa_round_robin_scheduling 0
		.amdhsa_exception_fp_ieee_invalid_op 0
		.amdhsa_exception_fp_denorm_src 0
		.amdhsa_exception_fp_ieee_div_zero 0
		.amdhsa_exception_fp_ieee_overflow 0
		.amdhsa_exception_fp_ieee_underflow 0
		.amdhsa_exception_fp_ieee_inexact 0
		.amdhsa_exception_int_div_zero 0
	.end_amdhsa_kernel
	.section	.text._ZN2at6native12_GLOBAL__N_135GammaBetaBackwardCUDAKernelTemplateIffLj64ELj16ELj128ELb0ELb0ELb1EEEvllPKT_S5_PKT0_S8_PS3_S9_,"axG",@progbits,_ZN2at6native12_GLOBAL__N_135GammaBetaBackwardCUDAKernelTemplateIffLj64ELj16ELj128ELb0ELb0ELb1EEEvllPKT_S5_PKT0_S8_PS3_S9_,comdat
.Lfunc_end149:
	.size	_ZN2at6native12_GLOBAL__N_135GammaBetaBackwardCUDAKernelTemplateIffLj64ELj16ELj128ELb0ELb0ELb1EEEvllPKT_S5_PKT0_S8_PS3_S9_, .Lfunc_end149-_ZN2at6native12_GLOBAL__N_135GammaBetaBackwardCUDAKernelTemplateIffLj64ELj16ELj128ELb0ELb0ELb1EEEvllPKT_S5_PKT0_S8_PS3_S9_
                                        ; -- End function
	.set _ZN2at6native12_GLOBAL__N_135GammaBetaBackwardCUDAKernelTemplateIffLj64ELj16ELj128ELb0ELb0ELb1EEEvllPKT_S5_PKT0_S8_PS3_S9_.num_vgpr, 92
	.set _ZN2at6native12_GLOBAL__N_135GammaBetaBackwardCUDAKernelTemplateIffLj64ELj16ELj128ELb0ELb0ELb1EEEvllPKT_S5_PKT0_S8_PS3_S9_.num_agpr, 0
	.set _ZN2at6native12_GLOBAL__N_135GammaBetaBackwardCUDAKernelTemplateIffLj64ELj16ELj128ELb0ELb0ELb1EEEvllPKT_S5_PKT0_S8_PS3_S9_.numbered_sgpr, 32
	.set _ZN2at6native12_GLOBAL__N_135GammaBetaBackwardCUDAKernelTemplateIffLj64ELj16ELj128ELb0ELb0ELb1EEEvllPKT_S5_PKT0_S8_PS3_S9_.num_named_barrier, 0
	.set _ZN2at6native12_GLOBAL__N_135GammaBetaBackwardCUDAKernelTemplateIffLj64ELj16ELj128ELb0ELb0ELb1EEEvllPKT_S5_PKT0_S8_PS3_S9_.private_seg_size, 0
	.set _ZN2at6native12_GLOBAL__N_135GammaBetaBackwardCUDAKernelTemplateIffLj64ELj16ELj128ELb0ELb0ELb1EEEvllPKT_S5_PKT0_S8_PS3_S9_.uses_vcc, 1
	.set _ZN2at6native12_GLOBAL__N_135GammaBetaBackwardCUDAKernelTemplateIffLj64ELj16ELj128ELb0ELb0ELb1EEEvllPKT_S5_PKT0_S8_PS3_S9_.uses_flat_scratch, 0
	.set _ZN2at6native12_GLOBAL__N_135GammaBetaBackwardCUDAKernelTemplateIffLj64ELj16ELj128ELb0ELb0ELb1EEEvllPKT_S5_PKT0_S8_PS3_S9_.has_dyn_sized_stack, 0
	.set _ZN2at6native12_GLOBAL__N_135GammaBetaBackwardCUDAKernelTemplateIffLj64ELj16ELj128ELb0ELb0ELb1EEEvllPKT_S5_PKT0_S8_PS3_S9_.has_recursion, 0
	.set _ZN2at6native12_GLOBAL__N_135GammaBetaBackwardCUDAKernelTemplateIffLj64ELj16ELj128ELb0ELb0ELb1EEEvllPKT_S5_PKT0_S8_PS3_S9_.has_indirect_call, 0
	.section	.AMDGPU.csdata,"",@progbits
; Kernel info:
; codeLenInByte = 9276
; TotalNumSgprs: 34
; NumVgprs: 92
; ScratchSize: 0
; MemoryBound: 0
; FloatMode: 240
; IeeeMode: 1
; LDSByteSize: 0 bytes/workgroup (compile time only)
; SGPRBlocks: 0
; VGPRBlocks: 11
; NumSGPRsForWavesPerEU: 34
; NumVGPRsForWavesPerEU: 92
; Occupancy: 16
; WaveLimiterHint : 0
; COMPUTE_PGM_RSRC2:SCRATCH_EN: 0
; COMPUTE_PGM_RSRC2:USER_SGPR: 2
; COMPUTE_PGM_RSRC2:TRAP_HANDLER: 0
; COMPUTE_PGM_RSRC2:TGID_X_EN: 1
; COMPUTE_PGM_RSRC2:TGID_Y_EN: 1
; COMPUTE_PGM_RSRC2:TGID_Z_EN: 0
; COMPUTE_PGM_RSRC2:TIDIG_COMP_CNT: 1
	.section	.text._ZN2at6native12_GLOBAL__N_135GammaBetaBackwardCUDAKernelTemplateIffLj64ELj16ELj256ELb0ELb1ELb1EEEvllPKT_S5_PKT0_S8_PS3_S9_,"axG",@progbits,_ZN2at6native12_GLOBAL__N_135GammaBetaBackwardCUDAKernelTemplateIffLj64ELj16ELj256ELb0ELb1ELb1EEEvllPKT_S5_PKT0_S8_PS3_S9_,comdat
	.globl	_ZN2at6native12_GLOBAL__N_135GammaBetaBackwardCUDAKernelTemplateIffLj64ELj16ELj256ELb0ELb1ELb1EEEvllPKT_S5_PKT0_S8_PS3_S9_ ; -- Begin function _ZN2at6native12_GLOBAL__N_135GammaBetaBackwardCUDAKernelTemplateIffLj64ELj16ELj256ELb0ELb1ELb1EEEvllPKT_S5_PKT0_S8_PS3_S9_
	.p2align	8
	.type	_ZN2at6native12_GLOBAL__N_135GammaBetaBackwardCUDAKernelTemplateIffLj64ELj16ELj256ELb0ELb1ELb1EEEvllPKT_S5_PKT0_S8_PS3_S9_,@function
_ZN2at6native12_GLOBAL__N_135GammaBetaBackwardCUDAKernelTemplateIffLj64ELj16ELj256ELb0ELb1ELb1EEEvllPKT_S5_PKT0_S8_PS3_S9_: ; @_ZN2at6native12_GLOBAL__N_135GammaBetaBackwardCUDAKernelTemplateIffLj64ELj16ELj256ELb0ELb1ELb1EEEvllPKT_S5_PKT0_S8_PS3_S9_
; %bb.0:
	s_load_b128 s[4:7], s[0:1], 0x0
	s_lshl_b32 s12, ttmp7, 8
	s_mov_b32 s13, 0
	v_bfe_u32 v7, v0, 10, 10
	s_wait_kmcnt 0x0
	v_cmp_gt_i64_e64 s2, s[4:5], s[12:13]
	s_and_b32 vcc_lo, exec_lo, s2
	s_cbranch_vccnz .LBB150_2
; %bb.1:
	v_bfe_u32 v1, v0, 10, 10
	s_mov_b32 s2, s13
	v_and_b32_e32 v6, 0x3ff, v0
	v_mov_b32_e32 v0, 0
	s_and_not1_b32 vcc_lo, exec_lo, s2
	s_cbranch_vccz .LBB150_3
	s_branch .LBB150_10
.LBB150_2:
                                        ; implicit-def: $vgpr1
	v_and_b32_e32 v6, 0x3ff, v0
	v_mov_b32_e32 v0, 0
.LBB150_3:
	s_clause 0x3
	s_load_b32 s2, s[0:1], 0x4c
	s_load_b32 s3, s[0:1], 0x44
	s_load_b128 s[8:11], s[0:1], 0x10
	s_load_b64 s[16:17], s[0:1], 0x28
	v_dual_mov_b32 v1, 0 :: v_dual_lshlrev_b32 v2, 4, v7
	v_lshl_add_u32 v0, ttmp9, 6, v6
	s_mov_b32 s15, 0
	v_dual_mov_b32 v8, 16 :: v_dual_mov_b32 v9, 4
	v_dual_mov_b32 v10, 8 :: v_dual_mov_b32 v11, 12
	s_delay_alu instid0(VALU_DEP_3)
	v_lshlrev_b64_e32 v[27:28], 2, v[0:1]
	v_dual_mov_b32 v12, 20 :: v_dual_mov_b32 v13, 24
	v_dual_mov_b32 v14, 28 :: v_dual_mov_b32 v15, 32
	;; [unrolled: 1-line block ×3, first 2 shown]
	v_mov_b32_e32 v0, 0
	s_wait_kmcnt 0x0
	s_and_b32 s2, s2, 0xffff
	s_lshl_b32 s14, s3, 8
	v_mad_u32_u24 v3, v7, s2, v6
	v_add_co_u32 v2, s2, v2, s12
	s_wait_alu 0xf1ff
	v_add_co_ci_u32_e64 v19, null, 0, 0, s2
	s_delay_alu instid0(VALU_DEP_3) | instskip(NEXT) | instid1(VALU_DEP_3)
	v_dual_mov_b32 v18, 44 :: v_dual_and_b32 v3, 31, v3
	v_mul_lo_u32 v21, s7, v2
	s_delay_alu instid0(VALU_DEP_3) | instskip(SKIP_1) | instid1(VALU_DEP_4)
	v_mul_lo_u32 v22, s6, v19
	v_mad_co_u64_u32 v[4:5], null, s6, v2, 0
	v_add_co_u32 v2, vcc_lo, v2, v3
	v_cmp_gt_u32_e64 s2, 16, v3
	v_add_co_ci_u32_e64 v3, null, 0, v19, vcc_lo
	v_dual_mov_b32 v19, 48 :: v_dual_mov_b32 v20, 52
	v_add3_u32 v5, v5, v22, v21
	s_delay_alu instid0(VALU_DEP_3) | instskip(SKIP_2) | instid1(VALU_DEP_3)
	v_lshlrev_b64_e32 v[23:24], 2, v[2:3]
	v_dual_mov_b32 v21, 56 :: v_dual_mov_b32 v22, 60
	s_mul_u64 s[18:19], s[6:7], s[14:15]
	v_lshlrev_b64_e32 v[25:26], 2, v[4:5]
	s_lshl_b64 s[18:19], s[18:19], 2
	s_delay_alu instid0(VALU_DEP_3) | instskip(SKIP_2) | instid1(VALU_DEP_3)
	v_add_co_u32 v4, vcc_lo, s16, v23
	s_wait_alu 0xfffd
	v_add_co_ci_u32_e64 v5, null, s17, v24, vcc_lo
	v_add_co_u32 v23, vcc_lo, v25, v27
	s_wait_alu 0xfffd
	v_add_co_ci_u32_e64 v24, null, v26, v28, vcc_lo
	s_lshl_b64 s[16:17], s[14:15], 2
	s_lshl_b64 s[6:7], s[6:7], 2
	s_branch .LBB150_6
.LBB150_4:                              ;   in Loop: Header=BB150_6 Depth=1
	s_or_b32 exec_lo, exec_lo, s20
.LBB150_5:                              ;   in Loop: Header=BB150_6 Depth=1
	s_wait_alu 0xfffe
	s_or_b32 exec_lo, exec_lo, s3
	v_add_co_u32 v26, vcc_lo, s8, v23
	s_wait_alu 0xfffd
	v_add_co_ci_u32_e64 v27, null, s9, v24, vcc_lo
	v_add_co_u32 v28, vcc_lo, s10, v23
	s_wait_alu 0xfffd
	v_add_co_ci_u32_e64 v29, null, s11, v24, vcc_lo
	global_load_b32 v36, v[26:27], off
	v_add_co_u32 v26, vcc_lo, v26, s6
	s_wait_alu 0xfffd
	v_add_co_ci_u32_e64 v27, null, s7, v27, vcc_lo
	v_add_co_u32 v30, vcc_lo, v28, s6
	s_wait_alu 0xfffd
	v_add_co_ci_u32_e64 v31, null, s7, v29, vcc_lo
	v_add_co_u32 v32, vcc_lo, v26, s6
	s_wait_alu 0xfffd
	v_add_co_ci_u32_e64 v33, null, s7, v27, vcc_lo
	v_add_co_u32 v34, vcc_lo, v30, s6
	s_wait_alu 0xfffd
	v_add_co_ci_u32_e64 v35, null, s7, v31, vcc_lo
	global_load_b32 v37, v[28:29], off
	global_load_b32 v38, v[26:27], off
	global_load_b32 v39, v[30:31], off
	global_load_b32 v40, v[32:33], off
	global_load_b32 v41, v[34:35], off
	v_add_co_u32 v26, vcc_lo, v32, s6
	s_wait_alu 0xfffd
	v_add_co_ci_u32_e64 v27, null, s7, v33, vcc_lo
	v_add_co_u32 v28, vcc_lo, v34, s6
	s_wait_alu 0xfffd
	v_add_co_ci_u32_e64 v29, null, s7, v35, vcc_lo
	v_add_co_u32 v30, vcc_lo, v26, s6
	s_wait_alu 0xfffd
	v_add_co_ci_u32_e64 v31, null, s7, v27, vcc_lo
	v_add_co_u32 v32, vcc_lo, v28, s6
	s_wait_alu 0xfffd
	v_add_co_ci_u32_e64 v33, null, s7, v29, vcc_lo
	v_add_co_u32 v34, vcc_lo, v30, s6
	s_wait_alu 0xfffd
	v_add_co_ci_u32_e64 v35, null, s7, v31, vcc_lo
	global_load_b32 v42, v[26:27], off
	global_load_b32 v43, v[28:29], off
	global_load_b32 v44, v[30:31], off
	global_load_b32 v45, v[32:33], off
	global_load_b32 v46, v[34:35], off
	v_add_co_u32 v26, vcc_lo, v32, s6
	s_wait_alu 0xfffd
	v_add_co_ci_u32_e64 v27, null, s7, v33, vcc_lo
	;; [unrolled: 20-line block ×5, first 2 shown]
	v_add_co_u32 v28, vcc_lo, v34, s6
	s_wait_alu 0xfffd
	v_add_co_ci_u32_e64 v29, null, s7, v35, vcc_lo
	v_add_co_u32 v30, vcc_lo, v26, s6
	s_wait_alu 0xfffd
	v_add_co_ci_u32_e64 v31, null, s7, v27, vcc_lo
	;; [unrolled: 3-line block ×3, first 2 shown]
	global_load_b32 v34, v[26:27], off
	global_load_b32 v35, v[28:29], off
	;; [unrolled: 1-line block ×4, first 2 shown]
	v_add_co_u32 v26, vcc_lo, v30, s6
	s_wait_alu 0xfffd
	v_add_co_ci_u32_e64 v27, null, s7, v31, vcc_lo
	v_add_co_u32 v28, vcc_lo, v32, s6
	s_wait_alu 0xfffd
	v_add_co_ci_u32_e64 v29, null, s7, v33, vcc_lo
	global_load_b32 v26, v[26:27], off
	global_load_b32 v27, v[28:29], off
	s_wait_loadcnt 0x20
	ds_bpermute_b32 v28, v1, v25
	ds_bpermute_b32 v29, v9, v25
	;; [unrolled: 1-line block ×4, first 2 shown]
	v_add_co_u32 v4, vcc_lo, v4, s16
	s_add_nc_u64 s[12:13], s[12:13], s[14:15]
	s_wait_alu 0xfffd
	v_add_co_ci_u32_e64 v5, null, s17, v5, vcc_lo
	v_add_co_u32 v2, vcc_lo, v2, s14
	s_wait_alu 0xfffe
	v_cmp_lt_i64_e64 s3, s[12:13], s[4:5]
	s_wait_alu 0xfffd
	v_add_co_ci_u32_e64 v3, null, 0, v3, vcc_lo
	v_add_co_u32 v23, vcc_lo, v23, s18
	s_wait_alu 0xfffd
	v_add_co_ci_u32_e64 v24, null, s19, v24, vcc_lo
	s_and_b32 vcc_lo, exec_lo, s3
	s_wait_loadcnt 0x1e
	v_mul_f32_e32 v31, v36, v37
	s_wait_dscnt 0x3
	s_delay_alu instid0(VALU_DEP_1)
	v_fmac_f32_e32 v0, v31, v28
	s_wait_loadcnt 0x1c
	v_mul_f32_e32 v28, v38, v39
	ds_bpermute_b32 v31, v8, v25
	s_wait_dscnt 0x3
	v_fmac_f32_e32 v0, v28, v29
	s_wait_loadcnt 0x1a
	v_mul_f32_e32 v28, v40, v41
	ds_bpermute_b32 v29, v12, v25
	s_wait_dscnt 0x3
	v_fmac_f32_e32 v0, v28, v30
	ds_bpermute_b32 v30, v13, v25
	s_wait_loadcnt 0x18
	v_mul_f32_e32 v28, v42, v43
	s_wait_dscnt 0x3
	s_delay_alu instid0(VALU_DEP_1)
	v_fmac_f32_e32 v0, v28, v32
	s_wait_loadcnt 0x16
	v_mul_f32_e32 v28, v44, v45
	ds_bpermute_b32 v32, v14, v25
	s_wait_dscnt 0x3
	v_fmac_f32_e32 v0, v28, v31
	ds_bpermute_b32 v31, v15, v25
	s_wait_loadcnt 0x14
	v_mul_f32_e32 v28, v46, v47
	s_wait_dscnt 0x3
	s_delay_alu instid0(VALU_DEP_1)
	v_fmac_f32_e32 v0, v28, v29
	s_wait_loadcnt 0x12
	v_mul_f32_e32 v28, v48, v49
	ds_bpermute_b32 v29, v16, v25
	s_wait_dscnt 0x3
	v_fmac_f32_e32 v0, v28, v30
	s_wait_loadcnt 0x10
	v_mul_f32_e32 v28, v50, v51
	ds_bpermute_b32 v30, v17, v25
	s_wait_dscnt 0x3
	v_fmac_f32_e32 v0, v28, v32
	ds_bpermute_b32 v32, v18, v25
	s_wait_loadcnt 0xe
	v_mul_f32_e32 v28, v52, v53
	s_wait_dscnt 0x3
	s_delay_alu instid0(VALU_DEP_1)
	v_fmac_f32_e32 v0, v28, v31
	s_wait_loadcnt 0xc
	v_mul_f32_e32 v28, v54, v55
	ds_bpermute_b32 v31, v19, v25
	s_wait_dscnt 0x3
	v_fmac_f32_e32 v0, v28, v29
	ds_bpermute_b32 v29, v20, v25
	s_wait_loadcnt 0xa
	v_mul_f32_e32 v28, v56, v57
	s_wait_dscnt 0x3
	s_delay_alu instid0(VALU_DEP_1)
	v_fmac_f32_e32 v0, v28, v30
	s_wait_loadcnt 0x8
	v_mul_f32_e32 v28, v58, v59
	ds_bpermute_b32 v30, v21, v25
	ds_bpermute_b32 v25, v22, v25
	s_wait_dscnt 0x4
	v_fmac_f32_e32 v0, v28, v32
	s_wait_loadcnt 0x6
	v_mul_f32_e32 v28, v60, v61
	s_wait_dscnt 0x3
	s_delay_alu instid0(VALU_DEP_1) | instskip(SKIP_3) | instid1(VALU_DEP_1)
	v_fmac_f32_e32 v0, v28, v31
	s_wait_loadcnt 0x4
	v_mul_f32_e32 v28, v34, v35
	s_wait_dscnt 0x2
	v_fmac_f32_e32 v0, v28, v29
	s_wait_loadcnt 0x2
	v_mul_f32_e32 v28, v62, v63
	s_wait_dscnt 0x1
	s_delay_alu instid0(VALU_DEP_1) | instskip(SKIP_3) | instid1(VALU_DEP_1)
	v_fmac_f32_e32 v0, v28, v30
	s_wait_loadcnt 0x0
	v_mul_f32_e32 v26, v26, v27
	s_wait_dscnt 0x0
	v_fmac_f32_e32 v0, v26, v25
	s_wait_alu 0xfffe
	s_cbranch_vccz .LBB150_9
.LBB150_6:                              ; =>This Inner Loop Header: Depth=1
	v_mov_b32_e32 v25, 0
	s_and_saveexec_b32 s3, s2
	s_cbranch_execz .LBB150_5
; %bb.7:                                ;   in Loop: Header=BB150_6 Depth=1
	v_mov_b32_e32 v25, 0
	s_mov_b32 s20, exec_lo
	v_cmpx_gt_i64_e64 s[4:5], v[2:3]
	s_cbranch_execz .LBB150_4
; %bb.8:                                ;   in Loop: Header=BB150_6 Depth=1
	global_load_b32 v25, v[4:5], off
	s_branch .LBB150_4
.LBB150_9:
	v_mov_b32_e32 v1, v7
.LBB150_10:
	s_load_b64 s[2:3], s[0:1], 0x30
	s_delay_alu instid0(VALU_DEP_1) | instskip(SKIP_2) | instid1(VALU_DEP_2)
	v_mad_u32_u24 v2, 0x41, v1, v6
	v_mov_b32_e32 v4, 0
	s_mov_b32 s0, exec_lo
	v_lshl_add_u32 v3, v2, 2, 0
	v_sub_nc_u32_e32 v1, v2, v1
	ds_store_b32 v3, v0
	ds_store_b32 v3, v4 offset:4160
	s_wait_dscnt 0x0
	s_barrier_signal -1
	s_barrier_wait -1
	global_inv scope:SCOPE_SE
	v_cmpx_gt_u32_e32 0x800, v1
	s_cbranch_execz .LBB150_20
; %bb.11:
	v_and_b32_e32 v0, 31, v6
	v_lshrrev_b32_e32 v3, 5, v1
                                        ; implicit-def: $vgpr5
	s_delay_alu instid0(VALU_DEP_2) | instskip(SKIP_1) | instid1(VALU_DEP_3)
	v_cmp_gt_u32_e32 vcc_lo, 16, v0
	v_mul_u32_u24_e32 v2, 0x41, v0
	v_lshlrev_b32_e32 v0, 2, v3
	s_and_saveexec_b32 s0, vcc_lo
; %bb.12:
	s_delay_alu instid0(VALU_DEP_2) | instskip(NEXT) | instid1(VALU_DEP_1)
	v_lshlrev_b32_e32 v3, 2, v2
	v_add3_u32 v3, 0, v0, v3
	ds_load_b32 v5, v3
; %bb.13:
	s_wait_alu 0xfffe
	s_or_b32 exec_lo, exec_lo, s0
	v_mbcnt_lo_u32_b32 v7, -1, 0
	s_mov_b32 s4, ttmp9
	s_wait_kmcnt 0x0
	s_cmp_lg_u64 s[2:3], 0
	s_mov_b32 s5, 0
	s_cselect_b32 s1, -1, 0
	v_xor_b32_e32 v3, 8, v7
	v_xor_b32_e32 v4, 4, v7
	;; [unrolled: 1-line block ×3, first 2 shown]
	s_wait_alu 0xfffe
	s_lshl_b64 s[4:5], s[4:5], 8
	s_wait_alu 0xfffe
	s_add_nc_u64 s[2:3], s[2:3], s[4:5]
	v_cmp_gt_i32_e64 s0, 32, v3
	s_wait_alu 0xf1ff
	s_delay_alu instid0(VALU_DEP_1) | instskip(SKIP_1) | instid1(VALU_DEP_2)
	v_cndmask_b32_e64 v3, v7, v3, s0
	v_cmp_gt_i32_e64 s0, 32, v4
	v_lshlrev_b32_e32 v3, 2, v3
	s_wait_alu 0xf1ff
	s_delay_alu instid0(VALU_DEP_2)
	v_cndmask_b32_e64 v4, v7, v4, s0
	s_wait_dscnt 0x0
	ds_bpermute_b32 v8, v3, v5
	v_lshlrev_b32_e32 v4, 2, v4
	s_wait_dscnt 0x0
	v_add_f32_e32 v8, v5, v8
	v_xor_b32_e32 v5, 2, v7
	ds_bpermute_b32 v9, v4, v8
	v_cmp_gt_i32_e64 s0, 32, v5
	s_wait_alu 0xf1ff
	s_delay_alu instid0(VALU_DEP_1) | instskip(SKIP_1) | instid1(VALU_DEP_2)
	v_cndmask_b32_e64 v5, v7, v5, s0
	v_cmp_gt_i32_e64 s0, 32, v10
	v_lshlrev_b32_e32 v5, 2, v5
	s_wait_alu 0xf1ff
	s_delay_alu instid0(VALU_DEP_2) | instskip(SKIP_1) | instid1(VALU_DEP_2)
	v_cndmask_b32_e64 v7, v7, v10, s0
	v_cmp_eq_u32_e64 s0, 0, v6
	v_lshlrev_b32_e32 v7, 2, v7
	s_and_b32 s1, s0, s1
	s_wait_dscnt 0x0
	v_add_f32_e32 v8, v8, v9
	ds_bpermute_b32 v9, v5, v8
	s_wait_dscnt 0x0
	v_add_f32_e32 v8, v8, v9
	ds_bpermute_b32 v9, v7, v8
	s_wait_dscnt 0x0
	v_add_f32_e32 v6, v8, v9
	s_wait_alu 0xfffe
	s_and_saveexec_b32 s0, s1
	s_cbranch_execz .LBB150_15
; %bb.14:
	global_store_b32 v0, v6, s[2:3]
.LBB150_15:
	s_wait_alu 0xfffe
	s_or_b32 exec_lo, exec_lo, s0
	v_cmp_gt_u32_e64 s0, 0x400, v1
	s_and_b32 exec_lo, exec_lo, s0
	s_cbranch_execz .LBB150_20
; %bb.16:
	s_and_saveexec_b32 s0, vcc_lo
; %bb.17:
	v_lshlrev_b32_e32 v1, 2, v2
	s_delay_alu instid0(VALU_DEP_1)
	v_add3_u32 v1, 0, v0, v1
	ds_load_b32 v6, v1 offset:128
; %bb.18:
	s_wait_alu 0xfffe
	s_or_b32 exec_lo, exec_lo, s0
	s_wait_dscnt 0x0
	ds_bpermute_b32 v1, v3, v6
	s_wait_dscnt 0x0
	v_add_f32_e32 v1, v6, v1
	ds_bpermute_b32 v2, v4, v1
	s_wait_dscnt 0x0
	v_add_f32_e32 v1, v1, v2
	ds_bpermute_b32 v2, v5, v1
	s_wait_dscnt 0x0
	v_add_f32_e32 v1, v1, v2
	ds_bpermute_b32 v2, v7, v1
	s_and_saveexec_b32 s0, s1
	s_wait_alu 0xfffe
	s_xor_b32 s0, exec_lo, s0
	s_cbranch_execz .LBB150_20
; %bb.19:
	s_wait_dscnt 0x0
	v_add_f32_e32 v1, v1, v2
	global_store_b32 v0, v1, s[2:3] offset:128
.LBB150_20:
	s_endpgm
	.section	.rodata,"a",@progbits
	.p2align	6, 0x0
	.amdhsa_kernel _ZN2at6native12_GLOBAL__N_135GammaBetaBackwardCUDAKernelTemplateIffLj64ELj16ELj256ELb0ELb1ELb1EEEvllPKT_S5_PKT0_S8_PS3_S9_
		.amdhsa_group_segment_fixed_size 0
		.amdhsa_private_segment_fixed_size 0
		.amdhsa_kernarg_size 320
		.amdhsa_user_sgpr_count 2
		.amdhsa_user_sgpr_dispatch_ptr 0
		.amdhsa_user_sgpr_queue_ptr 0
		.amdhsa_user_sgpr_kernarg_segment_ptr 1
		.amdhsa_user_sgpr_dispatch_id 0
		.amdhsa_user_sgpr_private_segment_size 0
		.amdhsa_wavefront_size32 1
		.amdhsa_uses_dynamic_stack 0
		.amdhsa_enable_private_segment 0
		.amdhsa_system_sgpr_workgroup_id_x 1
		.amdhsa_system_sgpr_workgroup_id_y 1
		.amdhsa_system_sgpr_workgroup_id_z 0
		.amdhsa_system_sgpr_workgroup_info 0
		.amdhsa_system_vgpr_workitem_id 1
		.amdhsa_next_free_vgpr 64
		.amdhsa_next_free_sgpr 21
		.amdhsa_reserve_vcc 1
		.amdhsa_float_round_mode_32 0
		.amdhsa_float_round_mode_16_64 0
		.amdhsa_float_denorm_mode_32 3
		.amdhsa_float_denorm_mode_16_64 3
		.amdhsa_fp16_overflow 0
		.amdhsa_workgroup_processor_mode 1
		.amdhsa_memory_ordered 1
		.amdhsa_forward_progress 1
		.amdhsa_inst_pref_size 21
		.amdhsa_round_robin_scheduling 0
		.amdhsa_exception_fp_ieee_invalid_op 0
		.amdhsa_exception_fp_denorm_src 0
		.amdhsa_exception_fp_ieee_div_zero 0
		.amdhsa_exception_fp_ieee_overflow 0
		.amdhsa_exception_fp_ieee_underflow 0
		.amdhsa_exception_fp_ieee_inexact 0
		.amdhsa_exception_int_div_zero 0
	.end_amdhsa_kernel
	.section	.text._ZN2at6native12_GLOBAL__N_135GammaBetaBackwardCUDAKernelTemplateIffLj64ELj16ELj256ELb0ELb1ELb1EEEvllPKT_S5_PKT0_S8_PS3_S9_,"axG",@progbits,_ZN2at6native12_GLOBAL__N_135GammaBetaBackwardCUDAKernelTemplateIffLj64ELj16ELj256ELb0ELb1ELb1EEEvllPKT_S5_PKT0_S8_PS3_S9_,comdat
.Lfunc_end150:
	.size	_ZN2at6native12_GLOBAL__N_135GammaBetaBackwardCUDAKernelTemplateIffLj64ELj16ELj256ELb0ELb1ELb1EEEvllPKT_S5_PKT0_S8_PS3_S9_, .Lfunc_end150-_ZN2at6native12_GLOBAL__N_135GammaBetaBackwardCUDAKernelTemplateIffLj64ELj16ELj256ELb0ELb1ELb1EEEvllPKT_S5_PKT0_S8_PS3_S9_
                                        ; -- End function
	.set _ZN2at6native12_GLOBAL__N_135GammaBetaBackwardCUDAKernelTemplateIffLj64ELj16ELj256ELb0ELb1ELb1EEEvllPKT_S5_PKT0_S8_PS3_S9_.num_vgpr, 64
	.set _ZN2at6native12_GLOBAL__N_135GammaBetaBackwardCUDAKernelTemplateIffLj64ELj16ELj256ELb0ELb1ELb1EEEvllPKT_S5_PKT0_S8_PS3_S9_.num_agpr, 0
	.set _ZN2at6native12_GLOBAL__N_135GammaBetaBackwardCUDAKernelTemplateIffLj64ELj16ELj256ELb0ELb1ELb1EEEvllPKT_S5_PKT0_S8_PS3_S9_.numbered_sgpr, 21
	.set _ZN2at6native12_GLOBAL__N_135GammaBetaBackwardCUDAKernelTemplateIffLj64ELj16ELj256ELb0ELb1ELb1EEEvllPKT_S5_PKT0_S8_PS3_S9_.num_named_barrier, 0
	.set _ZN2at6native12_GLOBAL__N_135GammaBetaBackwardCUDAKernelTemplateIffLj64ELj16ELj256ELb0ELb1ELb1EEEvllPKT_S5_PKT0_S8_PS3_S9_.private_seg_size, 0
	.set _ZN2at6native12_GLOBAL__N_135GammaBetaBackwardCUDAKernelTemplateIffLj64ELj16ELj256ELb0ELb1ELb1EEEvllPKT_S5_PKT0_S8_PS3_S9_.uses_vcc, 1
	.set _ZN2at6native12_GLOBAL__N_135GammaBetaBackwardCUDAKernelTemplateIffLj64ELj16ELj256ELb0ELb1ELb1EEEvllPKT_S5_PKT0_S8_PS3_S9_.uses_flat_scratch, 0
	.set _ZN2at6native12_GLOBAL__N_135GammaBetaBackwardCUDAKernelTemplateIffLj64ELj16ELj256ELb0ELb1ELb1EEEvllPKT_S5_PKT0_S8_PS3_S9_.has_dyn_sized_stack, 0
	.set _ZN2at6native12_GLOBAL__N_135GammaBetaBackwardCUDAKernelTemplateIffLj64ELj16ELj256ELb0ELb1ELb1EEEvllPKT_S5_PKT0_S8_PS3_S9_.has_recursion, 0
	.set _ZN2at6native12_GLOBAL__N_135GammaBetaBackwardCUDAKernelTemplateIffLj64ELj16ELj256ELb0ELb1ELb1EEEvllPKT_S5_PKT0_S8_PS3_S9_.has_indirect_call, 0
	.section	.AMDGPU.csdata,"",@progbits
; Kernel info:
; codeLenInByte = 2600
; TotalNumSgprs: 23
; NumVgprs: 64
; ScratchSize: 0
; MemoryBound: 0
; FloatMode: 240
; IeeeMode: 1
; LDSByteSize: 0 bytes/workgroup (compile time only)
; SGPRBlocks: 0
; VGPRBlocks: 7
; NumSGPRsForWavesPerEU: 23
; NumVGPRsForWavesPerEU: 64
; Occupancy: 16
; WaveLimiterHint : 0
; COMPUTE_PGM_RSRC2:SCRATCH_EN: 0
; COMPUTE_PGM_RSRC2:USER_SGPR: 2
; COMPUTE_PGM_RSRC2:TRAP_HANDLER: 0
; COMPUTE_PGM_RSRC2:TGID_X_EN: 1
; COMPUTE_PGM_RSRC2:TGID_Y_EN: 1
; COMPUTE_PGM_RSRC2:TGID_Z_EN: 0
; COMPUTE_PGM_RSRC2:TIDIG_COMP_CNT: 1
	.section	.text._ZN2at6native12_GLOBAL__N_135GammaBetaBackwardCUDAKernelTemplateIffLj64ELj16ELj256ELb0ELb0ELb1EEEvllPKT_S5_PKT0_S8_PS3_S9_,"axG",@progbits,_ZN2at6native12_GLOBAL__N_135GammaBetaBackwardCUDAKernelTemplateIffLj64ELj16ELj256ELb0ELb0ELb1EEEvllPKT_S5_PKT0_S8_PS3_S9_,comdat
	.globl	_ZN2at6native12_GLOBAL__N_135GammaBetaBackwardCUDAKernelTemplateIffLj64ELj16ELj256ELb0ELb0ELb1EEEvllPKT_S5_PKT0_S8_PS3_S9_ ; -- Begin function _ZN2at6native12_GLOBAL__N_135GammaBetaBackwardCUDAKernelTemplateIffLj64ELj16ELj256ELb0ELb0ELb1EEEvllPKT_S5_PKT0_S8_PS3_S9_
	.p2align	8
	.type	_ZN2at6native12_GLOBAL__N_135GammaBetaBackwardCUDAKernelTemplateIffLj64ELj16ELj256ELb0ELb0ELb1EEEvllPKT_S5_PKT0_S8_PS3_S9_,@function
_ZN2at6native12_GLOBAL__N_135GammaBetaBackwardCUDAKernelTemplateIffLj64ELj16ELj256ELb0ELb0ELb1EEEvllPKT_S5_PKT0_S8_PS3_S9_: ; @_ZN2at6native12_GLOBAL__N_135GammaBetaBackwardCUDAKernelTemplateIffLj64ELj16ELj256ELb0ELb0ELb1EEEvllPKT_S5_PKT0_S8_PS3_S9_
; %bb.0:
	s_clause 0x1
	s_load_b256 s[4:11], s[0:1], 0x0
	s_load_b64 s[12:13], s[0:1], 0x28
	s_lshl_b32 s28, ttmp9, 6
	s_mov_b32 s15, 0
	s_or_b32 s14, s28, 63
	s_wait_kmcnt 0x0
	v_cmp_le_i64_e64 s2, s[6:7], s[14:15]
	s_lshl_b32 s14, ttmp7, 8
	s_wait_alu 0xfffe
	v_cmp_gt_i64_e64 s29, s[4:5], s[14:15]
	s_and_b32 vcc_lo, exec_lo, s2
	v_cndmask_b32_e64 v1, 0, 1, s29
	s_delay_alu instid0(VALU_DEP_1)
	v_cmp_ne_u32_e64 s2, 1, v1
	s_cbranch_vccz .LBB151_81
; %bb.1:
	v_mov_b32_e32 v166, 0
	s_and_b32 vcc_lo, exec_lo, s2
	s_cbranch_vccnz .LBB151_82
; %bb.2:
	v_bfe_u32 v36, v0, 10, 10
	v_dual_mov_b32 v1, 0 :: v_dual_and_b32 v38, 0x3ff, v0
	s_load_b32 s3, s[0:1], 0x44
	s_mov_b32 s17, 0
	s_delay_alu instid0(VALU_DEP_2) | instskip(NEXT) | instid1(VALU_DEP_2)
	v_lshlrev_b32_e32 v37, 4, v36
	v_dual_mov_b32 v5, v1 :: v_dual_add_nc_u32 v4, s28, v38
	s_mov_b32 s21, s17
	v_mov_b32_e32 v103, 0
	s_delay_alu instid0(VALU_DEP_3) | instskip(NEXT) | instid1(VALU_DEP_1)
	v_add_co_u32 v10, s2, v37, s14
	v_add_co_ci_u32_e64 v11, null, 0, 0, s2
	v_cmp_gt_i64_e64 s2, s[6:7], v[4:5]
	s_delay_alu instid0(VALU_DEP_3) | instskip(SKIP_1) | instid1(VALU_DEP_4)
	v_add_co_u32 v6, vcc_lo, v10, 15
	v_mul_lo_u32 v8, s7, v10
	v_mul_lo_u32 v9, s6, v11
	v_add_co_ci_u32_e64 v7, null, 0, v11, vcc_lo
	v_mad_co_u64_u32 v[2:3], null, s6, v10, 0
	v_mul_lo_u32 v12, s7, v6
	s_delay_alu instid0(VALU_DEP_3)
	v_mul_lo_u32 v13, s6, v7
	v_mad_co_u64_u32 v[6:7], null, s6, v6, 0
	v_lshlrev_b64_e32 v[34:35], 2, v[4:5]
	s_wait_kmcnt 0x0
	s_lshl_b32 s20, s3, 8
	v_add3_u32 v3, v3, v9, v8
	v_add_co_u32 v8, vcc_lo, v10, 14
	s_wait_alu 0xfffd
	v_add_co_ci_u32_e64 v9, null, 0, v11, vcc_lo
	v_add3_u32 v7, v7, v13, v12
	v_lshlrev_b64_e32 v[4:5], 2, v[2:3]
	v_mul_lo_u32 v12, s7, v8
	s_delay_alu instid0(VALU_DEP_4)
	v_mul_lo_u32 v13, s6, v9
	v_mad_co_u64_u32 v[8:9], null, s6, v8, 0
	v_lshlrev_b64_e32 v[6:7], 2, v[6:7]
	v_add_co_u32 v39, vcc_lo, s8, v4
	s_wait_alu 0xfffd
	v_add_co_ci_u32_e64 v40, null, s9, v5, vcc_lo
	v_add_co_u32 v41, vcc_lo, s10, v4
	v_add3_u32 v9, v9, v13, v12
	s_wait_alu 0xfffd
	v_add_co_ci_u32_e64 v42, null, s11, v5, vcc_lo
	v_add_co_u32 v43, vcc_lo, s8, v6
	s_wait_alu 0xfffd
	v_add_co_ci_u32_e64 v44, null, s9, v7, vcc_lo
	v_add_co_u32 v12, vcc_lo, v10, 13
	v_add_co_u32 v45, s3, s10, v6
	v_lshlrev_b64_e32 v[4:5], 2, v[8:9]
	s_wait_alu 0xfffd
	v_add_co_ci_u32_e64 v6, null, 0, v11, vcc_lo
	v_add_co_u32 v8, vcc_lo, v10, 12
	s_wait_alu 0xfffd
	v_add_co_ci_u32_e64 v9, null, 0, v11, vcc_lo
	s_wait_alu 0xf1ff
	v_add_co_ci_u32_e64 v46, null, s11, v7, s3
	v_mul_lo_u32 v13, s7, v12
	v_mul_lo_u32 v14, s6, v6
	v_mad_co_u64_u32 v[6:7], null, s6, v12, 0
	v_mul_lo_u32 v12, s7, v8
	v_mul_lo_u32 v15, s6, v9
	v_mad_co_u64_u32 v[8:9], null, s6, v8, 0
	v_add_co_u32 v47, vcc_lo, s8, v4
	s_wait_alu 0xfffd
	v_add_co_ci_u32_e64 v48, null, s9, v5, vcc_lo
	v_add_co_u32 v49, vcc_lo, s10, v4
	s_wait_alu 0xfffd
	v_add_co_ci_u32_e64 v50, null, s11, v5, vcc_lo
	v_add3_u32 v9, v9, v15, v12
	v_add_co_u32 v12, vcc_lo, v10, 11
	v_add3_u32 v7, v7, v14, v13
	s_wait_alu 0xfffd
	v_add_co_ci_u32_e64 v13, null, 0, v11, vcc_lo
	s_delay_alu instid0(VALU_DEP_3)
	v_mul_lo_u32 v14, s7, v12
	s_mul_u64 s[22:23], s[6:7], s[20:21]
	v_lshlrev_b64_e32 v[4:5], 2, v[6:7]
	v_lshlrev_b64_e32 v[6:7], 2, v[8:9]
	v_mul_lo_u32 v13, s6, v13
	v_mad_co_u64_u32 v[8:9], null, s6, v12, 0
	s_add_nc_u64 s[18:19], s[0:1], 64
	v_add_co_u32 v51, vcc_lo, s8, v4
	s_wait_alu 0xfffd
	v_add_co_ci_u32_e64 v52, null, s9, v5, vcc_lo
	v_add_co_u32 v53, vcc_lo, s10, v4
	v_add3_u32 v9, v9, v13, v14
	s_wait_alu 0xfffd
	v_add_co_ci_u32_e64 v54, null, s11, v5, vcc_lo
	v_add_co_u32 v55, vcc_lo, s8, v6
	s_wait_alu 0xfffd
	v_add_co_ci_u32_e64 v56, null, s9, v7, vcc_lo
	v_add_co_u32 v12, vcc_lo, v10, 10
	v_add_co_u32 v57, s3, s10, v6
	v_lshlrev_b64_e32 v[4:5], 2, v[8:9]
	s_wait_alu 0xfffd
	v_add_co_ci_u32_e64 v6, null, 0, v11, vcc_lo
	v_add_co_u32 v8, vcc_lo, v10, 9
	s_wait_alu 0xfffd
	v_add_co_ci_u32_e64 v9, null, 0, v11, vcc_lo
	s_wait_alu 0xf1ff
	v_add_co_ci_u32_e64 v58, null, s11, v7, s3
	v_mul_lo_u32 v13, s7, v12
	v_mul_lo_u32 v14, s6, v6
	v_mad_co_u64_u32 v[6:7], null, s6, v12, 0
	v_mul_lo_u32 v12, s7, v8
	v_mul_lo_u32 v15, s6, v9
	v_mad_co_u64_u32 v[8:9], null, s6, v8, 0
	v_add_co_u32 v59, vcc_lo, s8, v4
	s_wait_alu 0xfffd
	v_add_co_ci_u32_e64 v60, null, s9, v5, vcc_lo
	v_add_co_u32 v61, vcc_lo, s10, v4
	s_wait_alu 0xfffd
	v_add_co_ci_u32_e64 v62, null, s11, v5, vcc_lo
	v_add3_u32 v9, v9, v15, v12
	v_add_co_u32 v12, vcc_lo, v10, 8
	v_add3_u32 v7, v7, v14, v13
	s_wait_alu 0xfffd
	v_add_co_ci_u32_e64 v13, null, 0, v11, vcc_lo
	s_delay_alu instid0(VALU_DEP_3)
	v_mul_lo_u32 v14, s7, v12
	s_lshl_b64 s[22:23], s[22:23], 2
	v_lshlrev_b64_e32 v[4:5], 2, v[6:7]
	v_lshlrev_b64_e32 v[6:7], 2, v[8:9]
	v_mul_lo_u32 v13, s6, v13
	v_mad_co_u64_u32 v[8:9], null, s6, v12, 0
	s_add_nc_u64 s[24:25], s[14:15], 0xff
	v_add_co_u32 v63, vcc_lo, s8, v4
	s_wait_alu 0xfffd
	v_add_co_ci_u32_e64 v64, null, s9, v5, vcc_lo
	v_add_co_u32 v65, vcc_lo, s10, v4
	v_add3_u32 v9, v9, v13, v14
	s_wait_alu 0xfffd
	v_add_co_ci_u32_e64 v66, null, s11, v5, vcc_lo
	v_add_co_u32 v67, vcc_lo, s8, v6
	s_wait_alu 0xfffd
	v_add_co_ci_u32_e64 v68, null, s9, v7, vcc_lo
	v_add_co_u32 v12, vcc_lo, v10, 7
	v_add_co_u32 v69, s3, s10, v6
	v_lshlrev_b64_e32 v[4:5], 2, v[8:9]
	s_wait_alu 0xfffd
	v_add_co_ci_u32_e64 v6, null, 0, v11, vcc_lo
	v_add_co_u32 v8, vcc_lo, v10, 6
	s_wait_alu 0xfffd
	v_add_co_ci_u32_e64 v9, null, 0, v11, vcc_lo
	s_wait_alu 0xf1ff
	v_add_co_ci_u32_e64 v70, null, s11, v7, s3
	v_mul_lo_u32 v13, s7, v12
	v_mul_lo_u32 v14, s6, v6
	v_mad_co_u64_u32 v[6:7], null, s6, v12, 0
	v_mul_lo_u32 v12, s7, v8
	v_mul_lo_u32 v15, s6, v9
	v_mad_co_u64_u32 v[8:9], null, s6, v8, 0
	v_add_co_u32 v71, vcc_lo, s8, v4
	s_wait_alu 0xfffd
	v_add_co_ci_u32_e64 v72, null, s9, v5, vcc_lo
	v_add_co_u32 v73, vcc_lo, s10, v4
	v_add3_u32 v7, v7, v14, v13
	s_wait_alu 0xfffd
	v_add_co_ci_u32_e64 v74, null, s11, v5, vcc_lo
	v_add3_u32 v9, v9, v15, v12
	v_add_co_u32 v12, vcc_lo, v10, 5
	s_wait_alu 0xfffd
	v_add_co_ci_u32_e64 v13, null, 0, v11, vcc_lo
	v_lshlrev_b64_e32 v[4:5], 2, v[6:7]
	v_lshlrev_b64_e32 v[6:7], 2, v[8:9]
	v_mul_lo_u32 v14, s7, v12
	s_delay_alu instid0(VALU_DEP_4)
	v_mul_lo_u32 v13, s6, v13
	v_mad_co_u64_u32 v[8:9], null, s6, v12, 0
	v_add_co_u32 v75, vcc_lo, s8, v4
	s_wait_alu 0xfffd
	v_add_co_ci_u32_e64 v76, null, s9, v5, vcc_lo
	v_add_co_u32 v77, vcc_lo, s10, v4
	s_wait_alu 0xfffd
	v_add_co_ci_u32_e64 v78, null, s11, v5, vcc_lo
	v_add_co_u32 v79, vcc_lo, s8, v6
	v_add3_u32 v9, v9, v13, v14
	s_wait_alu 0xfffd
	v_add_co_ci_u32_e64 v80, null, s9, v7, vcc_lo
	v_add_co_u32 v12, vcc_lo, v10, 4
	v_add_co_u32 v81, s3, s10, v6
	s_wait_alu 0xfffd
	v_add_co_ci_u32_e64 v6, null, 0, v11, vcc_lo
	v_lshlrev_b64_e32 v[4:5], 2, v[8:9]
	v_add_co_u32 v8, vcc_lo, v10, 3
	s_wait_alu 0xfffd
	v_add_co_ci_u32_e64 v9, null, 0, v11, vcc_lo
	s_wait_alu 0xf1ff
	v_add_co_ci_u32_e64 v82, null, s11, v7, s3
	v_mul_lo_u32 v13, s7, v12
	v_mul_lo_u32 v14, s6, v6
	v_mad_co_u64_u32 v[6:7], null, s6, v12, 0
	v_mul_lo_u32 v12, s7, v8
	v_mul_lo_u32 v15, s6, v9
	v_mad_co_u64_u32 v[8:9], null, s6, v8, 0
	v_add_co_u32 v83, vcc_lo, s8, v4
	s_wait_alu 0xfffd
	v_add_co_ci_u32_e64 v84, null, s9, v5, vcc_lo
	v_add3_u32 v7, v7, v14, v13
	v_add_co_u32 v85, vcc_lo, s10, v4
	s_wait_alu 0xfffd
	v_add_co_ci_u32_e64 v86, null, s11, v5, vcc_lo
	v_add_co_u32 v10, vcc_lo, v10, 2
	v_add3_u32 v9, v9, v15, v12
	s_wait_alu 0xfffd
	v_add_co_ci_u32_e64 v11, null, 0, v11, vcc_lo
	v_lshlrev_b64_e32 v[4:5], 2, v[6:7]
	v_mul_lo_u32 v12, s7, v10
	v_lshlrev_b64_e32 v[6:7], 2, v[8:9]
	s_delay_alu instid0(VALU_DEP_4)
	v_mul_lo_u32 v11, s6, v11
	v_mad_co_u64_u32 v[8:9], null, s6, v10, 0
	v_add_co_u32 v87, vcc_lo, s8, v4
	s_wait_alu 0xfffd
	v_add_co_ci_u32_e64 v88, null, s9, v5, vcc_lo
	v_add_co_u32 v89, vcc_lo, s10, v4
	s_wait_alu 0xfffd
	v_add_co_ci_u32_e64 v90, null, s11, v5, vcc_lo
	;; [unrolled: 3-line block ×3, first 2 shown]
	v_add3_u32 v9, v9, v11, v12
	v_add_co_u32 v93, vcc_lo, s10, v6
	s_wait_alu 0xfffd
	v_add_co_ci_u32_e64 v94, null, s11, v7, vcc_lo
	v_add_co_u32 v2, vcc_lo, v2, s6
	s_wait_alu 0xfffd
	v_add_co_ci_u32_e64 v3, null, s7, v3, vcc_lo
	v_lshlrev_b64_e32 v[4:5], 2, v[8:9]
	s_mov_b64 s[26:27], s[14:15]
	s_delay_alu instid0(VALU_DEP_2) | instskip(NEXT) | instid1(VALU_DEP_2)
	v_lshlrev_b64_e32 v[2:3], 2, v[2:3]
	v_add_co_u32 v95, vcc_lo, s8, v4
	s_wait_alu 0xfffd
	s_delay_alu instid0(VALU_DEP_3)
	v_add_co_ci_u32_e64 v96, null, s9, v5, vcc_lo
	v_add_co_u32 v97, vcc_lo, s10, v4
	s_wait_alu 0xfffd
	v_add_co_ci_u32_e64 v98, null, s11, v5, vcc_lo
	v_add_co_u32 v99, vcc_lo, s8, v2
	s_wait_alu 0xfffd
	;; [unrolled: 3-line block ×3, first 2 shown]
	v_add_co_ci_u32_e64 v102, null, s11, v3, vcc_lo
.LBB151_3:                              ; =>This Inner Loop Header: Depth=1
	v_cmp_ge_i64_e64 s3, s[24:25], s[4:5]
	v_add_co_u32 v104, s16, v37, s24
	s_wait_alu 0xf1ff
	v_add_co_ci_u32_e64 v105, null, 0, s25, s16
                                        ; implicit-def: $vgpr2_vgpr3_vgpr4_vgpr5_vgpr6_vgpr7_vgpr8_vgpr9_vgpr10_vgpr11_vgpr12_vgpr13_vgpr14_vgpr15_vgpr16_vgpr17
                                        ; implicit-def: $vgpr166
                                        ; implicit-def: $vgpr18_vgpr19_vgpr20_vgpr21_vgpr22_vgpr23_vgpr24_vgpr25_vgpr26_vgpr27_vgpr28_vgpr29_vgpr30_vgpr31_vgpr32_vgpr33
                                        ; implicit-def: $vgpr2
	s_and_b32 vcc_lo, exec_lo, s3
	s_mov_b32 s3, -1
	s_wait_alu 0xfffe
	s_cbranch_vccz .LBB151_41
; %bb.4:                                ;   in Loop: Header=BB151_3 Depth=1
	s_load_b32 s3, s[18:19], 0xc
	v_mov_b32_e32 v106, 0
	s_wait_kmcnt 0x0
	s_and_b32 s3, s3, 0xffff
	s_wait_alu 0xfffe
	v_mad_u32_u24 v2, v36, s3, v38
	s_mov_b32 s3, exec_lo
	s_delay_alu instid0(VALU_DEP_1) | instskip(NEXT) | instid1(VALU_DEP_1)
	v_and_b32_e32 v2, 31, v2
	v_cmpx_gt_u32_e32 16, v2
	s_cbranch_execz .LBB151_8
; %bb.5:                                ;   in Loop: Header=BB151_3 Depth=1
	v_add_co_u32 v2, vcc_lo, v104, v2
	s_wait_alu 0xfffd
	v_add_co_ci_u32_e64 v3, null, 0, v105, vcc_lo
	v_mov_b32_e32 v106, 0
	s_delay_alu instid0(VALU_DEP_3) | instskip(SKIP_1) | instid1(VALU_DEP_3)
	v_add_co_u32 v2, vcc_lo, 0xffffff01, v2
	s_wait_alu 0xfffd
	v_add_co_ci_u32_e64 v3, null, -1, v3, vcc_lo
	s_mov_b32 s16, exec_lo
	v_cmpx_gt_i64_e64 s[4:5], v[2:3]
	s_cbranch_execz .LBB151_7
; %bb.6:                                ;   in Loop: Header=BB151_3 Depth=1
	v_lshlrev_b64_e32 v[2:3], 2, v[2:3]
	s_delay_alu instid0(VALU_DEP_1) | instskip(SKIP_1) | instid1(VALU_DEP_2)
	v_add_co_u32 v2, vcc_lo, s12, v2
	s_wait_alu 0xfffd
	v_add_co_ci_u32_e64 v3, null, s13, v3, vcc_lo
	global_load_b32 v106, v[2:3], off
.LBB151_7:                              ;   in Loop: Header=BB151_3 Depth=1
	s_wait_alu 0xfffe
	s_or_b32 exec_lo, exec_lo, s16
.LBB151_8:                              ;   in Loop: Header=BB151_3 Depth=1
	s_wait_alu 0xfffe
	s_or_b32 exec_lo, exec_lo, s3
	v_add_co_u32 v17, vcc_lo, 0xffffff01, v104
	s_wait_alu 0xfffd
	v_add_co_ci_u32_e64 v18, null, -1, v105, vcc_lo
	v_mov_b32_e32 v16, v1
	v_dual_mov_b32 v2, v1 :: v_dual_mov_b32 v3, v1
	v_dual_mov_b32 v4, v1 :: v_dual_mov_b32 v5, v1
	;; [unrolled: 1-line block ×7, first 2 shown]
	v_cmp_gt_i64_e32 vcc_lo, s[4:5], v[17:18]
	s_delay_alu instid0(VALU_DEP_3) | instskip(NEXT) | instid1(VALU_DEP_3)
	v_dual_mov_b32 v33, v16 :: v_dual_mov_b32 v30, v13
	v_dual_mov_b32 v31, v14 :: v_dual_mov_b32 v32, v15
	;; [unrolled: 1-line block ×8, first 2 shown]
	v_mov_b32_e32 v17, v16
	v_mov_b32_e32 v16, v15
	;; [unrolled: 1-line block ×16, first 2 shown]
	s_and_b32 s16, s2, vcc_lo
	s_wait_alu 0xfffe
	s_and_saveexec_b32 s3, s16
	s_cbranch_execz .LBB151_10
; %bb.9:                                ;   in Loop: Header=BB151_3 Depth=1
	v_add_co_u32 v2, vcc_lo, v39, v34
	s_wait_alu 0xfffd
	v_add_co_ci_u32_e64 v3, null, v40, v35, vcc_lo
	v_add_co_u32 v4, vcc_lo, v41, v34
	s_wait_alu 0xfffd
	v_add_co_ci_u32_e64 v5, null, v42, v35, vcc_lo
	global_load_b32 v2, v[2:3], off
	global_load_b32 v18, v[4:5], off
	v_dual_mov_b32 v3, v1 :: v_dual_mov_b32 v4, v1
	v_dual_mov_b32 v5, v1 :: v_dual_mov_b32 v6, v1
	;; [unrolled: 1-line block ×14, first 2 shown]
	v_mov_b32_e32 v31, v1
	v_mov_b32_e32 v33, v1
.LBB151_10:                             ;   in Loop: Header=BB151_3 Depth=1
	s_wait_alu 0xfffe
	s_or_b32 exec_lo, exec_lo, s3
	v_add_co_u32 v107, vcc_lo, 0xffffff02, v104
	s_wait_alu 0xfffd
	v_add_co_ci_u32_e64 v108, null, -1, v105, vcc_lo
	s_delay_alu instid0(VALU_DEP_1)
	v_cmp_gt_i64_e32 vcc_lo, s[4:5], v[107:108]
	s_and_b32 s16, s2, vcc_lo
	s_wait_alu 0xfffe
	s_and_saveexec_b32 s3, s16
	s_cbranch_execz .LBB151_12
; %bb.11:                               ;   in Loop: Header=BB151_3 Depth=1
	v_add_co_u32 v107, vcc_lo, v99, v34
	s_wait_alu 0xfffd
	v_add_co_ci_u32_e64 v108, null, v100, v35, vcc_lo
	v_add_co_u32 v109, vcc_lo, v101, v34
	s_wait_alu 0xfffd
	v_add_co_ci_u32_e64 v110, null, v102, v35, vcc_lo
	global_load_b32 v3, v[107:108], off
	global_load_b32 v19, v[109:110], off
.LBB151_12:                             ;   in Loop: Header=BB151_3 Depth=1
	s_wait_alu 0xfffe
	s_or_b32 exec_lo, exec_lo, s3
	v_add_co_u32 v107, vcc_lo, 0xffffff03, v104
	s_wait_alu 0xfffd
	v_add_co_ci_u32_e64 v108, null, -1, v105, vcc_lo
	s_delay_alu instid0(VALU_DEP_1)
	v_cmp_gt_i64_e32 vcc_lo, s[4:5], v[107:108]
	s_and_b32 s16, s2, vcc_lo
	s_wait_alu 0xfffe
	s_and_saveexec_b32 s3, s16
	s_cbranch_execz .LBB151_14
; %bb.13:                               ;   in Loop: Header=BB151_3 Depth=1
	v_add_co_u32 v107, vcc_lo, v95, v34
	s_wait_alu 0xfffd
	v_add_co_ci_u32_e64 v108, null, v96, v35, vcc_lo
	v_add_co_u32 v109, vcc_lo, v97, v34
	s_wait_alu 0xfffd
	v_add_co_ci_u32_e64 v110, null, v98, v35, vcc_lo
	global_load_b32 v4, v[107:108], off
	global_load_b32 v20, v[109:110], off
.LBB151_14:                             ;   in Loop: Header=BB151_3 Depth=1
	;; [unrolled: 21-line block ×15, first 2 shown]
	s_wait_alu 0xfffe
	s_or_b32 exec_lo, exec_lo, s3
	s_wait_loadcnt 0x0
	ds_bpermute_b32 v107, v1, v106
	ds_bpermute_b32 v108, v1, v106 offset:4
	ds_bpermute_b32 v109, v1, v106 offset:8
	v_dual_mul_f32 v2, v18, v2 :: v_dual_mul_f32 v3, v19, v3
	ds_bpermute_b32 v18, v1, v106 offset:12
	ds_bpermute_b32 v19, v1, v106 offset:16
	s_mov_b32 s3, 0
	s_wait_dscnt 0x4
	v_fma_f32 v166, v2, v107, v103
	v_mul_f32_e32 v2, v20, v4
	ds_bpermute_b32 v4, v1, v106 offset:20
	s_wait_dscnt 0x4
	v_dual_fmac_f32 v166, v3, v108 :: v_dual_mul_f32 v3, v21, v5
	ds_bpermute_b32 v5, v1, v106 offset:24
	s_wait_dscnt 0x4
	v_fmac_f32_e32 v166, v2, v109
	v_mul_f32_e32 v2, v22, v6
	ds_bpermute_b32 v6, v1, v106 offset:28
	s_wait_dscnt 0x4
	v_fmac_f32_e32 v166, v3, v18
	v_mul_f32_e32 v3, v23, v7
	;; [unrolled: 4-line block ×3, first 2 shown]
	ds_bpermute_b32 v8, v1, v106 offset:36
	s_wait_dscnt 0x4
	v_dual_fmac_f32 v166, v3, v4 :: v_dual_mul_f32 v3, v25, v9
	ds_bpermute_b32 v4, v1, v106 offset:40
	s_wait_dscnt 0x4
	v_fmac_f32_e32 v166, v2, v5
	v_mul_f32_e32 v2, v26, v10
	ds_bpermute_b32 v5, v1, v106 offset:44
	s_wait_dscnt 0x4
	v_fmac_f32_e32 v166, v3, v6
	v_mul_f32_e32 v3, v27, v11
	;; [unrolled: 4-line block ×3, first 2 shown]
	ds_bpermute_b32 v7, v1, v106 offset:52
	s_wait_dscnt 0x4
	v_dual_fmac_f32 v166, v3, v8 :: v_dual_mul_f32 v3, v29, v13
	v_mul_f32_e32 v8, v30, v14
	s_wait_dscnt 0x3
	s_delay_alu instid0(VALU_DEP_2)
	v_fmac_f32_e32 v166, v2, v4
	ds_bpermute_b32 v4, v1, v106 offset:56
	ds_bpermute_b32 v2, v1, v106 offset:60
	s_wait_dscnt 0x4
	v_fmac_f32_e32 v166, v3, v5
	s_wait_dscnt 0x3
	s_delay_alu instid0(VALU_DEP_1) | instskip(SKIP_1) | instid1(VALU_DEP_1)
	v_dual_mul_f32 v3, v31, v15 :: v_dual_fmac_f32 v166, v8, v6
	s_wait_dscnt 0x2
	v_dual_fmac_f32 v166, v3, v7 :: v_dual_mul_f32 v3, v32, v16
	s_wait_dscnt 0x1
	s_delay_alu instid0(VALU_DEP_1)
	v_fmac_f32_e32 v166, v3, v4
.LBB151_41:                             ;   in Loop: Header=BB151_3 Depth=1
	s_wait_alu 0xfffe
	s_and_b32 vcc_lo, exec_lo, s3
	s_wait_alu 0xfffe
	s_cbranch_vccz .LBB151_64
; %bb.42:                               ;   in Loop: Header=BB151_3 Depth=1
	s_load_b32 s3, s[18:19], 0x0
	v_mov_b32_e32 v106, 0
	s_wait_kmcnt 0x0
	s_cmp_lt_u32 ttmp9, s3
	s_cselect_b32 s16, 12, 18
	s_wait_alu 0xfffe
	s_add_nc_u64 s[30:31], s[18:19], s[16:17]
	s_load_u16 s3, s[30:31], 0x0
	s_wait_dscnt 0x0
	s_wait_kmcnt 0x0
	v_mad_u32_u24 v2, v36, s3, v38
	s_mov_b32 s3, exec_lo
	s_delay_alu instid0(VALU_DEP_1) | instskip(NEXT) | instid1(VALU_DEP_1)
	v_and_b32_e32 v2, 31, v2
	v_cmpx_gt_u32_e32 16, v2
	s_cbranch_execz .LBB151_46
; %bb.43:                               ;   in Loop: Header=BB151_3 Depth=1
	v_add_co_u32 v2, vcc_lo, v104, v2
	s_wait_alu 0xfffd
	v_add_co_ci_u32_e64 v3, null, 0, v105, vcc_lo
	v_mov_b32_e32 v106, 0
	s_delay_alu instid0(VALU_DEP_3) | instskip(SKIP_1) | instid1(VALU_DEP_3)
	v_add_co_u32 v2, vcc_lo, 0xffffff01, v2
	s_wait_alu 0xfffd
	v_add_co_ci_u32_e64 v3, null, -1, v3, vcc_lo
	s_mov_b32 s16, exec_lo
	v_cmpx_gt_i64_e64 s[4:5], v[2:3]
	s_cbranch_execz .LBB151_45
; %bb.44:                               ;   in Loop: Header=BB151_3 Depth=1
	v_lshlrev_b64_e32 v[2:3], 2, v[2:3]
	s_delay_alu instid0(VALU_DEP_1) | instskip(SKIP_1) | instid1(VALU_DEP_2)
	v_add_co_u32 v2, vcc_lo, s12, v2
	s_wait_alu 0xfffd
	v_add_co_ci_u32_e64 v3, null, s13, v3, vcc_lo
	global_load_b32 v106, v[2:3], off
.LBB151_45:                             ;   in Loop: Header=BB151_3 Depth=1
	s_wait_alu 0xfffe
	s_or_b32 exec_lo, exec_lo, s16
.LBB151_46:                             ;   in Loop: Header=BB151_3 Depth=1
	s_wait_alu 0xfffe
	s_or_b32 exec_lo, exec_lo, s3
	v_mov_b32_e32 v16, v1
	v_dual_mov_b32 v2, v1 :: v_dual_mov_b32 v3, v1
	v_dual_mov_b32 v4, v1 :: v_dual_mov_b32 v5, v1
	;; [unrolled: 1-line block ×7, first 2 shown]
	v_mov_b32_e32 v33, v16
	s_delay_alu instid0(VALU_DEP_3) | instskip(NEXT) | instid1(VALU_DEP_3)
	v_dual_mov_b32 v29, v12 :: v_dual_mov_b32 v28, v11
	v_dual_mov_b32 v31, v14 :: v_dual_mov_b32 v30, v13
	s_delay_alu instid0(VALU_DEP_4)
	v_dual_mov_b32 v32, v15 :: v_dual_mov_b32 v27, v10
	v_dual_mov_b32 v26, v9 :: v_dual_mov_b32 v25, v8
	;; [unrolled: 1-line block ×6, first 2 shown]
	v_mov_b32_e32 v16, v15
	v_mov_b32_e32 v15, v14
	;; [unrolled: 1-line block ×15, first 2 shown]
	s_and_saveexec_b32 s3, s2
	s_cbranch_execnz .LBB151_66
; %bb.47:                               ;   in Loop: Header=BB151_3 Depth=1
	s_wait_alu 0xfffe
	s_or_b32 exec_lo, exec_lo, s3
	s_and_saveexec_b32 s3, s2
	s_cbranch_execnz .LBB151_67
.LBB151_48:                             ;   in Loop: Header=BB151_3 Depth=1
	s_wait_alu 0xfffe
	s_or_b32 exec_lo, exec_lo, s3
	s_and_saveexec_b32 s3, s2
	s_cbranch_execnz .LBB151_68
.LBB151_49:                             ;   in Loop: Header=BB151_3 Depth=1
	s_wait_alu 0xfffe
	s_or_b32 exec_lo, exec_lo, s3
	s_and_saveexec_b32 s3, s2
	s_cbranch_execnz .LBB151_69
.LBB151_50:                             ;   in Loop: Header=BB151_3 Depth=1
	s_wait_alu 0xfffe
	s_or_b32 exec_lo, exec_lo, s3
	s_and_saveexec_b32 s3, s2
	s_cbranch_execnz .LBB151_70
.LBB151_51:                             ;   in Loop: Header=BB151_3 Depth=1
	s_wait_alu 0xfffe
	s_or_b32 exec_lo, exec_lo, s3
	s_and_saveexec_b32 s3, s2
	s_cbranch_execnz .LBB151_71
.LBB151_52:                             ;   in Loop: Header=BB151_3 Depth=1
	s_wait_alu 0xfffe
	s_or_b32 exec_lo, exec_lo, s3
	s_and_saveexec_b32 s3, s2
	s_cbranch_execnz .LBB151_72
.LBB151_53:                             ;   in Loop: Header=BB151_3 Depth=1
	s_wait_alu 0xfffe
	s_or_b32 exec_lo, exec_lo, s3
	s_and_saveexec_b32 s3, s2
	s_cbranch_execnz .LBB151_73
.LBB151_54:                             ;   in Loop: Header=BB151_3 Depth=1
	s_wait_alu 0xfffe
	s_or_b32 exec_lo, exec_lo, s3
	s_and_saveexec_b32 s3, s2
	s_cbranch_execnz .LBB151_74
.LBB151_55:                             ;   in Loop: Header=BB151_3 Depth=1
	s_wait_alu 0xfffe
	s_or_b32 exec_lo, exec_lo, s3
	s_and_saveexec_b32 s3, s2
	s_cbranch_execnz .LBB151_75
.LBB151_56:                             ;   in Loop: Header=BB151_3 Depth=1
	s_wait_alu 0xfffe
	s_or_b32 exec_lo, exec_lo, s3
	s_and_saveexec_b32 s3, s2
	s_cbranch_execnz .LBB151_76
.LBB151_57:                             ;   in Loop: Header=BB151_3 Depth=1
	s_wait_alu 0xfffe
	s_or_b32 exec_lo, exec_lo, s3
	s_and_saveexec_b32 s3, s2
	s_cbranch_execnz .LBB151_77
.LBB151_58:                             ;   in Loop: Header=BB151_3 Depth=1
	s_wait_alu 0xfffe
	s_or_b32 exec_lo, exec_lo, s3
	s_and_saveexec_b32 s3, s2
	s_cbranch_execnz .LBB151_78
.LBB151_59:                             ;   in Loop: Header=BB151_3 Depth=1
	s_wait_alu 0xfffe
	s_or_b32 exec_lo, exec_lo, s3
	s_and_saveexec_b32 s3, s2
	s_cbranch_execnz .LBB151_79
.LBB151_60:                             ;   in Loop: Header=BB151_3 Depth=1
	s_wait_alu 0xfffe
	s_or_b32 exec_lo, exec_lo, s3
	s_and_saveexec_b32 s3, s2
	s_cbranch_execnz .LBB151_80
.LBB151_61:                             ;   in Loop: Header=BB151_3 Depth=1
	s_wait_alu 0xfffe
	s_or_b32 exec_lo, exec_lo, s3
	s_and_saveexec_b32 s3, s2
	s_cbranch_execz .LBB151_63
.LBB151_62:                             ;   in Loop: Header=BB151_3 Depth=1
	v_add_co_u32 v104, vcc_lo, v43, v34
	s_wait_alu 0xfffd
	v_add_co_ci_u32_e64 v105, null, v44, v35, vcc_lo
	v_add_co_u32 v107, vcc_lo, v45, v34
	s_wait_alu 0xfffd
	v_add_co_ci_u32_e64 v108, null, v46, v35, vcc_lo
	global_load_b32 v17, v[104:105], off
	global_load_b32 v33, v[107:108], off
.LBB151_63:                             ;   in Loop: Header=BB151_3 Depth=1
	s_wait_alu 0xfffe
	s_or_b32 exec_lo, exec_lo, s3
	s_wait_loadcnt 0x0
	ds_bpermute_b32 v104, v1, v106
	ds_bpermute_b32 v105, v1, v106 offset:4
	ds_bpermute_b32 v107, v1, v106 offset:8
	v_dual_mul_f32 v2, v18, v2 :: v_dual_mul_f32 v3, v19, v3
	ds_bpermute_b32 v18, v1, v106 offset:12
	ds_bpermute_b32 v19, v1, v106 offset:16
	s_wait_dscnt 0x4
	v_fmac_f32_e32 v103, v2, v104
	v_mul_f32_e32 v2, v20, v4
	ds_bpermute_b32 v4, v1, v106 offset:20
	s_wait_dscnt 0x4
	v_fmac_f32_e32 v103, v3, v105
	v_mul_f32_e32 v3, v21, v5
	;; [unrolled: 4-line block ×4, first 2 shown]
	ds_bpermute_b32 v7, v1, v106 offset:32
	s_wait_dscnt 0x4
	v_dual_fmac_f32 v103, v2, v19 :: v_dual_mul_f32 v2, v24, v8
	ds_bpermute_b32 v8, v1, v106 offset:36
	s_wait_dscnt 0x4
	v_fmac_f32_e32 v103, v3, v4
	v_mul_f32_e32 v3, v25, v9
	ds_bpermute_b32 v4, v1, v106 offset:40
	s_wait_dscnt 0x4
	v_fmac_f32_e32 v103, v2, v5
	v_mul_f32_e32 v2, v26, v10
	;; [unrolled: 4-line block ×3, first 2 shown]
	ds_bpermute_b32 v6, v1, v106 offset:48
	s_wait_dscnt 0x4
	v_dual_fmac_f32 v103, v2, v7 :: v_dual_mul_f32 v2, v28, v12
	ds_bpermute_b32 v7, v1, v106 offset:52
	s_wait_dscnt 0x4
	v_fmac_f32_e32 v103, v3, v8
	v_mul_f32_e32 v3, v29, v13
	s_wait_dscnt 0x3
	s_delay_alu instid0(VALU_DEP_2)
	v_fmac_f32_e32 v103, v2, v4
	ds_bpermute_b32 v4, v1, v106 offset:56
	s_wait_dscnt 0x3
	v_dual_mul_f32 v2, v30, v14 :: v_dual_fmac_f32 v103, v3, v5
	v_mul_f32_e32 v3, v31, v15
	s_wait_dscnt 0x2
	s_delay_alu instid0(VALU_DEP_2)
	v_fmac_f32_e32 v103, v2, v6
	ds_bpermute_b32 v2, v1, v106 offset:60
	s_wait_dscnt 0x2
	v_fmac_f32_e32 v103, v3, v7
	v_mul_f32_e32 v3, v32, v16
	s_wait_dscnt 0x1
	s_delay_alu instid0(VALU_DEP_1) | instskip(NEXT) | instid1(VALU_DEP_1)
	v_fmac_f32_e32 v103, v3, v4
	v_mov_b32_e32 v166, v103
.LBB151_64:                             ;   in Loop: Header=BB151_3 Depth=1
	v_add_co_u32 v39, vcc_lo, v39, s22
	s_wait_alu 0xfffd
	v_add_co_ci_u32_e64 v40, null, s23, v40, vcc_lo
	v_add_co_u32 v41, vcc_lo, v41, s22
	s_wait_alu 0xfffd
	v_add_co_ci_u32_e64 v42, null, s23, v42, vcc_lo
	;; [unrolled: 3-line block ×29, first 2 shown]
	v_add_co_u32 v97, vcc_lo, v97, s22
	v_mul_f32_e32 v3, v17, v33
	s_add_nc_u64 s[26:27], s[26:27], s[20:21]
	s_wait_alu 0xfffd
	v_add_co_ci_u32_e64 v98, null, s23, v98, vcc_lo
	v_add_co_u32 v99, vcc_lo, v99, s22
	s_wait_alu 0xfffe
	v_cmp_lt_i64_e64 s3, s[26:27], s[4:5]
	s_wait_alu 0xfffd
	v_add_co_ci_u32_e64 v100, null, s23, v100, vcc_lo
	v_add_co_u32 v101, vcc_lo, v101, s22
	s_wait_dscnt 0x0
	v_fmac_f32_e32 v166, v3, v2
	s_wait_alu 0xfffd
	v_add_co_ci_u32_e64 v102, null, s23, v102, vcc_lo
	s_and_b32 vcc_lo, exec_lo, s3
	s_add_nc_u64 s[24:25], s[24:25], s[20:21]
	s_wait_alu 0xfffe
	s_cbranch_vccz .LBB151_82
; %bb.65:                               ;   in Loop: Header=BB151_3 Depth=1
	v_mov_b32_e32 v103, v166
	s_branch .LBB151_3
.LBB151_66:                             ;   in Loop: Header=BB151_3 Depth=1
	v_add_co_u32 v2, vcc_lo, v39, v34
	s_wait_alu 0xfffd
	v_add_co_ci_u32_e64 v3, null, v40, v35, vcc_lo
	v_add_co_u32 v4, vcc_lo, v41, v34
	s_wait_alu 0xfffd
	v_add_co_ci_u32_e64 v5, null, v42, v35, vcc_lo
	global_load_b32 v2, v[2:3], off
	global_load_b32 v18, v[4:5], off
	v_dual_mov_b32 v3, v1 :: v_dual_mov_b32 v4, v1
	v_dual_mov_b32 v5, v1 :: v_dual_mov_b32 v6, v1
	v_dual_mov_b32 v7, v1 :: v_dual_mov_b32 v8, v1
	v_dual_mov_b32 v9, v1 :: v_dual_mov_b32 v10, v1
	v_dual_mov_b32 v11, v1 :: v_dual_mov_b32 v12, v1
	v_dual_mov_b32 v13, v1 :: v_dual_mov_b32 v14, v1
	v_dual_mov_b32 v15, v1 :: v_dual_mov_b32 v16, v1
	v_dual_mov_b32 v17, v1 :: v_dual_mov_b32 v20, v1
	v_dual_mov_b32 v19, v1 :: v_dual_mov_b32 v22, v1
	v_dual_mov_b32 v21, v1 :: v_dual_mov_b32 v24, v1
	v_dual_mov_b32 v23, v1 :: v_dual_mov_b32 v26, v1
	v_dual_mov_b32 v25, v1 :: v_dual_mov_b32 v28, v1
	v_dual_mov_b32 v27, v1 :: v_dual_mov_b32 v30, v1
	v_dual_mov_b32 v29, v1 :: v_dual_mov_b32 v32, v1
	v_mov_b32_e32 v31, v1
	v_mov_b32_e32 v33, v1
	s_wait_alu 0xfffe
	s_or_b32 exec_lo, exec_lo, s3
	s_and_saveexec_b32 s3, s2
	s_cbranch_execz .LBB151_48
.LBB151_67:                             ;   in Loop: Header=BB151_3 Depth=1
	v_add_co_u32 v104, vcc_lo, v99, v34
	s_wait_alu 0xfffd
	v_add_co_ci_u32_e64 v105, null, v100, v35, vcc_lo
	v_add_co_u32 v107, vcc_lo, v101, v34
	s_wait_alu 0xfffd
	v_add_co_ci_u32_e64 v108, null, v102, v35, vcc_lo
	global_load_b32 v3, v[104:105], off
	global_load_b32 v19, v[107:108], off
	s_wait_alu 0xfffe
	s_or_b32 exec_lo, exec_lo, s3
	s_and_saveexec_b32 s3, s2
	s_cbranch_execz .LBB151_49
.LBB151_68:                             ;   in Loop: Header=BB151_3 Depth=1
	v_add_co_u32 v104, vcc_lo, v95, v34
	s_wait_alu 0xfffd
	v_add_co_ci_u32_e64 v105, null, v96, v35, vcc_lo
	v_add_co_u32 v107, vcc_lo, v97, v34
	s_wait_alu 0xfffd
	v_add_co_ci_u32_e64 v108, null, v98, v35, vcc_lo
	global_load_b32 v4, v[104:105], off
	global_load_b32 v20, v[107:108], off
	s_wait_alu 0xfffe
	s_or_b32 exec_lo, exec_lo, s3
	s_and_saveexec_b32 s3, s2
	s_cbranch_execz .LBB151_50
.LBB151_69:                             ;   in Loop: Header=BB151_3 Depth=1
	v_add_co_u32 v104, vcc_lo, v91, v34
	s_wait_alu 0xfffd
	v_add_co_ci_u32_e64 v105, null, v92, v35, vcc_lo
	v_add_co_u32 v107, vcc_lo, v93, v34
	s_wait_alu 0xfffd
	v_add_co_ci_u32_e64 v108, null, v94, v35, vcc_lo
	global_load_b32 v5, v[104:105], off
	global_load_b32 v21, v[107:108], off
	s_wait_alu 0xfffe
	s_or_b32 exec_lo, exec_lo, s3
	s_and_saveexec_b32 s3, s2
	s_cbranch_execz .LBB151_51
.LBB151_70:                             ;   in Loop: Header=BB151_3 Depth=1
	v_add_co_u32 v104, vcc_lo, v87, v34
	s_wait_alu 0xfffd
	v_add_co_ci_u32_e64 v105, null, v88, v35, vcc_lo
	v_add_co_u32 v107, vcc_lo, v89, v34
	s_wait_alu 0xfffd
	v_add_co_ci_u32_e64 v108, null, v90, v35, vcc_lo
	global_load_b32 v6, v[104:105], off
	global_load_b32 v22, v[107:108], off
	s_wait_alu 0xfffe
	s_or_b32 exec_lo, exec_lo, s3
	s_and_saveexec_b32 s3, s2
	s_cbranch_execz .LBB151_52
.LBB151_71:                             ;   in Loop: Header=BB151_3 Depth=1
	v_add_co_u32 v104, vcc_lo, v83, v34
	s_wait_alu 0xfffd
	v_add_co_ci_u32_e64 v105, null, v84, v35, vcc_lo
	v_add_co_u32 v107, vcc_lo, v85, v34
	s_wait_alu 0xfffd
	v_add_co_ci_u32_e64 v108, null, v86, v35, vcc_lo
	global_load_b32 v7, v[104:105], off
	global_load_b32 v23, v[107:108], off
	s_wait_alu 0xfffe
	s_or_b32 exec_lo, exec_lo, s3
	s_and_saveexec_b32 s3, s2
	s_cbranch_execz .LBB151_53
.LBB151_72:                             ;   in Loop: Header=BB151_3 Depth=1
	v_add_co_u32 v104, vcc_lo, v79, v34
	s_wait_alu 0xfffd
	v_add_co_ci_u32_e64 v105, null, v80, v35, vcc_lo
	v_add_co_u32 v107, vcc_lo, v81, v34
	s_wait_alu 0xfffd
	v_add_co_ci_u32_e64 v108, null, v82, v35, vcc_lo
	global_load_b32 v8, v[104:105], off
	global_load_b32 v24, v[107:108], off
	s_wait_alu 0xfffe
	s_or_b32 exec_lo, exec_lo, s3
	s_and_saveexec_b32 s3, s2
	s_cbranch_execz .LBB151_54
.LBB151_73:                             ;   in Loop: Header=BB151_3 Depth=1
	v_add_co_u32 v104, vcc_lo, v75, v34
	s_wait_alu 0xfffd
	v_add_co_ci_u32_e64 v105, null, v76, v35, vcc_lo
	v_add_co_u32 v107, vcc_lo, v77, v34
	s_wait_alu 0xfffd
	v_add_co_ci_u32_e64 v108, null, v78, v35, vcc_lo
	global_load_b32 v9, v[104:105], off
	global_load_b32 v25, v[107:108], off
	s_wait_alu 0xfffe
	s_or_b32 exec_lo, exec_lo, s3
	s_and_saveexec_b32 s3, s2
	s_cbranch_execz .LBB151_55
.LBB151_74:                             ;   in Loop: Header=BB151_3 Depth=1
	v_add_co_u32 v104, vcc_lo, v71, v34
	s_wait_alu 0xfffd
	v_add_co_ci_u32_e64 v105, null, v72, v35, vcc_lo
	v_add_co_u32 v107, vcc_lo, v73, v34
	s_wait_alu 0xfffd
	v_add_co_ci_u32_e64 v108, null, v74, v35, vcc_lo
	global_load_b32 v10, v[104:105], off
	global_load_b32 v26, v[107:108], off
	s_wait_alu 0xfffe
	s_or_b32 exec_lo, exec_lo, s3
	s_and_saveexec_b32 s3, s2
	s_cbranch_execz .LBB151_56
.LBB151_75:                             ;   in Loop: Header=BB151_3 Depth=1
	v_add_co_u32 v104, vcc_lo, v67, v34
	s_wait_alu 0xfffd
	v_add_co_ci_u32_e64 v105, null, v68, v35, vcc_lo
	v_add_co_u32 v107, vcc_lo, v69, v34
	s_wait_alu 0xfffd
	v_add_co_ci_u32_e64 v108, null, v70, v35, vcc_lo
	global_load_b32 v11, v[104:105], off
	global_load_b32 v27, v[107:108], off
	s_wait_alu 0xfffe
	s_or_b32 exec_lo, exec_lo, s3
	s_and_saveexec_b32 s3, s2
	s_cbranch_execz .LBB151_57
.LBB151_76:                             ;   in Loop: Header=BB151_3 Depth=1
	v_add_co_u32 v104, vcc_lo, v63, v34
	s_wait_alu 0xfffd
	v_add_co_ci_u32_e64 v105, null, v64, v35, vcc_lo
	v_add_co_u32 v107, vcc_lo, v65, v34
	s_wait_alu 0xfffd
	v_add_co_ci_u32_e64 v108, null, v66, v35, vcc_lo
	global_load_b32 v12, v[104:105], off
	global_load_b32 v28, v[107:108], off
	s_wait_alu 0xfffe
	s_or_b32 exec_lo, exec_lo, s3
	s_and_saveexec_b32 s3, s2
	s_cbranch_execz .LBB151_58
.LBB151_77:                             ;   in Loop: Header=BB151_3 Depth=1
	v_add_co_u32 v104, vcc_lo, v59, v34
	s_wait_alu 0xfffd
	v_add_co_ci_u32_e64 v105, null, v60, v35, vcc_lo
	v_add_co_u32 v107, vcc_lo, v61, v34
	s_wait_alu 0xfffd
	v_add_co_ci_u32_e64 v108, null, v62, v35, vcc_lo
	global_load_b32 v13, v[104:105], off
	global_load_b32 v29, v[107:108], off
	s_wait_alu 0xfffe
	s_or_b32 exec_lo, exec_lo, s3
	s_and_saveexec_b32 s3, s2
	s_cbranch_execz .LBB151_59
.LBB151_78:                             ;   in Loop: Header=BB151_3 Depth=1
	v_add_co_u32 v104, vcc_lo, v55, v34
	s_wait_alu 0xfffd
	v_add_co_ci_u32_e64 v105, null, v56, v35, vcc_lo
	v_add_co_u32 v107, vcc_lo, v57, v34
	s_wait_alu 0xfffd
	v_add_co_ci_u32_e64 v108, null, v58, v35, vcc_lo
	global_load_b32 v14, v[104:105], off
	global_load_b32 v30, v[107:108], off
	s_wait_alu 0xfffe
	s_or_b32 exec_lo, exec_lo, s3
	s_and_saveexec_b32 s3, s2
	s_cbranch_execz .LBB151_60
.LBB151_79:                             ;   in Loop: Header=BB151_3 Depth=1
	v_add_co_u32 v104, vcc_lo, v51, v34
	s_wait_alu 0xfffd
	v_add_co_ci_u32_e64 v105, null, v52, v35, vcc_lo
	v_add_co_u32 v107, vcc_lo, v53, v34
	s_wait_alu 0xfffd
	v_add_co_ci_u32_e64 v108, null, v54, v35, vcc_lo
	global_load_b32 v15, v[104:105], off
	global_load_b32 v31, v[107:108], off
	s_wait_alu 0xfffe
	s_or_b32 exec_lo, exec_lo, s3
	s_and_saveexec_b32 s3, s2
	s_cbranch_execz .LBB151_61
.LBB151_80:                             ;   in Loop: Header=BB151_3 Depth=1
	v_add_co_u32 v104, vcc_lo, v47, v34
	s_wait_alu 0xfffd
	v_add_co_ci_u32_e64 v105, null, v48, v35, vcc_lo
	v_add_co_u32 v107, vcc_lo, v49, v34
	s_wait_alu 0xfffd
	v_add_co_ci_u32_e64 v108, null, v50, v35, vcc_lo
	global_load_b32 v16, v[104:105], off
	global_load_b32 v32, v[107:108], off
	s_wait_alu 0xfffe
	s_or_b32 exec_lo, exec_lo, s3
	s_and_saveexec_b32 s3, s2
	s_cbranch_execnz .LBB151_62
	s_branch .LBB151_63
.LBB151_81:
                                        ; implicit-def: $vgpr166
	s_branch .LBB151_83
.LBB151_82:
	s_cbranch_execnz .LBB151_131
.LBB151_83:
	v_mov_b32_e32 v166, 0
	s_and_not1_b32 vcc_lo, exec_lo, s29
	s_wait_alu 0xfffe
	s_cbranch_vccnz .LBB151_131
; %bb.84:
	v_bfe_u32 v96, v0, 10, 10
	s_lshl_b64 s[2:3], s[14:15], 2
	v_dual_mov_b32 v163, 0 :: v_dual_and_b32 v158, 0x3ff, v0
	s_add_nc_u64 s[18:19], s[14:15], 0xff
	s_delay_alu instid0(VALU_DEP_2) | instskip(SKIP_1) | instid1(VALU_DEP_2)
	v_lshlrev_b32_e32 v97, 4, v96
	v_lshlrev_b32_e32 v1, 6, v96
	v_add_co_u32 v3, s16, v97, s14
	s_wait_alu 0xf1ff
	v_add_co_ci_u32_e64 v4, null, 0, 0, s16
	s_wait_alu 0xfffe
	v_add_co_u32 v5, s2, v1, s2
	v_mul_lo_u32 v7, s7, v3
	s_delay_alu instid0(VALU_DEP_3)
	v_mul_lo_u32 v8, s6, v4
	v_mad_co_u64_u32 v[1:2], null, s6, v3, 0
	s_wait_alu 0xf1ff
	v_add_co_ci_u32_e64 v6, null, 0, s3, s2
	v_add_co_u32 v9, vcc_lo, v5, 4
	s_load_b32 s2, s[0:1], 0x44
	v_add_co_ci_u32_e64 v10, null, 0, v6, vcc_lo
	v_add_co_u32 v11, vcc_lo, v5, 8
	s_wait_alu 0xfffd
	v_add_co_ci_u32_e64 v12, null, 0, v6, vcc_lo
	v_add3_u32 v2, v2, v8, v7
	v_add_co_u32 v7, vcc_lo, v5, 12
	s_wait_alu 0xfffd
	v_add_co_ci_u32_e64 v8, null, 0, v6, vcc_lo
	v_add_co_u32 v15, vcc_lo, v5, 16
	s_wait_alu 0xfffd
	v_add_co_ci_u32_e64 v16, null, 0, v6, vcc_lo
	;; [unrolled: 3-line block ×12, first 2 shown]
	v_add_co_u32 v5, vcc_lo, v5, 60
	v_mad_co_u64_u32 v[52:53], null, s6, v33, s[8:9]
	v_mul_lo_u32 v91, s6, v54
	v_mul_lo_u32 v92, s7, v33
	v_mad_co_u64_u32 v[54:55], null, s6, v84, s[8:9]
	v_mul_lo_u32 v93, s6, v56
	v_mul_lo_u32 v94, s7, v84
	v_mad_co_u64_u32 v[82:83], null, s6, v33, s[10:11]
	v_mad_co_u64_u32 v[84:85], null, s6, v84, s[10:11]
	s_wait_alu 0xfffd
	v_add_co_ci_u32_e64 v6, null, 0, v6, vcc_lo
	v_mad_co_u64_u32 v[38:39], null, s6, v7, s[8:9]
	v_mul_lo_u32 v8, s6, v8
	v_mul_lo_u32 v17, s7, v7
	v_mad_co_u64_u32 v[68:69], null, s6, v7, s[10:11]
	v_mul_lo_u32 v104, s6, v6
	v_add_co_u32 v6, vcc_lo, v3, 15
	v_mad_co_u64_u32 v[36:37], null, s6, v11, s[8:9]
	v_mul_lo_u32 v12, s6, v12
	v_mul_lo_u32 v14, s7, v11
	v_mad_co_u64_u32 v[66:67], null, s6, v11, s[10:11]
	v_add3_u32 v53, v92, v53, v91
	v_add3_u32 v55, v94, v55, v93
	v_mul_lo_u32 v102, s6, v62
	v_mad_co_u64_u32 v[62:63], null, s6, v5, s[8:9]
	v_mul_lo_u32 v105, s7, v5
	v_add3_u32 v83, v92, v83, v91
	v_add3_u32 v85, v94, v85, v93
	v_mad_co_u64_u32 v[92:93], null, s6, v5, s[10:11]
	s_wait_alu 0xfffd
	v_add_co_ci_u32_e64 v5, null, 0, v4, vcc_lo
	v_add_co_u32 v7, vcc_lo, v3, 14
	v_mad_co_u64_u32 v[34:35], null, s6, v9, s[8:9]
	v_mul_lo_u32 v10, s6, v10
	v_mul_lo_u32 v13, s7, v9
	v_mad_co_u64_u32 v[64:65], null, s6, v9, s[10:11]
	v_add3_u32 v39, v17, v39, v8
	v_add3_u32 v69, v17, v69, v8
	s_wait_alu 0xfffd
	v_add_co_ci_u32_e64 v8, null, 0, v4, vcc_lo
	v_add3_u32 v37, v14, v37, v12
	v_add3_u32 v67, v14, v67, v12
	v_mul_lo_u32 v11, s7, v7
	s_delay_alu instid0(VALU_DEP_4)
	v_mul_lo_u32 v12, s6, v8
	v_mad_co_u64_u32 v[7:8], null, s6, v7, 0
	v_add3_u32 v35, v13, v35, v10
	v_mad_co_u64_u32 v[40:41], null, s6, v15, s[8:9]
	v_mul_lo_u32 v16, s6, v16
	v_mul_lo_u32 v19, s7, v15
	v_mad_co_u64_u32 v[70:71], null, s6, v15, s[10:11]
	v_add3_u32 v65, v13, v65, v10
	v_mul_lo_u32 v9, s7, v6
	v_mul_lo_u32 v10, s6, v5
	v_mad_co_u64_u32 v[5:6], null, s6, v6, 0
	v_mad_co_u64_u32 v[42:43], null, s6, v18, s[8:9]
	v_mul_lo_u32 v20, s6, v20
	v_mul_lo_u32 v23, s7, v18
	v_mad_co_u64_u32 v[72:73], null, s6, v18, s[10:11]
	v_add_co_u32 v13, vcc_lo, v3, 13
	v_mad_co_u64_u32 v[44:45], null, s6, v21, s[8:9]
	v_mul_lo_u32 v22, s6, v22
	v_mul_lo_u32 v25, s7, v21
	v_mad_co_u64_u32 v[74:75], null, s6, v21, s[10:11]
	s_wait_alu 0xfffd
	v_add_co_ci_u32_e64 v14, null, 0, v4, vcc_lo
	v_add3_u32 v8, v8, v12, v11
	v_add_co_u32 v11, vcc_lo, v3, 12
	v_add3_u32 v41, v19, v41, v16
	v_add3_u32 v71, v19, v71, v16
	;; [unrolled: 1-line block ×3, first 2 shown]
	v_mul_lo_u32 v19, s7, v13
	v_mad_co_u64_u32 v[9:10], null, s6, v13, 0
	s_wait_alu 0xfffd
	v_add_co_ci_u32_e64 v12, null, 0, v4, vcc_lo
	v_add_co_u32 v13, vcc_lo, v3, 11
	v_mad_co_u64_u32 v[46:47], null, s6, v24, s[8:9]
	v_mul_lo_u32 v26, s6, v26
	v_mul_lo_u32 v29, s7, v24
	v_mad_co_u64_u32 v[76:77], null, s6, v24, s[10:11]
	v_add3_u32 v43, v23, v43, v20
	v_add3_u32 v73, v23, v73, v20
	v_mul_lo_u32 v20, s6, v14
	s_wait_alu 0xfffd
	v_add_co_ci_u32_e64 v14, null, 0, v4, vcc_lo
	v_add_co_u32 v15, vcc_lo, v3, 10
	s_wait_alu 0xfffd
	v_add_co_ci_u32_e64 v16, null, 0, v4, vcc_lo
	v_add3_u32 v45, v25, v45, v22
	v_add3_u32 v75, v25, v75, v22
	v_mul_lo_u32 v21, s7, v11
	v_mul_lo_u32 v22, s6, v12
	v_mad_co_u64_u32 v[11:12], null, s6, v11, 0
	v_mul_lo_u32 v23, s7, v13
	v_mul_lo_u32 v24, s6, v14
	v_mad_co_u64_u32 v[13:14], null, s6, v13, 0
	v_mad_co_u64_u32 v[50:51], null, s6, v31, s[8:9]
	v_mul_lo_u32 v32, s6, v32
	v_mul_lo_u32 v90, s7, v31
	v_mad_co_u64_u32 v[80:81], null, s6, v31, s[10:11]
	v_add3_u32 v47, v29, v47, v26
	v_add3_u32 v77, v29, v77, v26
	v_mul_lo_u32 v25, s7, v15
	v_add_co_u32 v17, vcc_lo, v3, 9
	v_mul_lo_u32 v26, s6, v16
	v_mad_co_u64_u32 v[15:16], null, s6, v15, 0
	s_wait_alu 0xfffd
	v_add_co_ci_u32_e64 v18, null, 0, v4, vcc_lo
	v_add3_u32 v10, v10, v20, v19
	v_add_co_u32 v19, vcc_lo, v3, 8
	v_mad_co_u64_u32 v[48:49], null, s6, v27, s[8:9]
	v_mul_lo_u32 v28, s6, v28
	v_mul_lo_u32 v30, s7, v27
	v_mad_co_u64_u32 v[78:79], null, s6, v27, s[10:11]
	v_add3_u32 v12, v12, v22, v21
	s_wait_alu 0xfffd
	v_add_co_ci_u32_e64 v20, null, 0, v4, vcc_lo
	v_add_co_u32 v21, vcc_lo, v3, 7
	v_mad_co_u64_u32 v[56:57], null, s6, v86, s[8:9]
	v_mul_lo_u32 v95, s6, v58
	v_mul_lo_u32 v98, s7, v86
	v_mad_co_u64_u32 v[86:87], null, s6, v86, s[10:11]
	v_add3_u32 v14, v14, v24, v23
	s_wait_alu 0xfffd
	v_add_co_ci_u32_e64 v22, null, 0, v4, vcc_lo
	v_add_co_u32 v23, vcc_lo, v3, 6
	v_add3_u32 v51, v90, v51, v32
	v_mad_co_u64_u32 v[58:59], null, s6, v88, s[8:9]
	v_mul_lo_u32 v99, s6, v60
	v_mul_lo_u32 v101, s7, v88
	v_mad_co_u64_u32 v[88:89], null, s6, v88, s[10:11]
	v_add3_u32 v81, v90, v81, v32
	v_mul_lo_u32 v31, s7, v17
	v_mul_lo_u32 v32, s6, v18
	v_mad_co_u64_u32 v[17:18], null, s6, v17, 0
	v_add3_u32 v16, v16, v26, v25
	s_wait_alu 0xfffd
	v_add_co_ci_u32_e64 v24, null, 0, v4, vcc_lo
	v_add_co_u32 v25, vcc_lo, v3, 5
	v_mad_co_u64_u32 v[60:61], null, s6, v100, s[8:9]
	v_mul_lo_u32 v103, s7, v100
	v_mad_co_u64_u32 v[90:91], null, s6, v100, s[10:11]
	s_wait_alu 0xfffd
	v_add_co_ci_u32_e64 v26, null, 0, v4, vcc_lo
	v_add_co_u32 v27, vcc_lo, v3, 4
	v_add3_u32 v49, v30, v49, v28
	v_add3_u32 v79, v30, v79, v28
	s_wait_alu 0xfffd
	v_add_co_ci_u32_e64 v28, null, 0, v4, vcc_lo
	v_add_co_u32 v29, vcc_lo, v3, 3
	v_add3_u32 v57, v98, v57, v95
	v_add3_u32 v87, v98, v87, v95
	v_mul_lo_u32 v95, s7, v21
	v_mul_lo_u32 v98, s6, v22
	v_mad_co_u64_u32 v[21:22], null, s6, v21, 0
	v_add3_u32 v63, v105, v63, v104
	v_add3_u32 v93, v105, v93, v104
	s_wait_alu 0xfffd
	v_add_co_ci_u32_e64 v30, null, 0, v4, vcc_lo
	v_add_co_u32 v105, vcc_lo, v3, 2
	v_add3_u32 v59, v101, v59, v99
	v_add3_u32 v89, v101, v89, v99
	v_mul_lo_u32 v99, s7, v23
	v_mul_lo_u32 v100, s6, v24
	v_mad_co_u64_u32 v[23:24], null, s6, v23, 0
	v_add3_u32 v18, v18, v32, v31
	v_lshlrev_b64_e32 v[31:32], 2, v[1:2]
	s_wait_alu 0xfffd
	v_add_co_ci_u32_e64 v106, null, 0, v4, vcc_lo
	v_add3_u32 v61, v103, v61, v102
	v_add3_u32 v91, v103, v91, v102
	v_mul_lo_u32 v101, s7, v25
	v_mul_lo_u32 v102, s6, v26
	v_mad_co_u64_u32 v[25:26], null, s6, v25, 0
	v_mul_lo_u32 v103, s7, v27
	v_mul_lo_u32 v104, s6, v28
	v_mad_co_u64_u32 v[27:28], null, s6, v27, 0
	v_add_co_u32 v1, vcc_lo, v1, s6
	v_lshlrev_b64_e32 v[5:6], 2, v[5:6]
	v_mul_lo_u32 v107, s6, v30
	v_mul_lo_u32 v108, s7, v29
	v_mad_co_u64_u32 v[3:4], null, s6, v29, 0
	v_mul_lo_u32 v106, s6, v106
	v_mul_lo_u32 v109, s7, v105
	v_mad_co_u64_u32 v[29:30], null, s6, v105, 0
	v_add3_u32 v22, v22, v98, v95
	s_wait_alu 0xfffd
	v_add_co_ci_u32_e64 v2, null, s7, v2, vcc_lo
	v_add_co_u32 v98, vcc_lo, s8, v31
	v_add3_u32 v24, v24, v100, v99
	s_wait_alu 0xfffd
	v_add_co_ci_u32_e64 v99, null, s9, v32, vcc_lo
	v_add_co_u32 v100, vcc_lo, s10, v31
	v_lshlrev_b64_e32 v[7:8], 2, v[7:8]
	v_add3_u32 v26, v26, v102, v101
	s_wait_alu 0xfffd
	v_add_co_ci_u32_e64 v101, null, s11, v32, vcc_lo
	v_add_co_u32 v102, vcc_lo, s8, v5
	v_add3_u32 v28, v28, v104, v103
	s_wait_alu 0xfffd
	v_add_co_ci_u32_e64 v103, null, s9, v6, vcc_lo
	v_add_co_u32 v104, vcc_lo, s10, v5
	;; [unrolled: 4-line block ×3, first 2 shown]
	v_lshlrev_b64_e32 v[5:6], 2, v[9:10]
	v_add3_u32 v4, v4, v107, v108
	s_wait_alu 0xfffd
	v_add_co_ci_u32_e64 v107, null, s9, v8, vcc_lo
	v_add_co_u32 v108, vcc_lo, s10, v7
	s_wait_alu 0xfffd
	v_add_co_ci_u32_e64 v109, null, s11, v8, vcc_lo
	v_lshlrev_b64_e32 v[7:8], 2, v[11:12]
	v_add_co_u32 v110, vcc_lo, s8, v5
	s_wait_alu 0xfffd
	v_add_co_ci_u32_e64 v111, null, s9, v6, vcc_lo
	v_add_co_u32 v112, vcc_lo, s10, v5
	s_wait_alu 0xfffd
	v_add_co_ci_u32_e64 v113, null, s11, v6, vcc_lo
	v_add_co_u32 v114, vcc_lo, s8, v7
	v_lshlrev_b64_e32 v[5:6], 2, v[13:14]
	v_mul_lo_u32 v33, s7, v19
	v_mul_lo_u32 v94, s6, v20
	v_mad_co_u64_u32 v[19:20], null, s6, v19, 0
	s_wait_alu 0xfffd
	v_add_co_ci_u32_e64 v115, null, s9, v8, vcc_lo
	v_add_co_u32 v116, vcc_lo, s10, v7
	s_wait_alu 0xfffd
	v_add_co_ci_u32_e64 v117, null, s11, v8, vcc_lo
	v_lshlrev_b64_e32 v[7:8], 2, v[15:16]
	v_add_co_u32 v118, vcc_lo, s8, v5
	s_wait_alu 0xfffd
	v_add_co_ci_u32_e64 v119, null, s9, v6, vcc_lo
	v_add_co_u32 v120, vcc_lo, s10, v5
	v_add3_u32 v20, v20, v94, v33
	s_wait_alu 0xfffd
	v_add_co_ci_u32_e64 v121, null, s11, v6, vcc_lo
	v_add_co_u32 v122, vcc_lo, s8, v7
	v_lshlrev_b64_e32 v[5:6], 2, v[17:18]
	s_wait_alu 0xfffd
	v_add_co_ci_u32_e64 v123, null, s9, v8, vcc_lo
	v_add_co_u32 v124, vcc_lo, s10, v7
	s_wait_alu 0xfffd
	v_add_co_ci_u32_e64 v125, null, s11, v8, vcc_lo
	v_lshlrev_b64_e32 v[7:8], 2, v[19:20]
	v_add_co_u32 v126, vcc_lo, s8, v5
	s_wait_alu 0xfffd
	v_add_co_ci_u32_e64 v127, null, s9, v6, vcc_lo
	v_add_co_u32 v128, vcc_lo, s10, v5
	s_wait_alu 0xfffd
	v_add_co_ci_u32_e64 v129, null, s11, v6, vcc_lo
	v_add_co_u32 v130, vcc_lo, s8, v7
	v_lshlrev_b64_e32 v[5:6], 2, v[21:22]
	s_wait_alu 0xfffd
	v_add_co_ci_u32_e64 v131, null, s9, v8, vcc_lo
	v_add_co_u32 v132, vcc_lo, s10, v7
	s_wait_alu 0xfffd
	v_add_co_ci_u32_e64 v133, null, s11, v8, vcc_lo
	v_lshlrev_b64_e32 v[7:8], 2, v[23:24]
	v_add_co_u32 v134, vcc_lo, s8, v5
	s_wait_alu 0xfffd
	v_add_co_ci_u32_e64 v135, null, s9, v6, vcc_lo
	v_add_co_u32 v136, vcc_lo, s10, v5
	s_wait_alu 0xfffd
	v_add_co_ci_u32_e64 v137, null, s11, v6, vcc_lo
	v_add_co_u32 v138, vcc_lo, s8, v7
	v_lshlrev_b64_e32 v[5:6], 2, v[25:26]
	s_wait_alu 0xfffd
	v_add_co_ci_u32_e64 v139, null, s9, v8, vcc_lo
	v_add_co_u32 v140, vcc_lo, s10, v7
	s_wait_alu 0xfffd
	v_add_co_ci_u32_e64 v141, null, s11, v8, vcc_lo
	v_lshlrev_b64_e32 v[7:8], 2, v[27:28]
	v_add_co_u32 v142, vcc_lo, s8, v5
	s_wait_alu 0xfffd
	v_add_co_ci_u32_e64 v143, null, s9, v6, vcc_lo
	v_add_co_u32 v144, vcc_lo, s10, v5
	v_lshlrev_b64_e32 v[3:4], 2, v[3:4]
	s_wait_alu 0xfffd
	v_add_co_ci_u32_e64 v145, null, s11, v6, vcc_lo
	v_add_co_u32 v146, vcc_lo, s8, v7
	s_wait_alu 0xfffd
	v_add_co_ci_u32_e64 v147, null, s9, v8, vcc_lo
	v_add_co_u32 v148, vcc_lo, s10, v7
	v_lshlrev_b64_e32 v[5:6], 2, v[29:30]
	s_wait_alu 0xfffd
	v_add_co_ci_u32_e64 v149, null, s11, v8, vcc_lo
	v_add_co_u32 v150, vcc_lo, s8, v3
	s_wait_alu 0xfffd
	v_add_co_ci_u32_e64 v151, null, s9, v4, vcc_lo
	v_add_co_u32 v152, vcc_lo, s10, v3
	v_lshlrev_b64_e32 v[2:3], 2, v[1:2]
	v_mov_b32_e32 v1, 0
	s_wait_alu 0xfffd
	v_add_co_ci_u32_e64 v153, null, s11, v4, vcc_lo
	v_add_co_u32 v154, vcc_lo, s8, v5
	s_wait_alu 0xfffd
	v_add_co_ci_u32_e64 v155, null, s9, v6, vcc_lo
	v_add_co_u32 v156, vcc_lo, s10, v5
	v_dual_mov_b32 v5, v1 :: v_dual_add_nc_u32 v4, s28, v158
	s_wait_alu 0xfffd
	v_add_co_ci_u32_e64 v157, null, s11, v6, vcc_lo
	v_add_co_u32 v159, vcc_lo, s8, v2
	s_mov_b32 s3, 0
	s_wait_alu 0xfffd
	v_add_co_ci_u32_e64 v160, null, s9, v3, vcc_lo
	v_add_co_u32 v161, vcc_lo, s10, v2
	s_wait_kmcnt 0x0
	s_lshl_b32 s8, s2, 8
	s_wait_alu 0xfffe
	s_mov_b32 s9, s3
	v_lshlrev_b64_e32 v[94:95], 2, v[4:5]
	s_wait_alu 0xfffd
	v_add_co_ci_u32_e64 v162, null, s11, v3, vcc_lo
	s_wait_alu 0xfffe
	s_mul_u64 s[16:17], s[6:7], s[8:9]
	s_add_nc_u64 s[10:11], s[0:1], 64
	s_wait_alu 0xfffe
	s_lshl_b64 s[16:17], s[16:17], 2
.LBB151_85:                             ; =>This Inner Loop Header: Depth=1
	v_cmp_ge_i64_e64 s2, s[18:19], s[4:5]
	v_add_co_u32 v164, s20, v97, s18
	s_wait_alu 0xf1ff
	v_add_co_ci_u32_e64 v165, null, 0, s19, s20
                                        ; implicit-def: $vgpr166
	s_and_b32 vcc_lo, exec_lo, s2
	s_mov_b32 s2, -1
	s_wait_alu 0xfffe
	s_cbranch_vccz .LBB151_123
; %bb.86:                               ;   in Loop: Header=BB151_85 Depth=1
	s_load_b32 s2, s[10:11], 0xc
	v_mov_b32_e32 v167, 0
	s_wait_kmcnt 0x0
	s_and_b32 s2, s2, 0xffff
	s_wait_alu 0xfffe
	v_mad_u32_u24 v2, v96, s2, v158
	s_mov_b32 s2, exec_lo
	s_delay_alu instid0(VALU_DEP_1) | instskip(NEXT) | instid1(VALU_DEP_1)
	v_and_b32_e32 v2, 31, v2
	v_cmpx_gt_u32_e32 16, v2
	s_cbranch_execz .LBB151_90
; %bb.87:                               ;   in Loop: Header=BB151_85 Depth=1
	v_add_co_u32 v2, vcc_lo, v164, v2
	s_wait_alu 0xfffd
	v_add_co_ci_u32_e64 v3, null, 0, v165, vcc_lo
	v_mov_b32_e32 v167, 0
	s_delay_alu instid0(VALU_DEP_3) | instskip(SKIP_1) | instid1(VALU_DEP_3)
	v_add_co_u32 v2, vcc_lo, 0xffffff01, v2
	s_wait_alu 0xfffd
	v_add_co_ci_u32_e64 v3, null, -1, v3, vcc_lo
	s_mov_b32 s20, exec_lo
	v_cmpx_gt_i64_e64 s[4:5], v[2:3]
	s_cbranch_execz .LBB151_89
; %bb.88:                               ;   in Loop: Header=BB151_85 Depth=1
	v_lshlrev_b64_e32 v[2:3], 2, v[2:3]
	s_delay_alu instid0(VALU_DEP_1) | instskip(SKIP_1) | instid1(VALU_DEP_2)
	v_add_co_u32 v2, vcc_lo, s12, v2
	s_wait_alu 0xfffd
	v_add_co_ci_u32_e64 v3, null, s13, v3, vcc_lo
	global_load_b32 v167, v[2:3], off
.LBB151_89:                             ;   in Loop: Header=BB151_85 Depth=1
	s_wait_alu 0xfffe
	s_or_b32 exec_lo, exec_lo, s20
.LBB151_90:                             ;   in Loop: Header=BB151_85 Depth=1
	s_wait_alu 0xfffe
	s_or_b32 exec_lo, exec_lo, s2
	v_add_co_u32 v17, vcc_lo, 0xffffff01, v164
	s_wait_alu 0xfffd
	v_add_co_ci_u32_e64 v18, null, -1, v165, vcc_lo
	v_mov_b32_e32 v16, v1
	v_dual_mov_b32 v2, v1 :: v_dual_mov_b32 v3, v1
	v_dual_mov_b32 v4, v1 :: v_dual_mov_b32 v5, v1
	;; [unrolled: 1-line block ×7, first 2 shown]
	v_cmp_gt_i64_e32 vcc_lo, s[4:5], v[17:18]
	s_delay_alu instid0(VALU_DEP_3) | instskip(NEXT) | instid1(VALU_DEP_3)
	v_dual_mov_b32 v33, v16 :: v_dual_mov_b32 v30, v13
	v_dual_mov_b32 v31, v14 :: v_dual_mov_b32 v32, v15
	;; [unrolled: 1-line block ×8, first 2 shown]
	v_mov_b32_e32 v17, v16
	v_mov_b32_e32 v16, v15
	;; [unrolled: 1-line block ×16, first 2 shown]
	s_and_saveexec_b32 s2, vcc_lo
	s_cbranch_execz .LBB151_92
; %bb.91:                               ;   in Loop: Header=BB151_85 Depth=1
	v_add_co_u32 v2, vcc_lo, v98, v94
	s_wait_alu 0xfffd
	v_add_co_ci_u32_e64 v3, null, v99, v95, vcc_lo
	v_add_co_u32 v4, vcc_lo, v100, v94
	s_wait_alu 0xfffd
	v_add_co_ci_u32_e64 v5, null, v101, v95, vcc_lo
	global_load_b32 v2, v[2:3], off
	global_load_b32 v18, v[4:5], off
	v_dual_mov_b32 v3, v1 :: v_dual_mov_b32 v4, v1
	v_dual_mov_b32 v5, v1 :: v_dual_mov_b32 v6, v1
	;; [unrolled: 1-line block ×14, first 2 shown]
	v_mov_b32_e32 v31, v1
	v_mov_b32_e32 v33, v1
.LBB151_92:                             ;   in Loop: Header=BB151_85 Depth=1
	s_wait_alu 0xfffe
	s_or_b32 exec_lo, exec_lo, s2
	v_add_co_u32 v168, vcc_lo, 0xffffff02, v164
	s_wait_alu 0xfffd
	v_add_co_ci_u32_e64 v169, null, -1, v165, vcc_lo
	s_mov_b32 s2, exec_lo
	v_cmpx_gt_i64_e64 s[4:5], v[168:169]
	s_cbranch_execz .LBB151_94
; %bb.93:                               ;   in Loop: Header=BB151_85 Depth=1
	v_add_co_u32 v168, vcc_lo, v159, v94
	s_wait_alu 0xfffd
	v_add_co_ci_u32_e64 v169, null, v160, v95, vcc_lo
	v_add_co_u32 v170, vcc_lo, v161, v94
	s_wait_alu 0xfffd
	v_add_co_ci_u32_e64 v171, null, v162, v95, vcc_lo
	global_load_b32 v3, v[168:169], off
	global_load_b32 v19, v[170:171], off
.LBB151_94:                             ;   in Loop: Header=BB151_85 Depth=1
	s_wait_alu 0xfffe
	s_or_b32 exec_lo, exec_lo, s2
	v_add_co_u32 v168, vcc_lo, 0xffffff03, v164
	s_wait_alu 0xfffd
	v_add_co_ci_u32_e64 v169, null, -1, v165, vcc_lo
	s_mov_b32 s2, exec_lo
	v_cmpx_gt_i64_e64 s[4:5], v[168:169]
	s_cbranch_execz .LBB151_96
; %bb.95:                               ;   in Loop: Header=BB151_85 Depth=1
	v_add_co_u32 v168, vcc_lo, v154, v94
	s_wait_alu 0xfffd
	v_add_co_ci_u32_e64 v169, null, v155, v95, vcc_lo
	v_add_co_u32 v170, vcc_lo, v156, v94
	s_wait_alu 0xfffd
	v_add_co_ci_u32_e64 v171, null, v157, v95, vcc_lo
	global_load_b32 v4, v[168:169], off
	global_load_b32 v20, v[170:171], off
.LBB151_96:                             ;   in Loop: Header=BB151_85 Depth=1
	;; [unrolled: 18-line block ×3, first 2 shown]
	s_wait_alu 0xfffe
	s_or_b32 exec_lo, exec_lo, s2
	v_add_co_u32 v168, vcc_lo, 0xffffff05, v164
	s_wait_alu 0xfffd
	v_add_co_ci_u32_e64 v169, null, -1, v165, vcc_lo
	s_mov_b32 s2, exec_lo
	v_cmpx_gt_i64_e64 s[4:5], v[168:169]
	s_cbranch_execz .LBB151_100
; %bb.99:                               ;   in Loop: Header=BB151_85 Depth=1
	v_add_co_u32 v168, vcc_lo, v146, v94
	s_wait_alu 0xfffd
	v_add_co_ci_u32_e64 v169, null, v147, v95, vcc_lo
	v_add_co_u32 v170, vcc_lo, v148, v94
	s_wait_alu 0xfffd
	v_add_co_ci_u32_e64 v171, null, v149, v95, vcc_lo
	global_load_b32 v6, v[168:169], off
	global_load_b32 v22, v[170:171], off
.LBB151_100:                            ;   in Loop: Header=BB151_85 Depth=1
	s_wait_alu 0xfffe
	s_or_b32 exec_lo, exec_lo, s2
	v_add_co_u32 v168, vcc_lo, 0xffffff06, v164
	s_wait_alu 0xfffd
	v_add_co_ci_u32_e64 v169, null, -1, v165, vcc_lo
	s_mov_b32 s2, exec_lo
	v_cmpx_gt_i64_e64 s[4:5], v[168:169]
	s_cbranch_execz .LBB151_102
; %bb.101:                              ;   in Loop: Header=BB151_85 Depth=1
	v_add_co_u32 v168, vcc_lo, v142, v94
	s_wait_alu 0xfffd
	v_add_co_ci_u32_e64 v169, null, v143, v95, vcc_lo
	v_add_co_u32 v170, vcc_lo, v144, v94
	s_wait_alu 0xfffd
	v_add_co_ci_u32_e64 v171, null, v145, v95, vcc_lo
	global_load_b32 v7, v[168:169], off
	global_load_b32 v23, v[170:171], off
.LBB151_102:                            ;   in Loop: Header=BB151_85 Depth=1
	s_wait_alu 0xfffe
	s_or_b32 exec_lo, exec_lo, s2
	v_add_co_u32 v168, vcc_lo, 0xffffff07, v164
	s_wait_alu 0xfffd
	v_add_co_ci_u32_e64 v169, null, -1, v165, vcc_lo
	s_mov_b32 s2, exec_lo
	v_cmpx_gt_i64_e64 s[4:5], v[168:169]
	s_cbranch_execz .LBB151_104
; %bb.103:                              ;   in Loop: Header=BB151_85 Depth=1
	v_add_co_u32 v168, vcc_lo, v138, v94
	s_wait_alu 0xfffd
	v_add_co_ci_u32_e64 v169, null, v139, v95, vcc_lo
	v_add_co_u32 v170, vcc_lo, v140, v94
	s_wait_alu 0xfffd
	v_add_co_ci_u32_e64 v171, null, v141, v95, vcc_lo
	global_load_b32 v8, v[168:169], off
	global_load_b32 v24, v[170:171], off
.LBB151_104:                            ;   in Loop: Header=BB151_85 Depth=1
	;; [unrolled: 18-line block ×11, first 2 shown]
	s_wait_alu 0xfffe
	s_or_b32 exec_lo, exec_lo, s2
	s_wait_loadcnt 0x0
	ds_bpermute_b32 v166, v1, v167
	ds_bpermute_b32 v168, v1, v167 offset:4
	ds_bpermute_b32 v169, v1, v167 offset:8
	v_dual_mul_f32 v2, v18, v2 :: v_dual_mul_f32 v3, v19, v3
	ds_bpermute_b32 v18, v1, v167 offset:12
	ds_bpermute_b32 v19, v1, v167 offset:16
	s_mov_b32 s2, 0
	s_wait_dscnt 0x4
	v_fma_f32 v166, v2, v166, v163
	v_mul_f32_e32 v2, v20, v4
	ds_bpermute_b32 v4, v1, v167 offset:20
	s_wait_dscnt 0x4
	v_dual_fmac_f32 v166, v3, v168 :: v_dual_mul_f32 v3, v21, v5
	ds_bpermute_b32 v5, v1, v167 offset:24
	s_wait_dscnt 0x4
	v_fmac_f32_e32 v166, v2, v169
	v_mul_f32_e32 v2, v22, v6
	ds_bpermute_b32 v6, v1, v167 offset:28
	s_wait_dscnt 0x4
	v_fmac_f32_e32 v166, v3, v18
	v_mul_f32_e32 v3, v23, v7
	;; [unrolled: 4-line block ×3, first 2 shown]
	ds_bpermute_b32 v8, v1, v167 offset:36
	s_wait_dscnt 0x4
	v_dual_fmac_f32 v166, v3, v4 :: v_dual_mul_f32 v3, v25, v9
	ds_bpermute_b32 v4, v1, v167 offset:40
	s_wait_dscnt 0x4
	v_fmac_f32_e32 v166, v2, v5
	v_mul_f32_e32 v2, v26, v10
	ds_bpermute_b32 v5, v1, v167 offset:44
	s_wait_dscnt 0x4
	v_fmac_f32_e32 v166, v3, v6
	v_mul_f32_e32 v3, v27, v11
	;; [unrolled: 4-line block ×3, first 2 shown]
	ds_bpermute_b32 v7, v1, v167 offset:52
	s_wait_dscnt 0x4
	v_dual_fmac_f32 v166, v3, v8 :: v_dual_mul_f32 v3, v29, v13
	ds_bpermute_b32 v8, v1, v167 offset:56
	s_wait_dscnt 0x4
	v_fmac_f32_e32 v166, v2, v4
	v_mul_f32_e32 v2, v30, v14
	v_mul_f32_e32 v4, v31, v15
	s_wait_dscnt 0x3
	s_delay_alu instid0(VALU_DEP_3)
	v_fmac_f32_e32 v166, v3, v5
	ds_bpermute_b32 v3, v1, v167 offset:60
	s_wait_dscnt 0x3
	v_fmac_f32_e32 v166, v2, v6
	v_mul_f32_e32 v2, v32, v16
	s_wait_dscnt 0x2
	s_delay_alu instid0(VALU_DEP_2) | instskip(SKIP_1) | instid1(VALU_DEP_1)
	v_fmac_f32_e32 v166, v4, v7
	s_wait_dscnt 0x1
	v_fmac_f32_e32 v166, v2, v8
	v_mul_f32_e32 v2, v33, v17
	s_wait_dscnt 0x0
	s_delay_alu instid0(VALU_DEP_1)
	v_fmac_f32_e32 v166, v2, v3
.LBB151_123:                            ;   in Loop: Header=BB151_85 Depth=1
	s_wait_alu 0xfffe
	s_and_b32 vcc_lo, exec_lo, s2
	s_wait_alu 0xfffe
	s_cbranch_vccz .LBB151_129
; %bb.124:                              ;   in Loop: Header=BB151_85 Depth=1
	s_load_b32 s2, s[10:11], 0x0
	v_mov_b32_e32 v4, 0
	s_wait_kmcnt 0x0
	s_cmp_lt_u32 ttmp9, s2
	s_cselect_b32 s2, 12, 18
	s_wait_alu 0xfffe
	s_add_nc_u64 s[20:21], s[10:11], s[2:3]
	s_load_u16 s2, s[20:21], 0x0
	s_wait_kmcnt 0x0
	v_mad_u32_u24 v2, v96, s2, v158
	s_mov_b32 s2, exec_lo
	s_delay_alu instid0(VALU_DEP_1) | instskip(NEXT) | instid1(VALU_DEP_1)
	v_and_b32_e32 v2, 31, v2
	v_cmpx_gt_u32_e32 16, v2
	s_cbranch_execz .LBB151_128
; %bb.125:                              ;   in Loop: Header=BB151_85 Depth=1
	v_add_co_u32 v2, vcc_lo, v164, v2
	s_wait_alu 0xfffd
	v_add_co_ci_u32_e64 v3, null, 0, v165, vcc_lo
	v_mov_b32_e32 v4, 0
	s_delay_alu instid0(VALU_DEP_3) | instskip(SKIP_1) | instid1(VALU_DEP_3)
	v_add_co_u32 v2, vcc_lo, 0xffffff01, v2
	s_wait_alu 0xfffd
	v_add_co_ci_u32_e64 v3, null, -1, v3, vcc_lo
	s_mov_b32 s20, exec_lo
	v_cmpx_gt_i64_e64 s[4:5], v[2:3]
	s_cbranch_execz .LBB151_127
; %bb.126:                              ;   in Loop: Header=BB151_85 Depth=1
	v_lshlrev_b64_e32 v[2:3], 2, v[2:3]
	s_delay_alu instid0(VALU_DEP_1) | instskip(SKIP_1) | instid1(VALU_DEP_2)
	v_add_co_u32 v2, vcc_lo, s12, v2
	s_wait_alu 0xfffd
	v_add_co_ci_u32_e64 v3, null, s13, v3, vcc_lo
	global_load_b32 v4, v[2:3], off
.LBB151_127:                            ;   in Loop: Header=BB151_85 Depth=1
	s_wait_alu 0xfffe
	s_or_b32 exec_lo, exec_lo, s20
.LBB151_128:                            ;   in Loop: Header=BB151_85 Depth=1
	s_wait_alu 0xfffe
	s_or_b32 exec_lo, exec_lo, s2
	v_add_co_u32 v2, vcc_lo, v98, v94
	s_wait_alu 0xfffd
	v_add_co_ci_u32_e64 v3, null, v99, v95, vcc_lo
	global_load_b32 v5, v[2:3], off
	v_add_co_u32 v2, vcc_lo, v100, v94
	s_wait_alu 0xfffd
	v_add_co_ci_u32_e64 v3, null, v101, v95, vcc_lo
	global_load_b32 v6, v[2:3], off
	;; [unrolled: 4-line block ×32, first 2 shown]
	s_wait_loadcnt 0x20
	ds_bpermute_b32 v3, v1, v4
	s_wait_loadcnt 0x1e
	v_mul_f32_e32 v5, v5, v6
	s_wait_dscnt 0x0
	s_delay_alu instid0(VALU_DEP_1) | instskip(SKIP_4) | instid1(VALU_DEP_1)
	v_fmac_f32_e32 v163, v5, v3
	ds_bpermute_b32 v3, v1, v4 offset:4
	s_wait_loadcnt 0x0
	v_dual_mul_f32 v5, v7, v8 :: v_dual_mul_f32 v2, v165, v2
	s_wait_dscnt 0x0
	v_fmac_f32_e32 v163, v5, v3
	ds_bpermute_b32 v3, v1, v4 offset:8
	v_mul_f32_e32 v5, v9, v10
	s_wait_dscnt 0x0
	s_delay_alu instid0(VALU_DEP_1) | instskip(SKIP_3) | instid1(VALU_DEP_1)
	v_fmac_f32_e32 v163, v5, v3
	ds_bpermute_b32 v3, v1, v4 offset:12
	v_mul_f32_e32 v5, v11, v12
	s_wait_dscnt 0x0
	v_fmac_f32_e32 v163, v5, v3
	ds_bpermute_b32 v3, v1, v4 offset:16
	v_mul_f32_e32 v5, v13, v14
	s_wait_dscnt 0x0
	s_delay_alu instid0(VALU_DEP_1) | instskip(SKIP_3) | instid1(VALU_DEP_1)
	v_fmac_f32_e32 v163, v5, v3
	ds_bpermute_b32 v3, v1, v4 offset:20
	v_mul_f32_e32 v5, v15, v16
	;; [unrolled: 9-line block ×6, first 2 shown]
	s_wait_dscnt 0x0
	v_fmac_f32_e32 v163, v5, v3
	ds_bpermute_b32 v3, v1, v4 offset:56
	v_mul_f32_e32 v5, v33, v164
	s_wait_dscnt 0x0
	s_delay_alu instid0(VALU_DEP_1) | instskip(SKIP_3) | instid1(VALU_DEP_1)
	v_fmac_f32_e32 v163, v5, v3
	ds_bpermute_b32 v3, v1, v4 offset:60
	s_wait_dscnt 0x0
	v_fmac_f32_e32 v163, v2, v3
	v_mov_b32_e32 v166, v163
.LBB151_129:                            ;   in Loop: Header=BB151_85 Depth=1
	v_add_co_u32 v98, vcc_lo, v98, s16
	s_wait_alu 0xfffd
	v_add_co_ci_u32_e64 v99, null, s17, v99, vcc_lo
	v_add_co_u32 v100, vcc_lo, v100, s16
	s_wait_alu 0xfffd
	v_add_co_ci_u32_e64 v101, null, s17, v101, vcc_lo
	v_add_co_u32 v34, vcc_lo, v34, s16
	s_wait_alu 0xfffd
	v_add_co_ci_u32_e64 v35, null, s17, v35, vcc_lo
	v_add_co_u32 v36, vcc_lo, v36, s16
	s_wait_alu 0xfffd
	v_add_co_ci_u32_e64 v37, null, s17, v37, vcc_lo
	v_add_co_u32 v38, vcc_lo, v38, s16
	s_wait_alu 0xfffd
	v_add_co_ci_u32_e64 v39, null, s17, v39, vcc_lo
	v_add_co_u32 v40, vcc_lo, v40, s16
	s_wait_alu 0xfffd
	v_add_co_ci_u32_e64 v41, null, s17, v41, vcc_lo
	v_add_co_u32 v42, vcc_lo, v42, s16
	s_wait_alu 0xfffd
	v_add_co_ci_u32_e64 v43, null, s17, v43, vcc_lo
	v_add_co_u32 v44, vcc_lo, v44, s16
	s_wait_alu 0xfffd
	v_add_co_ci_u32_e64 v45, null, s17, v45, vcc_lo
	v_add_co_u32 v46, vcc_lo, v46, s16
	s_wait_alu 0xfffd
	v_add_co_ci_u32_e64 v47, null, s17, v47, vcc_lo
	v_add_co_u32 v48, vcc_lo, v48, s16
	s_wait_alu 0xfffd
	v_add_co_ci_u32_e64 v49, null, s17, v49, vcc_lo
	v_add_co_u32 v50, vcc_lo, v50, s16
	s_wait_alu 0xfffd
	v_add_co_ci_u32_e64 v51, null, s17, v51, vcc_lo
	v_add_co_u32 v52, vcc_lo, v52, s16
	s_wait_alu 0xfffd
	v_add_co_ci_u32_e64 v53, null, s17, v53, vcc_lo
	v_add_co_u32 v54, vcc_lo, v54, s16
	s_wait_alu 0xfffd
	v_add_co_ci_u32_e64 v55, null, s17, v55, vcc_lo
	v_add_co_u32 v56, vcc_lo, v56, s16
	s_wait_alu 0xfffd
	v_add_co_ci_u32_e64 v57, null, s17, v57, vcc_lo
	v_add_co_u32 v58, vcc_lo, v58, s16
	s_wait_alu 0xfffd
	v_add_co_ci_u32_e64 v59, null, s17, v59, vcc_lo
	v_add_co_u32 v60, vcc_lo, v60, s16
	s_wait_alu 0xfffd
	v_add_co_ci_u32_e64 v61, null, s17, v61, vcc_lo
	v_add_co_u32 v62, vcc_lo, v62, s16
	s_wait_alu 0xfffd
	v_add_co_ci_u32_e64 v63, null, s17, v63, vcc_lo
	v_add_co_u32 v64, vcc_lo, v64, s16
	s_wait_alu 0xfffd
	v_add_co_ci_u32_e64 v65, null, s17, v65, vcc_lo
	v_add_co_u32 v66, vcc_lo, v66, s16
	s_wait_alu 0xfffd
	v_add_co_ci_u32_e64 v67, null, s17, v67, vcc_lo
	v_add_co_u32 v68, vcc_lo, v68, s16
	s_wait_alu 0xfffd
	v_add_co_ci_u32_e64 v69, null, s17, v69, vcc_lo
	v_add_co_u32 v70, vcc_lo, v70, s16
	s_wait_alu 0xfffd
	v_add_co_ci_u32_e64 v71, null, s17, v71, vcc_lo
	v_add_co_u32 v72, vcc_lo, v72, s16
	s_wait_alu 0xfffd
	v_add_co_ci_u32_e64 v73, null, s17, v73, vcc_lo
	v_add_co_u32 v74, vcc_lo, v74, s16
	s_wait_alu 0xfffd
	v_add_co_ci_u32_e64 v75, null, s17, v75, vcc_lo
	v_add_co_u32 v76, vcc_lo, v76, s16
	s_wait_alu 0xfffd
	v_add_co_ci_u32_e64 v77, null, s17, v77, vcc_lo
	v_add_co_u32 v78, vcc_lo, v78, s16
	s_wait_alu 0xfffd
	v_add_co_ci_u32_e64 v79, null, s17, v79, vcc_lo
	v_add_co_u32 v80, vcc_lo, v80, s16
	s_wait_alu 0xfffd
	v_add_co_ci_u32_e64 v81, null, s17, v81, vcc_lo
	v_add_co_u32 v82, vcc_lo, v82, s16
	s_wait_alu 0xfffd
	v_add_co_ci_u32_e64 v83, null, s17, v83, vcc_lo
	v_add_co_u32 v84, vcc_lo, v84, s16
	s_wait_alu 0xfffd
	v_add_co_ci_u32_e64 v85, null, s17, v85, vcc_lo
	v_add_co_u32 v86, vcc_lo, v86, s16
	s_wait_alu 0xfffd
	v_add_co_ci_u32_e64 v87, null, s17, v87, vcc_lo
	v_add_co_u32 v88, vcc_lo, v88, s16
	s_wait_alu 0xfffd
	v_add_co_ci_u32_e64 v89, null, s17, v89, vcc_lo
	v_add_co_u32 v90, vcc_lo, v90, s16
	s_wait_alu 0xfffd
	v_add_co_ci_u32_e64 v91, null, s17, v91, vcc_lo
	v_add_co_u32 v92, vcc_lo, v92, s16
	s_wait_alu 0xfffd
	v_add_co_ci_u32_e64 v93, null, s17, v93, vcc_lo
	v_add_co_u32 v102, vcc_lo, v102, s16
	s_wait_alu 0xfffd
	v_add_co_ci_u32_e64 v103, null, s17, v103, vcc_lo
	v_add_co_u32 v104, vcc_lo, v104, s16
	s_wait_alu 0xfffd
	v_add_co_ci_u32_e64 v105, null, s17, v105, vcc_lo
	v_add_co_u32 v106, vcc_lo, v106, s16
	s_wait_alu 0xfffd
	v_add_co_ci_u32_e64 v107, null, s17, v107, vcc_lo
	v_add_co_u32 v108, vcc_lo, v108, s16
	s_wait_alu 0xfffd
	v_add_co_ci_u32_e64 v109, null, s17, v109, vcc_lo
	v_add_co_u32 v110, vcc_lo, v110, s16
	s_wait_alu 0xfffd
	v_add_co_ci_u32_e64 v111, null, s17, v111, vcc_lo
	v_add_co_u32 v112, vcc_lo, v112, s16
	s_wait_alu 0xfffd
	v_add_co_ci_u32_e64 v113, null, s17, v113, vcc_lo
	v_add_co_u32 v114, vcc_lo, v114, s16
	s_wait_alu 0xfffd
	v_add_co_ci_u32_e64 v115, null, s17, v115, vcc_lo
	v_add_co_u32 v116, vcc_lo, v116, s16
	s_wait_alu 0xfffd
	v_add_co_ci_u32_e64 v117, null, s17, v117, vcc_lo
	v_add_co_u32 v118, vcc_lo, v118, s16
	s_wait_alu 0xfffd
	v_add_co_ci_u32_e64 v119, null, s17, v119, vcc_lo
	v_add_co_u32 v120, vcc_lo, v120, s16
	s_wait_alu 0xfffd
	v_add_co_ci_u32_e64 v121, null, s17, v121, vcc_lo
	v_add_co_u32 v122, vcc_lo, v122, s16
	s_wait_alu 0xfffd
	v_add_co_ci_u32_e64 v123, null, s17, v123, vcc_lo
	v_add_co_u32 v124, vcc_lo, v124, s16
	s_wait_alu 0xfffd
	v_add_co_ci_u32_e64 v125, null, s17, v125, vcc_lo
	v_add_co_u32 v126, vcc_lo, v126, s16
	s_wait_alu 0xfffd
	v_add_co_ci_u32_e64 v127, null, s17, v127, vcc_lo
	v_add_co_u32 v128, vcc_lo, v128, s16
	s_wait_alu 0xfffd
	v_add_co_ci_u32_e64 v129, null, s17, v129, vcc_lo
	v_add_co_u32 v130, vcc_lo, v130, s16
	s_wait_alu 0xfffd
	v_add_co_ci_u32_e64 v131, null, s17, v131, vcc_lo
	v_add_co_u32 v132, vcc_lo, v132, s16
	s_wait_alu 0xfffd
	v_add_co_ci_u32_e64 v133, null, s17, v133, vcc_lo
	v_add_co_u32 v134, vcc_lo, v134, s16
	s_wait_alu 0xfffd
	v_add_co_ci_u32_e64 v135, null, s17, v135, vcc_lo
	v_add_co_u32 v136, vcc_lo, v136, s16
	s_wait_alu 0xfffd
	v_add_co_ci_u32_e64 v137, null, s17, v137, vcc_lo
	v_add_co_u32 v138, vcc_lo, v138, s16
	s_wait_alu 0xfffd
	v_add_co_ci_u32_e64 v139, null, s17, v139, vcc_lo
	v_add_co_u32 v140, vcc_lo, v140, s16
	s_wait_alu 0xfffd
	v_add_co_ci_u32_e64 v141, null, s17, v141, vcc_lo
	v_add_co_u32 v142, vcc_lo, v142, s16
	s_wait_alu 0xfffd
	v_add_co_ci_u32_e64 v143, null, s17, v143, vcc_lo
	v_add_co_u32 v144, vcc_lo, v144, s16
	s_wait_alu 0xfffd
	v_add_co_ci_u32_e64 v145, null, s17, v145, vcc_lo
	v_add_co_u32 v146, vcc_lo, v146, s16
	s_wait_alu 0xfffd
	v_add_co_ci_u32_e64 v147, null, s17, v147, vcc_lo
	v_add_co_u32 v148, vcc_lo, v148, s16
	s_wait_alu 0xfffd
	v_add_co_ci_u32_e64 v149, null, s17, v149, vcc_lo
	v_add_co_u32 v150, vcc_lo, v150, s16
	s_wait_alu 0xfffd
	v_add_co_ci_u32_e64 v151, null, s17, v151, vcc_lo
	v_add_co_u32 v152, vcc_lo, v152, s16
	s_wait_alu 0xfffd
	v_add_co_ci_u32_e64 v153, null, s17, v153, vcc_lo
	v_add_co_u32 v154, vcc_lo, v154, s16
	s_wait_alu 0xfffd
	v_add_co_ci_u32_e64 v155, null, s17, v155, vcc_lo
	v_add_co_u32 v156, vcc_lo, v156, s16
	s_add_nc_u64 s[14:15], s[14:15], s[8:9]
	s_wait_alu 0xfffd
	v_add_co_ci_u32_e64 v157, null, s17, v157, vcc_lo
	v_add_co_u32 v159, vcc_lo, v159, s16
	s_wait_alu 0xfffe
	v_cmp_ge_i64_e64 s2, s[14:15], s[4:5]
	s_wait_alu 0xfffd
	v_add_co_ci_u32_e64 v160, null, s17, v160, vcc_lo
	v_add_co_u32 v161, vcc_lo, v161, s16
	s_wait_alu 0xfffd
	v_add_co_ci_u32_e64 v162, null, s17, v162, vcc_lo
	s_and_b32 vcc_lo, exec_lo, s2
	s_add_nc_u64 s[18:19], s[18:19], s[8:9]
	s_wait_alu 0xfffe
	s_cbranch_vccnz .LBB151_131
; %bb.130:                              ;   in Loop: Header=BB151_85 Depth=1
	v_mov_b32_e32 v163, v166
	s_branch .LBB151_85
.LBB151_131:
	v_dual_mov_b32 v4, 0 :: v_dual_and_b32 v5, 0x3ff, v0
	v_bfe_u32 v0, v0, 10, 10
	s_mov_b32 s2, exec_lo
	s_delay_alu instid0(VALU_DEP_1) | instskip(NEXT) | instid1(VALU_DEP_1)
	v_mad_u32_u24 v1, 0x41, v0, v5
	v_lshl_add_u32 v2, v1, 2, 0
	v_sub_nc_u32_e32 v3, v1, v0
	ds_store_b32 v2, v166
	ds_store_b32 v2, v4 offset:4160
	s_wait_dscnt 0x0
	s_barrier_signal -1
	s_barrier_wait -1
	global_inv scope:SCOPE_SE
	v_cmpx_gt_u32_e32 0x800, v3
	s_cbranch_execz .LBB151_141
; %bb.132:
	s_load_b64 s[2:3], s[0:1], 0x30
	v_and_b32_e32 v0, 31, v5
	v_lshrrev_b32_e32 v2, 5, v3
	s_delay_alu instid0(VALU_DEP_2)
	v_cmp_gt_u32_e32 vcc_lo, 16, v0
	v_mul_u32_u24_e32 v4, 0x41, v0
                                        ; implicit-def: $vgpr0
	s_and_saveexec_b32 s0, vcc_lo
	s_cbranch_execz .LBB151_134
; %bb.133:
	v_lshlrev_b32_e32 v0, 2, v2
	s_delay_alu instid0(VALU_DEP_2) | instskip(NEXT) | instid1(VALU_DEP_1)
	v_lshlrev_b32_e32 v1, 2, v4
	v_add3_u32 v0, 0, v0, v1
	ds_load_b32 v0, v0
.LBB151_134:
	s_or_b32 exec_lo, exec_lo, s0
	v_mbcnt_lo_u32_b32 v1, -1, 0
	s_mov_b32 s4, ttmp9
	s_mov_b32 s5, 0
	s_wait_alu 0xfffe
	s_lshl_b64 s[4:5], s[4:5], 6
	v_xor_b32_e32 v6, 8, v1
	v_xor_b32_e32 v7, 4, v1
	;; [unrolled: 1-line block ×3, first 2 shown]
	s_wait_kmcnt 0x0
	s_cmp_eq_u64 s[2:3], 0
	s_cselect_b32 s8, -1, 0
	v_cmp_gt_i32_e64 s0, 32, v6
	s_delay_alu instid0(VALU_DEP_1) | instskip(SKIP_1) | instid1(VALU_DEP_2)
	v_cndmask_b32_e64 v6, v1, v6, s0
	v_cmp_gt_i32_e64 s0, 32, v7
	v_lshlrev_b32_e32 v6, 2, v6
	s_wait_alu 0xf1ff
	s_delay_alu instid0(VALU_DEP_2)
	v_cndmask_b32_e64 v7, v1, v7, s0
	s_wait_dscnt 0x0
	ds_bpermute_b32 v8, v6, v0
	s_wait_dscnt 0x0
	v_dual_add_f32 v0, v0, v8 :: v_dual_lshlrev_b32 v7, 2, v7
	v_xor_b32_e32 v8, 2, v1
	ds_bpermute_b32 v9, v7, v0
	v_cmp_gt_i32_e64 s0, 32, v8
	s_wait_alu 0xf1ff
	s_delay_alu instid0(VALU_DEP_1) | instskip(SKIP_1) | instid1(VALU_DEP_2)
	v_cndmask_b32_e64 v8, v1, v8, s0
	v_cmp_gt_i32_e64 s0, 32, v10
	v_lshlrev_b32_e32 v8, 2, v8
	s_wait_alu 0xf1ff
	s_delay_alu instid0(VALU_DEP_2)
	v_cndmask_b32_e64 v1, v1, v10, s0
	v_cmp_ne_u32_e64 s0, 0, v5
	s_wait_dscnt 0x0
	v_add_f32_e32 v0, v0, v9
	ds_bpermute_b32 v9, v8, v0
	s_wait_dscnt 0x0
	v_add_f32_e32 v10, v0, v9
	v_lshlrev_b32_e32 v9, 2, v1
	s_wait_alu 0xfffe
	v_or_b32_e32 v0, s4, v2
	v_mov_b32_e32 v1, s5
	ds_bpermute_b32 v11, v9, v10
	v_cmp_le_i64_e64 s1, s[6:7], v[0:1]
	s_or_b32 s1, s0, s1
	s_wait_alu 0xfffe
	s_nor_b32 s1, s8, s1
	s_wait_dscnt 0x0
	v_add_f32_e32 v5, v10, v11
	s_wait_alu 0xfffe
	s_and_saveexec_b32 s9, s1
	s_cbranch_execz .LBB151_136
; %bb.135:
	v_lshlrev_b64_e32 v[0:1], 2, v[0:1]
	s_delay_alu instid0(VALU_DEP_1) | instskip(SKIP_1) | instid1(VALU_DEP_2)
	v_add_co_u32 v0, s1, s2, v0
	s_wait_alu 0xf1ff
	v_add_co_ci_u32_e64 v1, null, s3, v1, s1
	global_store_b32 v[0:1], v5, off
.LBB151_136:
	s_wait_alu 0xfffe
	s_or_b32 exec_lo, exec_lo, s9
	v_cmp_gt_u32_e64 s1, 0x400, v3
	s_and_b32 exec_lo, exec_lo, s1
	s_cbranch_execz .LBB151_141
; %bb.137:
	s_and_saveexec_b32 s1, vcc_lo
	s_cbranch_execz .LBB151_139
; %bb.138:
	v_lshlrev_b32_e32 v0, 2, v2
	v_lshlrev_b32_e32 v1, 2, v4
	s_delay_alu instid0(VALU_DEP_1)
	v_add3_u32 v0, 0, v0, v1
	ds_load_b32 v5, v0 offset:128
.LBB151_139:
	s_wait_alu 0xfffe
	s_or_b32 exec_lo, exec_lo, s1
	s_wait_dscnt 0x0
	ds_bpermute_b32 v0, v6, v5
	v_dual_mov_b32 v4, s5 :: v_dual_add_nc_u32 v3, 32, v2
	s_delay_alu instid0(VALU_DEP_1) | instskip(NEXT) | instid1(VALU_DEP_1)
	v_or_b32_e32 v3, s4, v3
	v_cmp_le_i64_e32 vcc_lo, s[6:7], v[3:4]
	s_or_b32 s0, s0, vcc_lo
	s_wait_dscnt 0x0
	v_add_f32_e32 v0, v5, v0
	s_wait_alu 0xfffe
	s_nor_b32 s0, s8, s0
	ds_bpermute_b32 v1, v7, v0
	s_wait_dscnt 0x0
	v_add_f32_e32 v0, v0, v1
	ds_bpermute_b32 v1, v8, v0
	s_wait_dscnt 0x0
	v_add_f32_e32 v0, v0, v1
	ds_bpermute_b32 v1, v9, v0
	s_wait_alu 0xfffe
	s_and_saveexec_b32 s1, s0
	s_wait_alu 0xfffe
	s_xor_b32 s1, exec_lo, s1
	s_cbranch_execz .LBB151_141
; %bb.140:
	v_add_co_u32 v2, s0, s4, v2
	s_wait_alu 0xf1ff
	v_add_co_ci_u32_e64 v3, null, s5, 0, s0
	s_wait_dscnt 0x0
	v_add_f32_e32 v4, v0, v1
	s_delay_alu instid0(VALU_DEP_2) | instskip(NEXT) | instid1(VALU_DEP_1)
	v_lshlrev_b64_e32 v[2:3], 2, v[2:3]
	v_add_co_u32 v0, vcc_lo, s2, v2
	s_wait_alu 0xfffd
	s_delay_alu instid0(VALU_DEP_2)
	v_add_co_ci_u32_e64 v1, null, s3, v3, vcc_lo
	global_store_b32 v[0:1], v4, off offset:128
.LBB151_141:
	s_nop 0
	s_sendmsg sendmsg(MSG_DEALLOC_VGPRS)
	s_endpgm
	.section	.rodata,"a",@progbits
	.p2align	6, 0x0
	.amdhsa_kernel _ZN2at6native12_GLOBAL__N_135GammaBetaBackwardCUDAKernelTemplateIffLj64ELj16ELj256ELb0ELb0ELb1EEEvllPKT_S5_PKT0_S8_PS3_S9_
		.amdhsa_group_segment_fixed_size 0
		.amdhsa_private_segment_fixed_size 0
		.amdhsa_kernarg_size 320
		.amdhsa_user_sgpr_count 2
		.amdhsa_user_sgpr_dispatch_ptr 0
		.amdhsa_user_sgpr_queue_ptr 0
		.amdhsa_user_sgpr_kernarg_segment_ptr 1
		.amdhsa_user_sgpr_dispatch_id 0
		.amdhsa_user_sgpr_private_segment_size 0
		.amdhsa_wavefront_size32 1
		.amdhsa_uses_dynamic_stack 0
		.amdhsa_enable_private_segment 0
		.amdhsa_system_sgpr_workgroup_id_x 1
		.amdhsa_system_sgpr_workgroup_id_y 1
		.amdhsa_system_sgpr_workgroup_id_z 0
		.amdhsa_system_sgpr_workgroup_info 0
		.amdhsa_system_vgpr_workitem_id 1
		.amdhsa_next_free_vgpr 172
		.amdhsa_next_free_sgpr 32
		.amdhsa_reserve_vcc 1
		.amdhsa_float_round_mode_32 0
		.amdhsa_float_round_mode_16_64 0
		.amdhsa_float_denorm_mode_32 3
		.amdhsa_float_denorm_mode_16_64 3
		.amdhsa_fp16_overflow 0
		.amdhsa_workgroup_processor_mode 1
		.amdhsa_memory_ordered 1
		.amdhsa_forward_progress 1
		.amdhsa_inst_pref_size 130
		.amdhsa_round_robin_scheduling 0
		.amdhsa_exception_fp_ieee_invalid_op 0
		.amdhsa_exception_fp_denorm_src 0
		.amdhsa_exception_fp_ieee_div_zero 0
		.amdhsa_exception_fp_ieee_overflow 0
		.amdhsa_exception_fp_ieee_underflow 0
		.amdhsa_exception_fp_ieee_inexact 0
		.amdhsa_exception_int_div_zero 0
	.end_amdhsa_kernel
	.section	.text._ZN2at6native12_GLOBAL__N_135GammaBetaBackwardCUDAKernelTemplateIffLj64ELj16ELj256ELb0ELb0ELb1EEEvllPKT_S5_PKT0_S8_PS3_S9_,"axG",@progbits,_ZN2at6native12_GLOBAL__N_135GammaBetaBackwardCUDAKernelTemplateIffLj64ELj16ELj256ELb0ELb0ELb1EEEvllPKT_S5_PKT0_S8_PS3_S9_,comdat
.Lfunc_end151:
	.size	_ZN2at6native12_GLOBAL__N_135GammaBetaBackwardCUDAKernelTemplateIffLj64ELj16ELj256ELb0ELb0ELb1EEEvllPKT_S5_PKT0_S8_PS3_S9_, .Lfunc_end151-_ZN2at6native12_GLOBAL__N_135GammaBetaBackwardCUDAKernelTemplateIffLj64ELj16ELj256ELb0ELb0ELb1EEEvllPKT_S5_PKT0_S8_PS3_S9_
                                        ; -- End function
	.set _ZN2at6native12_GLOBAL__N_135GammaBetaBackwardCUDAKernelTemplateIffLj64ELj16ELj256ELb0ELb0ELb1EEEvllPKT_S5_PKT0_S8_PS3_S9_.num_vgpr, 172
	.set _ZN2at6native12_GLOBAL__N_135GammaBetaBackwardCUDAKernelTemplateIffLj64ELj16ELj256ELb0ELb0ELb1EEEvllPKT_S5_PKT0_S8_PS3_S9_.num_agpr, 0
	.set _ZN2at6native12_GLOBAL__N_135GammaBetaBackwardCUDAKernelTemplateIffLj64ELj16ELj256ELb0ELb0ELb1EEEvllPKT_S5_PKT0_S8_PS3_S9_.numbered_sgpr, 32
	.set _ZN2at6native12_GLOBAL__N_135GammaBetaBackwardCUDAKernelTemplateIffLj64ELj16ELj256ELb0ELb0ELb1EEEvllPKT_S5_PKT0_S8_PS3_S9_.num_named_barrier, 0
	.set _ZN2at6native12_GLOBAL__N_135GammaBetaBackwardCUDAKernelTemplateIffLj64ELj16ELj256ELb0ELb0ELb1EEEvllPKT_S5_PKT0_S8_PS3_S9_.private_seg_size, 0
	.set _ZN2at6native12_GLOBAL__N_135GammaBetaBackwardCUDAKernelTemplateIffLj64ELj16ELj256ELb0ELb0ELb1EEEvllPKT_S5_PKT0_S8_PS3_S9_.uses_vcc, 1
	.set _ZN2at6native12_GLOBAL__N_135GammaBetaBackwardCUDAKernelTemplateIffLj64ELj16ELj256ELb0ELb0ELb1EEEvllPKT_S5_PKT0_S8_PS3_S9_.uses_flat_scratch, 0
	.set _ZN2at6native12_GLOBAL__N_135GammaBetaBackwardCUDAKernelTemplateIffLj64ELj16ELj256ELb0ELb0ELb1EEEvllPKT_S5_PKT0_S8_PS3_S9_.has_dyn_sized_stack, 0
	.set _ZN2at6native12_GLOBAL__N_135GammaBetaBackwardCUDAKernelTemplateIffLj64ELj16ELj256ELb0ELb0ELb1EEEvllPKT_S5_PKT0_S8_PS3_S9_.has_recursion, 0
	.set _ZN2at6native12_GLOBAL__N_135GammaBetaBackwardCUDAKernelTemplateIffLj64ELj16ELj256ELb0ELb0ELb1EEEvllPKT_S5_PKT0_S8_PS3_S9_.has_indirect_call, 0
	.section	.AMDGPU.csdata,"",@progbits
; Kernel info:
; codeLenInByte = 16596
; TotalNumSgprs: 34
; NumVgprs: 172
; ScratchSize: 0
; MemoryBound: 0
; FloatMode: 240
; IeeeMode: 1
; LDSByteSize: 0 bytes/workgroup (compile time only)
; SGPRBlocks: 0
; VGPRBlocks: 21
; NumSGPRsForWavesPerEU: 34
; NumVGPRsForWavesPerEU: 172
; Occupancy: 8
; WaveLimiterHint : 0
; COMPUTE_PGM_RSRC2:SCRATCH_EN: 0
; COMPUTE_PGM_RSRC2:USER_SGPR: 2
; COMPUTE_PGM_RSRC2:TRAP_HANDLER: 0
; COMPUTE_PGM_RSRC2:TGID_X_EN: 1
; COMPUTE_PGM_RSRC2:TGID_Y_EN: 1
; COMPUTE_PGM_RSRC2:TGID_Z_EN: 0
; COMPUTE_PGM_RSRC2:TIDIG_COMP_CNT: 1
	.section	.text._ZN2at6native12_GLOBAL__N_135GammaBetaBackwardCUDAKernelTemplateIffLj32ELj1ELj32ELb1ELb1ELb1EEEvllPKT_S5_PKT0_S8_PS3_S9_,"axG",@progbits,_ZN2at6native12_GLOBAL__N_135GammaBetaBackwardCUDAKernelTemplateIffLj32ELj1ELj32ELb1ELb1ELb1EEEvllPKT_S5_PKT0_S8_PS3_S9_,comdat
	.globl	_ZN2at6native12_GLOBAL__N_135GammaBetaBackwardCUDAKernelTemplateIffLj32ELj1ELj32ELb1ELb1ELb1EEEvllPKT_S5_PKT0_S8_PS3_S9_ ; -- Begin function _ZN2at6native12_GLOBAL__N_135GammaBetaBackwardCUDAKernelTemplateIffLj32ELj1ELj32ELb1ELb1ELb1EEEvllPKT_S5_PKT0_S8_PS3_S9_
	.p2align	8
	.type	_ZN2at6native12_GLOBAL__N_135GammaBetaBackwardCUDAKernelTemplateIffLj32ELj1ELj32ELb1ELb1ELb1EEEvllPKT_S5_PKT0_S8_PS3_S9_,@function
_ZN2at6native12_GLOBAL__N_135GammaBetaBackwardCUDAKernelTemplateIffLj32ELj1ELj32ELb1ELb1ELb1EEEvllPKT_S5_PKT0_S8_PS3_S9_: ; @_ZN2at6native12_GLOBAL__N_135GammaBetaBackwardCUDAKernelTemplateIffLj32ELj1ELj32ELb1ELb1ELb1EEEvllPKT_S5_PKT0_S8_PS3_S9_
; %bb.0:
	s_clause 0x1
	s_load_b128 s[4:7], s[0:1], 0x0
	s_load_b64 s[2:3], s[0:1], 0x30
	s_lshl_b32 s12, ttmp7, 5
	s_mov_b32 s13, 0
	v_mov_b32_e32 v24, 0
	v_bfe_u32 v1, v0, 10, 10
	v_and_b32_e32 v0, 0x3ff, v0
	s_wait_kmcnt 0x0
	v_cmp_le_i64_e64 s8, s[4:5], s[12:13]
	s_and_b32 vcc_lo, exec_lo, s8
	s_cbranch_vccnz .LBB152_5
; %bb.1:
	s_clause 0x3
	s_load_b32 s14, s[0:1], 0x4c
	s_load_b32 s15, s[0:1], 0x44
	s_load_b128 s[8:11], s[0:1], 0x10
	s_load_b64 s[16:17], s[0:1], 0x28
	v_dual_mov_b32 v3, 0 :: v_dual_lshlrev_b32 v4, 5, v1
	v_lshl_or_b32 v2, ttmp9, 5, v0
	v_dual_mov_b32 v8, 4 :: v_dual_mov_b32 v9, 8
	v_dual_mov_b32 v10, 12 :: v_dual_mov_b32 v11, 16
	;; [unrolled: 1-line block ×7, first 2 shown]
	s_wait_kmcnt 0x0
	s_and_b32 s14, s14, 0xffff
	v_dual_mov_b32 v22, 60 :: v_dual_mov_b32 v23, 64
	v_mad_u32_u24 v5, v1, s14, v0
	v_add_co_u32 v39, s14, v4, s12
	s_wait_alu 0xf1ff
	v_add_co_ci_u32_e64 v40, null, 0, 0, s14
	s_delay_alu instid0(VALU_DEP_3) | instskip(NEXT) | instid1(VALU_DEP_3)
	v_dual_mov_b32 v25, 0x44 :: v_dual_and_b32 v24, 31, v5
	v_mul_lo_u32 v6, s7, v39
	s_delay_alu instid0(VALU_DEP_3)
	v_mul_lo_u32 v7, s6, v40
	v_mad_co_u64_u32 v[4:5], null, s6, v39, 0
	s_lshl_b32 s14, s15, 5
	s_mov_b32 s15, s13
	v_mov_b32_e32 v26, 0x48
	v_mov_b32_e32 v27, 0x4c
	;; [unrolled: 1-line block ×4, first 2 shown]
	v_add3_u32 v5, v5, v7, v6
	v_mov_b32_e32 v30, 0x58
	v_mov_b32_e32 v31, 0x5c
	;; [unrolled: 1-line block ×4, first 2 shown]
	v_lshlrev_b64_e32 v[6:7], 2, v[4:5]
	v_add_co_u32 v4, vcc_lo, v39, v24
	s_delay_alu instid0(VALU_DEP_1) | instskip(SKIP_3) | instid1(VALU_DEP_4)
	v_add_co_ci_u32_e64 v5, null, 0, v40, vcc_lo
	v_lshlrev_b64_e32 v[39:40], 2, v[2:3]
	v_mov_b32_e32 v34, 0x68
	v_mov_b32_e32 v35, 0x6c
	v_lshlrev_b64_e32 v[41:42], 2, v[4:5]
	v_mov_b32_e32 v36, 0x70
	v_mov_b32_e32 v37, 0x74
	v_add_co_u32 v39, vcc_lo, v6, v39
	s_wait_alu 0xfffd
	v_add_co_ci_u32_e64 v40, null, v7, v40, vcc_lo
	v_add_co_u32 v6, vcc_lo, s16, v41
	v_mov_b32_e32 v38, 0x78
	v_mov_b32_e32 v2, 0x7c
	s_wait_alu 0xfffd
	v_add_co_ci_u32_e64 v7, null, s17, v42, vcc_lo
	v_mov_b32_e32 v24, 0
	s_wait_alu 0xfffe
	s_mul_u64 s[18:19], s[6:7], s[14:15]
	s_lshl_b64 s[20:21], s[6:7], 2
	s_lshl_b64 s[16:17], s[18:19], 2
	;; [unrolled: 1-line block ×3, first 2 shown]
	s_branch .LBB152_3
.LBB152_2:                              ;   in Loop: Header=BB152_3 Depth=1
	s_or_b32 exec_lo, exec_lo, s22
	v_add_co_u32 v42, vcc_lo, s8, v39
	s_wait_alu 0xfffd
	v_add_co_ci_u32_e64 v43, null, s9, v40, vcc_lo
	v_add_co_u32 v44, vcc_lo, s10, v39
	s_wait_alu 0xfffd
	v_add_co_ci_u32_e64 v45, null, s11, v40, vcc_lo
	global_load_b32 v52, v[42:43], off
	global_load_b32 v53, v[44:45], off
	v_add_co_u32 v42, vcc_lo, v42, s20
	s_wait_alu 0xfffd
	v_add_co_ci_u32_e64 v43, null, s21, v43, vcc_lo
	v_add_co_u32 v44, vcc_lo, v44, s20
	s_wait_alu 0xfffd
	v_add_co_ci_u32_e64 v45, null, s21, v45, vcc_lo
	global_load_b32 v54, v[42:43], off
	global_load_b32 v55, v[44:45], off
	;; [unrolled: 8-line block ×5, first 2 shown]
	v_add_co_u32 v42, vcc_lo, v42, s20
	s_wait_alu 0xfffd
	v_add_co_ci_u32_e64 v43, null, s21, v43, vcc_lo
	v_add_co_u32 v44, vcc_lo, v44, s20
	s_wait_alu 0xfffd
	v_add_co_ci_u32_e64 v45, null, s21, v45, vcc_lo
	v_add_co_u32 v46, vcc_lo, v42, s20
	s_wait_alu 0xfffd
	v_add_co_ci_u32_e64 v47, null, s21, v43, vcc_lo
	v_add_co_u32 v48, vcc_lo, v44, s20
	s_wait_alu 0xfffd
	v_add_co_ci_u32_e64 v49, null, s21, v45, vcc_lo
	global_load_b32 v62, v[42:43], off
	global_load_b32 v63, v[44:45], off
	global_load_b32 v64, v[46:47], off
	global_load_b32 v65, v[48:49], off
	v_add_co_u32 v42, vcc_lo, v46, s20
	s_wait_alu 0xfffd
	v_add_co_ci_u32_e64 v43, null, s21, v47, vcc_lo
	v_add_co_u32 v44, vcc_lo, v48, s20
	s_wait_alu 0xfffd
	v_add_co_ci_u32_e64 v45, null, s21, v49, vcc_lo
	global_load_b32 v66, v[42:43], off
	v_add_co_u32 v42, vcc_lo, v42, s20
	s_wait_alu 0xfffd
	v_add_co_ci_u32_e64 v43, null, s21, v43, vcc_lo
	v_add_co_u32 v46, vcc_lo, v44, s20
	s_wait_alu 0xfffd
	v_add_co_ci_u32_e64 v47, null, s21, v45, vcc_lo
	v_add_co_u32 v48, vcc_lo, v42, s20
	s_wait_alu 0xfffd
	v_add_co_ci_u32_e64 v49, null, s21, v43, vcc_lo
	v_add_co_u32 v50, vcc_lo, v46, s20
	s_wait_alu 0xfffd
	v_add_co_ci_u32_e64 v51, null, s21, v47, vcc_lo
	global_load_b32 v67, v[44:45], off
	global_load_b32 v68, v[42:43], off
	global_load_b32 v69, v[46:47], off
	global_load_b32 v70, v[48:49], off
	global_load_b32 v71, v[50:51], off
	v_add_co_u32 v42, vcc_lo, v48, s20
	s_wait_alu 0xfffd
	v_add_co_ci_u32_e64 v43, null, s21, v49, vcc_lo
	v_add_co_u32 v44, vcc_lo, v50, s20
	s_wait_alu 0xfffd
	v_add_co_ci_u32_e64 v45, null, s21, v51, vcc_lo
	global_load_b32 v72, v[42:43], off
	v_add_co_u32 v42, vcc_lo, v42, s20
	s_wait_alu 0xfffd
	v_add_co_ci_u32_e64 v43, null, s21, v43, vcc_lo
	v_add_co_u32 v46, vcc_lo, v44, s20
	s_wait_alu 0xfffd
	v_add_co_ci_u32_e64 v47, null, s21, v45, vcc_lo
	v_add_co_u32 v48, vcc_lo, v42, s20
	s_wait_alu 0xfffd
	v_add_co_ci_u32_e64 v49, null, s21, v43, vcc_lo
	v_add_co_u32 v50, vcc_lo, v46, s20
	s_wait_alu 0xfffd
	v_add_co_ci_u32_e64 v51, null, s21, v47, vcc_lo
	global_load_b32 v73, v[44:45], off
	;; [unrolled: 24-line block ×5, first 2 shown]
	global_load_b32 v92, v[42:43], off
	global_load_b32 v93, v[46:47], off
	;; [unrolled: 1-line block ×4, first 2 shown]
	v_add_co_u32 v42, vcc_lo, v48, s20
	s_wait_alu 0xfffd
	v_add_co_ci_u32_e64 v43, null, s21, v49, vcc_lo
	v_add_co_u32 v44, vcc_lo, v50, s20
	s_wait_alu 0xfffd
	v_add_co_ci_u32_e64 v45, null, s21, v51, vcc_lo
	global_load_b32 v48, v[42:43], off
	v_add_co_u32 v42, vcc_lo, v42, s20
	s_wait_alu 0xfffd
	v_add_co_ci_u32_e64 v43, null, s21, v43, vcc_lo
	v_add_co_u32 v46, vcc_lo, v44, s20
	s_wait_alu 0xfffd
	v_add_co_ci_u32_e64 v47, null, s21, v45, vcc_lo
	global_load_b32 v49, v[44:45], off
	v_add_co_u32 v44, vcc_lo, v42, s20
	s_wait_alu 0xfffd
	v_add_co_ci_u32_e64 v45, null, s21, v43, vcc_lo
	global_load_b32 v50, v[42:43], off
	s_wait_loadcnt 0x2f
	ds_bpermute_b32 v43, v3, v41
	global_load_b32 v51, v[46:47], off
	s_add_nc_u64 s[12:13], s[12:13], s[14:15]
	s_wait_alu 0xfffe
	v_cmp_lt_i64_e64 s22, s[12:13], s[4:5]
	s_wait_loadcnt 0x2e
	v_mul_f32_e32 v42, v52, v53
	global_load_b32 v52, v[44:45], off
	s_wait_dscnt 0x0
	v_fmac_f32_e32 v24, v42, v43
	v_add_co_u32 v42, vcc_lo, v46, s20
	s_wait_alu 0xfffd
	v_add_co_ci_u32_e64 v43, null, s21, v47, vcc_lo
	v_add_co_u32 v46, vcc_lo, v44, s20
	s_wait_alu 0xfffd
	v_add_co_ci_u32_e64 v47, null, s21, v45, vcc_lo
	ds_bpermute_b32 v45, v8, v41
	s_wait_loadcnt 0x2d
	v_mul_f32_e32 v44, v54, v55
	global_load_b32 v53, v[42:43], off
	global_load_b32 v54, v[46:47], off
	s_wait_dscnt 0x0
	v_fmac_f32_e32 v24, v44, v45
	v_add_co_u32 v44, vcc_lo, v42, s20
	s_wait_alu 0xfffd
	v_add_co_ci_u32_e64 v45, null, s21, v43, vcc_lo
	v_add_co_u32 v42, vcc_lo, v46, s20
	s_wait_alu 0xfffd
	v_add_co_ci_u32_e64 v43, null, s21, v47, vcc_lo
	ds_bpermute_b32 v47, v9, v41
	s_wait_loadcnt 0x2d
	v_mul_f32_e32 v46, v56, v57
	global_load_b32 v55, v[44:45], off
	;; [unrolled: 13-line block ×6, first 2 shown]
	global_load_b32 v64, v[44:45], off
	s_wait_loadcnt_dscnt 0x2b00
	v_dual_mul_f32 v65, v68, v69 :: v_dual_fmac_f32 v24, v42, v43
	v_add_co_u32 v42, vcc_lo, v46, s20
	s_wait_alu 0xfffd
	v_add_co_ci_u32_e64 v43, null, s21, v47, vcc_lo
	v_add_co_u32 v46, vcc_lo, v44, s20
	s_wait_alu 0xfffd
	v_add_co_ci_u32_e64 v47, null, s21, v45, vcc_lo
	;; [unrolled: 3-line block ×3, first 2 shown]
	global_load_b32 v42, v[42:43], off
	global_load_b32 v43, v[46:47], off
	;; [unrolled: 1-line block ×3, first 2 shown]
	ds_bpermute_b32 v45, v14, v41
	v_mul_f32_e32 v46, v66, v67
	ds_bpermute_b32 v47, v15, v41
	ds_bpermute_b32 v66, v18, v41
	v_add_co_u32 v39, vcc_lo, v39, s16
	s_wait_alu 0xfffd
	v_add_co_ci_u32_e64 v40, null, s17, v40, vcc_lo
	v_add_co_u32 v6, vcc_lo, v6, s18
	s_wait_alu 0xfffd
	v_add_co_ci_u32_e64 v7, null, s19, v7, vcc_lo
	;; [unrolled: 3-line block ×3, first 2 shown]
	s_and_b32 vcc_lo, exec_lo, s22
	s_wait_dscnt 0x2
	v_fmac_f32_e32 v24, v46, v45
	ds_bpermute_b32 v45, v16, v41
	ds_bpermute_b32 v46, v17, v41
	s_wait_dscnt 0x3
	v_fmac_f32_e32 v24, v65, v47
	s_wait_loadcnt 0x2c
	v_mul_f32_e32 v47, v70, v71
	ds_bpermute_b32 v65, v19, v41
	s_wait_dscnt 0x2
	v_fmac_f32_e32 v24, v47, v45
	s_wait_loadcnt 0x2a
	v_mul_f32_e32 v45, v72, v73
	ds_bpermute_b32 v47, v20, v41
	s_wait_loadcnt_dscnt 0x2802
	v_dual_fmac_f32 v24, v45, v46 :: v_dual_mul_f32 v45, v74, v75
	ds_bpermute_b32 v46, v21, v41
	s_wait_loadcnt 0x26
	v_dual_fmac_f32 v24, v45, v66 :: v_dual_mul_f32 v45, v76, v77
	ds_bpermute_b32 v66, v22, v41
	s_wait_loadcnt_dscnt 0x2403
	v_dual_fmac_f32 v24, v45, v65 :: v_dual_mul_f32 v45, v78, v79
	ds_bpermute_b32 v65, v23, v41
	s_wait_loadcnt_dscnt 0x2203
	;; [unrolled: 3-line block ×10, first 2 shown]
	v_dual_fmac_f32 v24, v45, v47 :: v_dual_mul_f32 v45, v48, v49
	ds_bpermute_b32 v47, v33, v41
	ds_bpermute_b32 v48, v35, v41
	;; [unrolled: 1-line block ×3, first 2 shown]
	s_wait_loadcnt_dscnt 0x1005
	v_dual_fmac_f32 v24, v45, v46 :: v_dual_mul_f32 v45, v50, v51
	ds_bpermute_b32 v46, v34, v41
	s_wait_loadcnt_dscnt 0xe05
	v_dual_fmac_f32 v24, v45, v66 :: v_dual_mul_f32 v45, v52, v53
	s_wait_loadcnt_dscnt 0xc04
	s_delay_alu instid0(VALU_DEP_1) | instskip(SKIP_1) | instid1(VALU_DEP_1)
	v_dual_fmac_f32 v24, v45, v65 :: v_dual_mul_f32 v45, v54, v55
	s_wait_dscnt 0x3
	v_fmac_f32_e32 v24, v45, v47
	ds_bpermute_b32 v47, v37, v41
	s_wait_loadcnt 0xa
	v_mul_f32_e32 v45, v56, v57
	s_wait_dscnt 0x1
	s_delay_alu instid0(VALU_DEP_1)
	v_fmac_f32_e32 v24, v45, v46
	ds_bpermute_b32 v46, v38, v41
	ds_bpermute_b32 v41, v2, v41
	s_wait_loadcnt 0x8
	v_mul_f32_e32 v45, v58, v59
	s_wait_loadcnt 0x6
	s_delay_alu instid0(VALU_DEP_1) | instskip(SKIP_1) | instid1(VALU_DEP_1)
	v_dual_fmac_f32 v24, v45, v48 :: v_dual_mul_f32 v45, v60, v61
	s_wait_loadcnt 0x4
	v_dual_fmac_f32 v24, v45, v49 :: v_dual_mul_f32 v45, v62, v63
	s_wait_dscnt 0x2
	s_delay_alu instid0(VALU_DEP_1) | instskip(SKIP_3) | instid1(VALU_DEP_1)
	v_fmac_f32_e32 v24, v45, v47
	s_wait_loadcnt 0x2
	v_mul_f32_e32 v42, v64, v42
	s_wait_dscnt 0x1
	v_fmac_f32_e32 v24, v42, v46
	s_wait_loadcnt 0x0
	v_mul_f32_e32 v42, v43, v44
	s_wait_dscnt 0x0
	s_delay_alu instid0(VALU_DEP_1)
	v_fmac_f32_e32 v24, v42, v41
	s_wait_alu 0xfffe
	s_cbranch_vccz .LBB152_5
.LBB152_3:                              ; =>This Inner Loop Header: Depth=1
	v_mov_b32_e32 v41, 0
	s_mov_b32 s22, exec_lo
	v_cmpx_gt_i64_e64 s[4:5], v[4:5]
	s_cbranch_execz .LBB152_2
; %bb.4:                                ;   in Loop: Header=BB152_3 Depth=1
	global_load_b32 v41, v[6:7], off
	s_branch .LBB152_2
.LBB152_5:
	s_cmp_eq_u64 s[2:3], 0
	s_cbranch_scc1 .LBB152_7
; %bb.6:
	s_load_u16 s0, s[0:1], 0x4e
	v_mov_b32_e32 v2, 0
	s_mov_b32 s4, ttmp9
	s_mov_b32 s5, 0
	v_lshlrev_b32_e32 v0, 2, v0
	s_wait_kmcnt 0x0
	v_mad_co_u64_u32 v[1:2], null, s0, ttmp7, v[1:2]
	s_wait_alu 0xfffe
	s_lshl_b64 s[0:1], s[4:5], 7
	s_delay_alu instid0(VALU_DEP_1) | instskip(NEXT) | instid1(VALU_DEP_2)
	v_mul_lo_u32 v3, v2, s6
	v_mul_lo_u32 v4, v1, s7
	v_mad_co_u64_u32 v[1:2], null, v1, s6, 0
	s_delay_alu instid0(VALU_DEP_1) | instskip(NEXT) | instid1(VALU_DEP_1)
	v_add3_u32 v2, v2, v4, v3
	v_lshlrev_b64_e32 v[1:2], 2, v[1:2]
	s_delay_alu instid0(VALU_DEP_1) | instskip(SKIP_1) | instid1(VALU_DEP_2)
	v_add_co_u32 v1, vcc_lo, s2, v1
	s_wait_alu 0xfffd
	v_add_co_ci_u32_e64 v2, null, s3, v2, vcc_lo
	s_wait_alu 0xfffe
	s_delay_alu instid0(VALU_DEP_2) | instskip(SKIP_1) | instid1(VALU_DEP_2)
	v_add_co_u32 v1, vcc_lo, v1, s0
	s_wait_alu 0xfffd
	v_add_co_ci_u32_e64 v2, null, s1, v2, vcc_lo
	s_delay_alu instid0(VALU_DEP_2) | instskip(SKIP_1) | instid1(VALU_DEP_2)
	v_add_co_u32 v0, vcc_lo, v1, v0
	s_wait_alu 0xfffd
	v_add_co_ci_u32_e64 v1, null, 0, v2, vcc_lo
	global_store_b32 v[0:1], v24, off
.LBB152_7:
	s_endpgm
	.section	.rodata,"a",@progbits
	.p2align	6, 0x0
	.amdhsa_kernel _ZN2at6native12_GLOBAL__N_135GammaBetaBackwardCUDAKernelTemplateIffLj32ELj1ELj32ELb1ELb1ELb1EEEvllPKT_S5_PKT0_S8_PS3_S9_
		.amdhsa_group_segment_fixed_size 0
		.amdhsa_private_segment_fixed_size 0
		.amdhsa_kernarg_size 320
		.amdhsa_user_sgpr_count 2
		.amdhsa_user_sgpr_dispatch_ptr 0
		.amdhsa_user_sgpr_queue_ptr 0
		.amdhsa_user_sgpr_kernarg_segment_ptr 1
		.amdhsa_user_sgpr_dispatch_id 0
		.amdhsa_user_sgpr_private_segment_size 0
		.amdhsa_wavefront_size32 1
		.amdhsa_uses_dynamic_stack 0
		.amdhsa_enable_private_segment 0
		.amdhsa_system_sgpr_workgroup_id_x 1
		.amdhsa_system_sgpr_workgroup_id_y 1
		.amdhsa_system_sgpr_workgroup_id_z 0
		.amdhsa_system_sgpr_workgroup_info 0
		.amdhsa_system_vgpr_workitem_id 1
		.amdhsa_next_free_vgpr 96
		.amdhsa_next_free_sgpr 23
		.amdhsa_reserve_vcc 1
		.amdhsa_float_round_mode_32 0
		.amdhsa_float_round_mode_16_64 0
		.amdhsa_float_denorm_mode_32 3
		.amdhsa_float_denorm_mode_16_64 3
		.amdhsa_fp16_overflow 0
		.amdhsa_workgroup_processor_mode 1
		.amdhsa_memory_ordered 1
		.amdhsa_forward_progress 1
		.amdhsa_inst_pref_size 28
		.amdhsa_round_robin_scheduling 0
		.amdhsa_exception_fp_ieee_invalid_op 0
		.amdhsa_exception_fp_denorm_src 0
		.amdhsa_exception_fp_ieee_div_zero 0
		.amdhsa_exception_fp_ieee_overflow 0
		.amdhsa_exception_fp_ieee_underflow 0
		.amdhsa_exception_fp_ieee_inexact 0
		.amdhsa_exception_int_div_zero 0
	.end_amdhsa_kernel
	.section	.text._ZN2at6native12_GLOBAL__N_135GammaBetaBackwardCUDAKernelTemplateIffLj32ELj1ELj32ELb1ELb1ELb1EEEvllPKT_S5_PKT0_S8_PS3_S9_,"axG",@progbits,_ZN2at6native12_GLOBAL__N_135GammaBetaBackwardCUDAKernelTemplateIffLj32ELj1ELj32ELb1ELb1ELb1EEEvllPKT_S5_PKT0_S8_PS3_S9_,comdat
.Lfunc_end152:
	.size	_ZN2at6native12_GLOBAL__N_135GammaBetaBackwardCUDAKernelTemplateIffLj32ELj1ELj32ELb1ELb1ELb1EEEvllPKT_S5_PKT0_S8_PS3_S9_, .Lfunc_end152-_ZN2at6native12_GLOBAL__N_135GammaBetaBackwardCUDAKernelTemplateIffLj32ELj1ELj32ELb1ELb1ELb1EEEvllPKT_S5_PKT0_S8_PS3_S9_
                                        ; -- End function
	.set _ZN2at6native12_GLOBAL__N_135GammaBetaBackwardCUDAKernelTemplateIffLj32ELj1ELj32ELb1ELb1ELb1EEEvllPKT_S5_PKT0_S8_PS3_S9_.num_vgpr, 96
	.set _ZN2at6native12_GLOBAL__N_135GammaBetaBackwardCUDAKernelTemplateIffLj32ELj1ELj32ELb1ELb1ELb1EEEvllPKT_S5_PKT0_S8_PS3_S9_.num_agpr, 0
	.set _ZN2at6native12_GLOBAL__N_135GammaBetaBackwardCUDAKernelTemplateIffLj32ELj1ELj32ELb1ELb1ELb1EEEvllPKT_S5_PKT0_S8_PS3_S9_.numbered_sgpr, 23
	.set _ZN2at6native12_GLOBAL__N_135GammaBetaBackwardCUDAKernelTemplateIffLj32ELj1ELj32ELb1ELb1ELb1EEEvllPKT_S5_PKT0_S8_PS3_S9_.num_named_barrier, 0
	.set _ZN2at6native12_GLOBAL__N_135GammaBetaBackwardCUDAKernelTemplateIffLj32ELj1ELj32ELb1ELb1ELb1EEEvllPKT_S5_PKT0_S8_PS3_S9_.private_seg_size, 0
	.set _ZN2at6native12_GLOBAL__N_135GammaBetaBackwardCUDAKernelTemplateIffLj32ELj1ELj32ELb1ELb1ELb1EEEvllPKT_S5_PKT0_S8_PS3_S9_.uses_vcc, 1
	.set _ZN2at6native12_GLOBAL__N_135GammaBetaBackwardCUDAKernelTemplateIffLj32ELj1ELj32ELb1ELb1ELb1EEEvllPKT_S5_PKT0_S8_PS3_S9_.uses_flat_scratch, 0
	.set _ZN2at6native12_GLOBAL__N_135GammaBetaBackwardCUDAKernelTemplateIffLj32ELj1ELj32ELb1ELb1ELb1EEEvllPKT_S5_PKT0_S8_PS3_S9_.has_dyn_sized_stack, 0
	.set _ZN2at6native12_GLOBAL__N_135GammaBetaBackwardCUDAKernelTemplateIffLj32ELj1ELj32ELb1ELb1ELb1EEEvllPKT_S5_PKT0_S8_PS3_S9_.has_recursion, 0
	.set _ZN2at6native12_GLOBAL__N_135GammaBetaBackwardCUDAKernelTemplateIffLj32ELj1ELj32ELb1ELb1ELb1EEEvllPKT_S5_PKT0_S8_PS3_S9_.has_indirect_call, 0
	.section	.AMDGPU.csdata,"",@progbits
; Kernel info:
; codeLenInByte = 3576
; TotalNumSgprs: 25
; NumVgprs: 96
; ScratchSize: 0
; MemoryBound: 0
; FloatMode: 240
; IeeeMode: 1
; LDSByteSize: 0 bytes/workgroup (compile time only)
; SGPRBlocks: 0
; VGPRBlocks: 11
; NumSGPRsForWavesPerEU: 25
; NumVGPRsForWavesPerEU: 96
; Occupancy: 16
; WaveLimiterHint : 0
; COMPUTE_PGM_RSRC2:SCRATCH_EN: 0
; COMPUTE_PGM_RSRC2:USER_SGPR: 2
; COMPUTE_PGM_RSRC2:TRAP_HANDLER: 0
; COMPUTE_PGM_RSRC2:TGID_X_EN: 1
; COMPUTE_PGM_RSRC2:TGID_Y_EN: 1
; COMPUTE_PGM_RSRC2:TGID_Z_EN: 0
; COMPUTE_PGM_RSRC2:TIDIG_COMP_CNT: 1
	.section	.text._ZN2at6native12_GLOBAL__N_135GammaBetaBackwardCUDAKernelTemplateIffLj32ELj1ELj32ELb1ELb0ELb1EEEvllPKT_S5_PKT0_S8_PS3_S9_,"axG",@progbits,_ZN2at6native12_GLOBAL__N_135GammaBetaBackwardCUDAKernelTemplateIffLj32ELj1ELj32ELb1ELb0ELb1EEEvllPKT_S5_PKT0_S8_PS3_S9_,comdat
	.globl	_ZN2at6native12_GLOBAL__N_135GammaBetaBackwardCUDAKernelTemplateIffLj32ELj1ELj32ELb1ELb0ELb1EEEvllPKT_S5_PKT0_S8_PS3_S9_ ; -- Begin function _ZN2at6native12_GLOBAL__N_135GammaBetaBackwardCUDAKernelTemplateIffLj32ELj1ELj32ELb1ELb0ELb1EEEvllPKT_S5_PKT0_S8_PS3_S9_
	.p2align	8
	.type	_ZN2at6native12_GLOBAL__N_135GammaBetaBackwardCUDAKernelTemplateIffLj32ELj1ELj32ELb1ELb0ELb1EEEvllPKT_S5_PKT0_S8_PS3_S9_,@function
_ZN2at6native12_GLOBAL__N_135GammaBetaBackwardCUDAKernelTemplateIffLj32ELj1ELj32ELb1ELb0ELb1EEEvllPKT_S5_PKT0_S8_PS3_S9_: ; @_ZN2at6native12_GLOBAL__N_135GammaBetaBackwardCUDAKernelTemplateIffLj32ELj1ELj32ELb1ELb0ELb1EEEvllPKT_S5_PKT0_S8_PS3_S9_
; %bb.0:
	s_clause 0x1
	s_load_b256 s[4:11], s[0:1], 0x0
	s_load_b64 s[12:13], s[0:1], 0x28
	s_lshl_b32 s28, ttmp9, 5
	s_mov_b32 s15, 0
	s_or_b32 s14, s28, 31
	v_mov_b32_e32 v208, v0
	s_wait_kmcnt 0x0
	v_cmp_le_i64_e64 s2, s[6:7], s[14:15]
	s_lshl_b32 s14, ttmp7, 5
	s_wait_alu 0xfffe
	v_cmp_gt_i64_e64 s29, s[4:5], s[14:15]
	s_and_b32 vcc_lo, exec_lo, s2
	v_cndmask_b32_e64 v0, 0, 1, s29
	s_delay_alu instid0(VALU_DEP_1)
	v_cmp_ne_u32_e64 s2, 1, v0
	s_cbranch_vccz .LBB153_141
; %bb.1:
	v_mov_b32_e32 v202, 0
	s_and_b32 vcc_lo, exec_lo, s2
	s_cbranch_vccnz .LBB153_142
; %bb.2:
	v_bfe_u32 v38, v208, 10, 10
	v_dual_mov_b32 v1, 0 :: v_dual_and_b32 v40, 0x3ff, v208
	s_load_b32 s3, s[0:1], 0x44
	s_mov_b32 s17, 0
	s_delay_alu instid0(VALU_DEP_2) | instskip(NEXT) | instid1(VALU_DEP_2)
	v_lshlrev_b32_e32 v39, 5, v38
	v_dual_mov_b32 v7, v1 :: v_dual_add_nc_u32 v6, s28, v40
	s_mov_b32 s21, s17
	v_mov_b32_e32 v41, v1
	s_delay_alu instid0(VALU_DEP_3) | instskip(NEXT) | instid1(VALU_DEP_1)
	v_add_co_u32 v4, s2, v39, s14
	v_add_co_ci_u32_e64 v5, null, 0, 0, s2
	v_cmp_gt_i64_e64 s2, s[6:7], v[6:7]
	s_delay_alu instid0(VALU_DEP_3) | instskip(SKIP_1) | instid1(VALU_DEP_4)
	v_mul_lo_u32 v0, s7, v4
	v_mad_co_u64_u32 v[2:3], null, s6, v4, 0
	v_mul_lo_u32 v8, s6, v5
	v_lshlrev_b64_e32 v[34:35], 2, v[6:7]
	v_mov_b32_e32 v169, 0
	s_add_nc_u64 s[18:19], s[0:1], 64
	s_mov_b64 s[24:25], 31
	s_wait_kmcnt 0x0
	s_lshl_b32 s20, s3, 5
	s_mov_b64 s[26:27], s[14:15]
	s_mul_u64 s[22:23], s[6:7], s[20:21]
	v_add3_u32 v3, v3, v8, v0
	v_add_co_u32 v0, vcc_lo, v4, 31
	s_delay_alu instid0(VALU_DEP_1) | instskip(NEXT) | instid1(VALU_DEP_3)
	v_add_co_ci_u32_e64 v8, null, 0, v5, vcc_lo
	v_lshlrev_b64_e32 v[6:7], 2, v[2:3]
	s_delay_alu instid0(VALU_DEP_3) | instskip(SKIP_1) | instid1(VALU_DEP_3)
	v_mul_lo_u32 v12, s7, v0
	s_lshl_b64 s[22:23], s[22:23], 2
	v_mul_lo_u32 v13, s6, v8
	v_mad_co_u64_u32 v[8:9], null, s6, v0, 0
	v_add_co_u32 v0, vcc_lo, v4, 30
	s_wait_alu 0xfffd
	v_add_co_ci_u32_e64 v10, null, 0, v5, vcc_lo
	v_add_co_u32 v42, vcc_lo, s8, v6
	s_delay_alu instid0(VALU_DEP_3) | instskip(NEXT) | instid1(VALU_DEP_3)
	v_mul_lo_u32 v14, s7, v0
	v_mul_lo_u32 v15, s6, v10
	v_mad_co_u64_u32 v[10:11], null, s6, v0, 0
	s_wait_alu 0xfffd
	v_add_co_ci_u32_e64 v43, null, s9, v7, vcc_lo
	v_add_co_u32 v44, vcc_lo, s10, v6
	s_wait_alu 0xfffd
	v_add_co_ci_u32_e64 v45, null, s11, v7, vcc_lo
	v_add_co_u32 v0, vcc_lo, v4, 29
	v_add3_u32 v9, v9, v13, v12
	v_add3_u32 v11, v11, v15, v14
	s_wait_alu 0xfffd
	v_add_co_ci_u32_e64 v12, null, 0, v5, vcc_lo
	v_mul_lo_u32 v13, s7, v0
	v_lshlrev_b64_e32 v[6:7], 2, v[8:9]
	v_lshlrev_b64_e32 v[8:9], 2, v[10:11]
	s_delay_alu instid0(VALU_DEP_4) | instskip(SKIP_1) | instid1(VALU_DEP_4)
	v_mul_lo_u32 v12, s6, v12
	v_mad_co_u64_u32 v[10:11], null, s6, v0, 0
	v_add_co_u32 v46, vcc_lo, s8, v6
	s_wait_alu 0xfffd
	v_add_co_ci_u32_e64 v47, null, s9, v7, vcc_lo
	v_add_co_u32 v48, vcc_lo, s10, v6
	s_delay_alu instid0(VALU_DEP_4)
	v_add3_u32 v11, v11, v12, v13
	s_wait_alu 0xfffd
	v_add_co_ci_u32_e64 v49, null, s11, v7, vcc_lo
	v_add_co_u32 v50, vcc_lo, s8, v8
	s_wait_alu 0xfffd
	v_add_co_ci_u32_e64 v51, null, s9, v9, vcc_lo
	v_add_co_u32 v0, vcc_lo, v4, 28
	v_add_co_u32 v52, s3, s10, v8
	v_lshlrev_b64_e32 v[6:7], 2, v[10:11]
	s_wait_alu 0xfffd
	v_add_co_ci_u32_e64 v8, null, 0, v5, vcc_lo
	v_add_co_u32 v10, vcc_lo, v4, 27
	s_wait_alu 0xfffd
	v_add_co_ci_u32_e64 v11, null, 0, v5, vcc_lo
	s_wait_alu 0xf1ff
	v_add_co_ci_u32_e64 v53, null, s11, v9, s3
	v_mul_lo_u32 v12, s7, v0
	v_mul_lo_u32 v13, s6, v8
	v_mad_co_u64_u32 v[8:9], null, s6, v0, 0
	v_mul_lo_u32 v0, s7, v10
	v_mul_lo_u32 v14, s6, v11
	v_mad_co_u64_u32 v[10:11], null, s6, v10, 0
	v_add_co_u32 v54, vcc_lo, s8, v6
	s_wait_alu 0xfffd
	v_add_co_ci_u32_e64 v55, null, s9, v7, vcc_lo
	v_add_co_u32 v56, vcc_lo, s10, v6
	s_wait_alu 0xfffd
	v_add_co_ci_u32_e64 v57, null, s11, v7, vcc_lo
	v_add3_u32 v11, v11, v14, v0
	v_add_co_u32 v0, vcc_lo, v4, 26
	v_add3_u32 v9, v9, v13, v12
	s_wait_alu 0xfffd
	v_add_co_ci_u32_e64 v12, null, 0, v5, vcc_lo
	s_delay_alu instid0(VALU_DEP_3) | instskip(NEXT) | instid1(VALU_DEP_3)
	v_mul_lo_u32 v13, s7, v0
	v_lshlrev_b64_e32 v[6:7], 2, v[8:9]
	v_lshlrev_b64_e32 v[8:9], 2, v[10:11]
	s_delay_alu instid0(VALU_DEP_4) | instskip(SKIP_1) | instid1(VALU_DEP_4)
	v_mul_lo_u32 v12, s6, v12
	v_mad_co_u64_u32 v[10:11], null, s6, v0, 0
	v_add_co_u32 v58, vcc_lo, s8, v6
	s_wait_alu 0xfffd
	v_add_co_ci_u32_e64 v59, null, s9, v7, vcc_lo
	v_add_co_u32 v60, vcc_lo, s10, v6
	s_delay_alu instid0(VALU_DEP_4)
	v_add3_u32 v11, v11, v12, v13
	s_wait_alu 0xfffd
	v_add_co_ci_u32_e64 v61, null, s11, v7, vcc_lo
	v_add_co_u32 v62, vcc_lo, s8, v8
	s_wait_alu 0xfffd
	v_add_co_ci_u32_e64 v63, null, s9, v9, vcc_lo
	v_add_co_u32 v0, vcc_lo, v4, 25
	v_add_co_u32 v64, s3, s10, v8
	v_lshlrev_b64_e32 v[6:7], 2, v[10:11]
	s_wait_alu 0xfffd
	v_add_co_ci_u32_e64 v8, null, 0, v5, vcc_lo
	v_add_co_u32 v10, vcc_lo, v4, 24
	s_wait_alu 0xfffd
	v_add_co_ci_u32_e64 v11, null, 0, v5, vcc_lo
	s_wait_alu 0xf1ff
	v_add_co_ci_u32_e64 v65, null, s11, v9, s3
	v_mul_lo_u32 v12, s7, v0
	v_mul_lo_u32 v13, s6, v8
	v_mad_co_u64_u32 v[8:9], null, s6, v0, 0
	v_mul_lo_u32 v0, s7, v10
	v_mul_lo_u32 v14, s6, v11
	v_mad_co_u64_u32 v[10:11], null, s6, v10, 0
	v_add_co_u32 v66, vcc_lo, s8, v6
	s_wait_alu 0xfffd
	v_add_co_ci_u32_e64 v67, null, s9, v7, vcc_lo
	v_add_co_u32 v68, vcc_lo, s10, v6
	s_wait_alu 0xfffd
	v_add_co_ci_u32_e64 v69, null, s11, v7, vcc_lo
	v_add3_u32 v11, v11, v14, v0
	v_add_co_u32 v0, vcc_lo, v4, 23
	v_add3_u32 v9, v9, v13, v12
	s_wait_alu 0xfffd
	v_add_co_ci_u32_e64 v12, null, 0, v5, vcc_lo
	s_delay_alu instid0(VALU_DEP_3) | instskip(NEXT) | instid1(VALU_DEP_3)
	;; [unrolled: 45-line block ×6, first 2 shown]
	v_mul_lo_u32 v13, s7, v0
	v_lshlrev_b64_e32 v[6:7], 2, v[8:9]
	v_lshlrev_b64_e32 v[8:9], 2, v[10:11]
	s_delay_alu instid0(VALU_DEP_4) | instskip(SKIP_1) | instid1(VALU_DEP_4)
	v_mul_lo_u32 v12, s6, v12
	v_mad_co_u64_u32 v[10:11], null, s6, v0, 0
	v_add_co_u32 v118, vcc_lo, s8, v6
	s_wait_alu 0xfffd
	v_add_co_ci_u32_e64 v119, null, s9, v7, vcc_lo
	v_add_co_u32 v0, vcc_lo, s10, v6
	s_delay_alu instid0(VALU_DEP_4)
	v_add3_u32 v11, v11, v12, v13
	s_wait_alu 0xfffd
	v_add_co_ci_u32_e64 v120, null, s11, v7, vcc_lo
	v_add_co_u32 v121, vcc_lo, s8, v8
	s_wait_alu 0xfffd
	v_add_co_ci_u32_e64 v122, null, s9, v9, vcc_lo
	v_add_co_u32 v12, vcc_lo, v4, 10
	v_add_co_u32 v123, s3, s10, v8
	v_lshlrev_b64_e32 v[6:7], 2, v[10:11]
	s_wait_alu 0xfffd
	v_add_co_ci_u32_e64 v8, null, 0, v5, vcc_lo
	v_add_co_u32 v10, vcc_lo, v4, 9
	s_wait_alu 0xfffd
	v_add_co_ci_u32_e64 v11, null, 0, v5, vcc_lo
	s_wait_alu 0xf1ff
	v_add_co_ci_u32_e64 v124, null, s11, v9, s3
	v_mul_lo_u32 v13, s7, v12
	v_mul_lo_u32 v14, s6, v8
	v_mad_co_u64_u32 v[8:9], null, s6, v12, 0
	v_mul_lo_u32 v12, s7, v10
	v_mul_lo_u32 v15, s6, v11
	v_mad_co_u64_u32 v[10:11], null, s6, v10, 0
	v_add_co_u32 v125, vcc_lo, s8, v6
	s_wait_alu 0xfffd
	v_add_co_ci_u32_e64 v126, null, s9, v7, vcc_lo
	v_add_co_u32 v127, vcc_lo, s10, v6
	v_add3_u32 v9, v9, v14, v13
	s_wait_alu 0xfffd
	v_add_co_ci_u32_e64 v128, null, s11, v7, vcc_lo
	v_add3_u32 v11, v11, v15, v12
	v_add_co_u32 v12, vcc_lo, v4, 8
	s_wait_alu 0xfffd
	v_add_co_ci_u32_e64 v13, null, 0, v5, vcc_lo
	v_lshlrev_b64_e32 v[6:7], 2, v[8:9]
	v_lshlrev_b64_e32 v[8:9], 2, v[10:11]
	v_mul_lo_u32 v14, s7, v12
	s_delay_alu instid0(VALU_DEP_4)
	v_mul_lo_u32 v13, s6, v13
	v_mad_co_u64_u32 v[10:11], null, s6, v12, 0
	v_add_co_u32 v129, vcc_lo, s8, v6
	s_wait_alu 0xfffd
	v_add_co_ci_u32_e64 v130, null, s9, v7, vcc_lo
	v_add_co_u32 v131, vcc_lo, s10, v6
	s_wait_alu 0xfffd
	v_add_co_ci_u32_e64 v132, null, s11, v7, vcc_lo
	v_add_co_u32 v133, vcc_lo, s8, v8
	v_add3_u32 v11, v11, v13, v14
	s_wait_alu 0xfffd
	v_add_co_ci_u32_e64 v134, null, s9, v9, vcc_lo
	v_add_co_u32 v12, vcc_lo, v4, 7
	v_add_co_u32 v135, s3, s10, v8
	s_wait_alu 0xfffd
	v_add_co_ci_u32_e64 v8, null, 0, v5, vcc_lo
	v_lshlrev_b64_e32 v[6:7], 2, v[10:11]
	v_add_co_u32 v10, vcc_lo, v4, 6
	s_wait_alu 0xfffd
	v_add_co_ci_u32_e64 v11, null, 0, v5, vcc_lo
	s_wait_alu 0xf1ff
	v_add_co_ci_u32_e64 v136, null, s11, v9, s3
	v_mul_lo_u32 v13, s7, v12
	v_mul_lo_u32 v14, s6, v8
	v_mad_co_u64_u32 v[8:9], null, s6, v12, 0
	v_mul_lo_u32 v12, s7, v10
	v_mul_lo_u32 v15, s6, v11
	v_mad_co_u64_u32 v[10:11], null, s6, v10, 0
	v_add_co_u32 v137, vcc_lo, s8, v6
	v_add3_u32 v9, v9, v14, v13
	s_wait_alu 0xfffd
	v_add_co_ci_u32_e64 v138, null, s9, v7, vcc_lo
	v_add_co_u32 v139, vcc_lo, s10, v6
	s_wait_alu 0xfffd
	v_add_co_ci_u32_e64 v140, null, s11, v7, vcc_lo
	v_add3_u32 v11, v11, v15, v12
	v_add_co_u32 v12, vcc_lo, v4, 5
	v_lshlrev_b64_e32 v[6:7], 2, v[8:9]
	s_wait_alu 0xfffd
	v_add_co_ci_u32_e64 v13, null, 0, v5, vcc_lo
	v_lshlrev_b64_e32 v[8:9], 2, v[10:11]
	v_mul_lo_u32 v14, s7, v12
	v_mad_co_u64_u32 v[10:11], null, s6, v12, 0
	v_add_co_u32 v141, vcc_lo, s8, v6
	v_mul_lo_u32 v13, s6, v13
	s_wait_alu 0xfffd
	v_add_co_ci_u32_e64 v142, null, s9, v7, vcc_lo
	v_add_co_u32 v143, vcc_lo, s10, v6
	s_wait_alu 0xfffd
	v_add_co_ci_u32_e64 v144, null, s11, v7, vcc_lo
	v_add_co_u32 v145, vcc_lo, s8, v8
	;; [unrolled: 3-line block ×3, first 2 shown]
	v_add3_u32 v11, v11, v13, v14
	v_add_co_u32 v147, s3, s10, v8
	s_wait_alu 0xfffd
	v_add_co_ci_u32_e64 v8, null, 0, v5, vcc_lo
	s_wait_alu 0xf1ff
	v_add_co_ci_u32_e64 v148, null, s11, v9, s3
	v_lshlrev_b64_e32 v[6:7], 2, v[10:11]
	v_mul_lo_u32 v13, s7, v12
	v_add_co_u32 v10, vcc_lo, v4, 3
	v_mul_lo_u32 v14, s6, v8
	v_mad_co_u64_u32 v[8:9], null, s6, v12, 0
	s_wait_alu 0xfffd
	v_add_co_ci_u32_e64 v11, null, 0, v5, vcc_lo
	v_mul_lo_u32 v12, s7, v10
	v_add_co_u32 v149, vcc_lo, s8, v6
	s_delay_alu instid0(VALU_DEP_3)
	v_mul_lo_u32 v15, s6, v11
	v_mad_co_u64_u32 v[10:11], null, s6, v10, 0
	v_add3_u32 v9, v9, v14, v13
	s_wait_alu 0xfffd
	v_add_co_ci_u32_e64 v150, null, s9, v7, vcc_lo
	v_add_co_u32 v151, vcc_lo, s10, v6
	s_wait_alu 0xfffd
	v_add_co_ci_u32_e64 v152, null, s11, v7, vcc_lo
	v_lshlrev_b64_e32 v[6:7], 2, v[8:9]
	v_add_co_u32 v8, vcc_lo, v4, 2
	v_add3_u32 v11, v11, v15, v12
	s_wait_alu 0xfffd
	v_add_co_ci_u32_e64 v9, null, 0, v5, vcc_lo
	s_delay_alu instid0(VALU_DEP_4) | instskip(NEXT) | instid1(VALU_DEP_3)
	v_add_co_u32 v153, vcc_lo, s8, v6
	v_lshlrev_b64_e32 v[4:5], 2, v[10:11]
	v_mul_lo_u32 v10, s7, v8
	s_delay_alu instid0(VALU_DEP_4)
	v_mul_lo_u32 v11, s6, v9
	v_mad_co_u64_u32 v[8:9], null, s6, v8, 0
	s_wait_alu 0xfffd
	v_add_co_ci_u32_e64 v154, null, s9, v7, vcc_lo
	v_add_co_u32 v155, vcc_lo, s10, v6
	s_wait_alu 0xfffd
	v_add_co_ci_u32_e64 v156, null, s11, v7, vcc_lo
	v_add_co_u32 v157, vcc_lo, s8, v4
	s_wait_alu 0xfffd
	v_add_co_ci_u32_e64 v158, null, s9, v5, vcc_lo
	v_add3_u32 v9, v9, v11, v10
	v_add_co_u32 v159, vcc_lo, s10, v4
	s_wait_alu 0xfffd
	v_add_co_ci_u32_e64 v160, null, s11, v5, vcc_lo
	v_add_co_u32 v2, vcc_lo, v2, s6
	s_wait_alu 0xfffd
	v_add_co_ci_u32_e64 v3, null, s7, v3, vcc_lo
	v_lshlrev_b64_e32 v[4:5], 2, v[8:9]
	s_delay_alu instid0(VALU_DEP_2) | instskip(NEXT) | instid1(VALU_DEP_2)
	v_lshlrev_b64_e32 v[2:3], 2, v[2:3]
	v_add_co_u32 v161, vcc_lo, s8, v4
	s_wait_alu 0xfffd
	s_delay_alu instid0(VALU_DEP_3)
	v_add_co_ci_u32_e64 v162, null, s9, v5, vcc_lo
	v_add_co_u32 v163, vcc_lo, s10, v4
	s_wait_alu 0xfffd
	v_add_co_ci_u32_e64 v164, null, s11, v5, vcc_lo
	v_add_co_u32 v165, vcc_lo, s8, v2
	s_wait_alu 0xfffd
	;; [unrolled: 3-line block ×3, first 2 shown]
	v_add_co_ci_u32_e64 v168, null, s11, v3, vcc_lo
.LBB153_3:                              ; =>This Inner Loop Header: Depth=1
	s_add_nc_u64 s[30:31], s[14:15], s[24:25]
	v_add_co_u32 v36, vcc_lo, s14, v39
	s_wait_alu 0xfffe
	v_cmp_ge_i64_e64 s3, s[30:31], s[4:5]
	s_wait_alu 0xfffd
	v_add_co_ci_u32_e64 v37, null, 0, v41, vcc_lo
                                        ; implicit-def: $vgpr2_vgpr3_vgpr4_vgpr5_vgpr6_vgpr7_vgpr8_vgpr9_vgpr10_vgpr11_vgpr12_vgpr13_vgpr14_vgpr15_vgpr16_vgpr17_vgpr18_vgpr19_vgpr20_vgpr21_vgpr22_vgpr23_vgpr24_vgpr25_vgpr26_vgpr27_vgpr28_vgpr29_vgpr30_vgpr31_vgpr32_vgpr33
                                        ; implicit-def: $vgpr202
                                        ; implicit-def: $vgpr194
                                        ; implicit-def: $vgpr2
	s_and_b32 vcc_lo, exec_lo, s3
	s_mov_b32 s3, -1
	s_wait_alu 0xfffe
	s_cbranch_vccz .LBB153_71
; %bb.4:                                ;   in Loop: Header=BB153_3 Depth=1
	s_load_b32 s3, s[18:19], 0xc
	v_dual_mov_b32 v170, 0 :: v_dual_mov_b32 v171, 0
	s_wait_kmcnt 0x0
	s_and_b32 s3, s3, 0xffff
	s_wait_alu 0xfffe
	v_mad_u32_u24 v2, v38, s3, v40
	s_mov_b32 s3, exec_lo
	s_delay_alu instid0(VALU_DEP_1) | instskip(NEXT) | instid1(VALU_DEP_1)
	v_and_b32_e32 v2, 31, v2
	v_add_co_u32 v2, vcc_lo, v36, v2
	s_wait_alu 0xfffd
	v_add_co_ci_u32_e64 v3, null, 0, v37, vcc_lo
	s_delay_alu instid0(VALU_DEP_1)
	v_cmpx_gt_i64_e64 s[4:5], v[2:3]
	s_cbranch_execz .LBB153_6
; %bb.5:                                ;   in Loop: Header=BB153_3 Depth=1
	v_lshlrev_b64_e32 v[2:3], 2, v[2:3]
	s_delay_alu instid0(VALU_DEP_1) | instskip(SKIP_1) | instid1(VALU_DEP_2)
	v_add_co_u32 v2, vcc_lo, s12, v2
	s_wait_alu 0xfffd
	v_add_co_ci_u32_e64 v3, null, s13, v3, vcc_lo
	global_load_b32 v170, v[2:3], off
.LBB153_6:                              ;   in Loop: Header=BB153_3 Depth=1
	s_wait_alu 0xfffe
	s_or_b32 exec_lo, exec_lo, s3
	v_mov_b32_e32 v32, v1
	v_cmp_gt_i64_e32 vcc_lo, s[4:5], v[36:37]
	v_dual_mov_b32 v2, v1 :: v_dual_mov_b32 v3, v1
	v_dual_mov_b32 v4, v1 :: v_dual_mov_b32 v5, v1
	v_dual_mov_b32 v6, v1 :: v_dual_mov_b32 v7, v1
	v_dual_mov_b32 v8, v1 :: v_dual_mov_b32 v9, v1
	v_dual_mov_b32 v10, v1 :: v_dual_mov_b32 v11, v1
	v_dual_mov_b32 v12, v1 :: v_dual_mov_b32 v13, v1
	v_dual_mov_b32 v14, v1 :: v_dual_mov_b32 v15, v1
	v_dual_mov_b32 v16, v1 :: v_dual_mov_b32 v17, v1
	v_dual_mov_b32 v18, v1 :: v_dual_mov_b32 v19, v1
	v_dual_mov_b32 v20, v1 :: v_dual_mov_b32 v21, v1
	v_dual_mov_b32 v22, v1 :: v_dual_mov_b32 v23, v1
	v_dual_mov_b32 v24, v1 :: v_dual_mov_b32 v25, v1
	v_dual_mov_b32 v26, v1 :: v_dual_mov_b32 v27, v1
	v_dual_mov_b32 v28, v1 :: v_dual_mov_b32 v29, v1
	v_dual_mov_b32 v30, v1 :: v_dual_mov_b32 v31, v1
	v_mov_b32_e32 v33, v32
	s_delay_alu instid0(VALU_DEP_2) | instskip(NEXT) | instid1(VALU_DEP_3)
	v_mov_b32_e32 v32, v31
	v_mov_b32_e32 v31, v30
	;; [unrolled: 1-line block ×31, first 2 shown]
	s_and_b32 s16, s2, vcc_lo
	s_delay_alu instid0(SALU_CYCLE_1)
	s_and_saveexec_b32 s3, s16
	s_cbranch_execz .LBB153_8
; %bb.7:                                ;   in Loop: Header=BB153_3 Depth=1
	v_add_co_u32 v2, vcc_lo, v42, v34
	s_wait_alu 0xfffd
	v_add_co_ci_u32_e64 v3, null, v43, v35, vcc_lo
	v_add_co_u32 v4, vcc_lo, v44, v34
	s_wait_alu 0xfffd
	v_add_co_ci_u32_e64 v5, null, v45, v35, vcc_lo
	global_load_b32 v2, v[2:3], off
	global_load_b32 v171, v[4:5], off
	v_dual_mov_b32 v3, v1 :: v_dual_mov_b32 v4, v1
	v_dual_mov_b32 v5, v1 :: v_dual_mov_b32 v6, v1
	;; [unrolled: 1-line block ×15, first 2 shown]
	v_mov_b32_e32 v33, v1
.LBB153_8:                              ;   in Loop: Header=BB153_3 Depth=1
	s_wait_alu 0xfffe
	s_or_b32 exec_lo, exec_lo, s3
	v_add_co_u32 v172, vcc_lo, v36, 1
	s_wait_alu 0xfffd
	v_add_co_ci_u32_e64 v173, null, 0, v37, vcc_lo
	s_delay_alu instid0(VALU_DEP_1) | instskip(SKIP_2) | instid1(SALU_CYCLE_1)
	v_cmp_gt_i64_e32 vcc_lo, s[4:5], v[172:173]
	v_dual_mov_b32 v172, 0 :: v_dual_mov_b32 v173, 0
	s_and_b32 s16, s2, vcc_lo
	s_and_saveexec_b32 s3, s16
	s_cbranch_execz .LBB153_10
; %bb.9:                                ;   in Loop: Header=BB153_3 Depth=1
	v_add_co_u32 v173, vcc_lo, v165, v34
	s_wait_alu 0xfffd
	v_add_co_ci_u32_e64 v174, null, v166, v35, vcc_lo
	v_add_co_u32 v175, vcc_lo, v167, v34
	s_wait_alu 0xfffd
	v_add_co_ci_u32_e64 v176, null, v168, v35, vcc_lo
	global_load_b32 v3, v[173:174], off
	global_load_b32 v173, v[175:176], off
.LBB153_10:                             ;   in Loop: Header=BB153_3 Depth=1
	s_wait_alu 0xfffe
	s_or_b32 exec_lo, exec_lo, s3
	v_add_co_u32 v174, vcc_lo, v36, 2
	s_wait_alu 0xfffd
	v_add_co_ci_u32_e64 v175, null, 0, v37, vcc_lo
	s_delay_alu instid0(VALU_DEP_1) | instskip(SKIP_1) | instid1(SALU_CYCLE_1)
	v_cmp_gt_i64_e32 vcc_lo, s[4:5], v[174:175]
	s_and_b32 s16, s2, vcc_lo
	s_and_saveexec_b32 s3, s16
	s_cbranch_execz .LBB153_12
; %bb.11:                               ;   in Loop: Header=BB153_3 Depth=1
	v_add_co_u32 v174, vcc_lo, v161, v34
	s_wait_alu 0xfffd
	v_add_co_ci_u32_e64 v175, null, v162, v35, vcc_lo
	v_add_co_u32 v176, vcc_lo, v163, v34
	s_wait_alu 0xfffd
	v_add_co_ci_u32_e64 v177, null, v164, v35, vcc_lo
	global_load_b32 v4, v[174:175], off
	global_load_b32 v172, v[176:177], off
.LBB153_12:                             ;   in Loop: Header=BB153_3 Depth=1
	s_wait_alu 0xfffe
	s_or_b32 exec_lo, exec_lo, s3
	v_add_co_u32 v174, vcc_lo, v36, 3
	s_wait_alu 0xfffd
	v_add_co_ci_u32_e64 v175, null, 0, v37, vcc_lo
	s_delay_alu instid0(VALU_DEP_1) | instskip(SKIP_2) | instid1(SALU_CYCLE_1)
	v_cmp_gt_i64_e32 vcc_lo, s[4:5], v[174:175]
	v_dual_mov_b32 v174, 0 :: v_dual_mov_b32 v175, 0
	s_and_b32 s16, s2, vcc_lo
	s_and_saveexec_b32 s3, s16
	s_cbranch_execz .LBB153_14
; %bb.13:                               ;   in Loop: Header=BB153_3 Depth=1
	v_add_co_u32 v175, vcc_lo, v157, v34
	s_wait_alu 0xfffd
	v_add_co_ci_u32_e64 v176, null, v158, v35, vcc_lo
	v_add_co_u32 v177, vcc_lo, v159, v34
	s_wait_alu 0xfffd
	v_add_co_ci_u32_e64 v178, null, v160, v35, vcc_lo
	global_load_b32 v5, v[175:176], off
	global_load_b32 v175, v[177:178], off
.LBB153_14:                             ;   in Loop: Header=BB153_3 Depth=1
	s_wait_alu 0xfffe
	s_or_b32 exec_lo, exec_lo, s3
	v_add_co_u32 v176, vcc_lo, v36, 4
	s_wait_alu 0xfffd
	v_add_co_ci_u32_e64 v177, null, 0, v37, vcc_lo
	s_delay_alu instid0(VALU_DEP_1) | instskip(SKIP_1) | instid1(SALU_CYCLE_1)
	v_cmp_gt_i64_e32 vcc_lo, s[4:5], v[176:177]
	s_and_b32 s16, s2, vcc_lo
	s_and_saveexec_b32 s3, s16
	s_cbranch_execz .LBB153_16
; %bb.15:                               ;   in Loop: Header=BB153_3 Depth=1
	v_add_co_u32 v176, vcc_lo, v153, v34
	s_wait_alu 0xfffd
	v_add_co_ci_u32_e64 v177, null, v154, v35, vcc_lo
	v_add_co_u32 v178, vcc_lo, v155, v34
	s_wait_alu 0xfffd
	v_add_co_ci_u32_e64 v179, null, v156, v35, vcc_lo
	global_load_b32 v6, v[176:177], off
	global_load_b32 v174, v[178:179], off
.LBB153_16:                             ;   in Loop: Header=BB153_3 Depth=1
	s_wait_alu 0xfffe
	s_or_b32 exec_lo, exec_lo, s3
	v_add_co_u32 v176, vcc_lo, v36, 5
	s_wait_alu 0xfffd
	v_add_co_ci_u32_e64 v177, null, 0, v37, vcc_lo
	s_delay_alu instid0(VALU_DEP_1) | instskip(SKIP_2) | instid1(SALU_CYCLE_1)
	v_cmp_gt_i64_e32 vcc_lo, s[4:5], v[176:177]
	v_dual_mov_b32 v176, 0 :: v_dual_mov_b32 v177, 0
	s_and_b32 s16, s2, vcc_lo
	s_and_saveexec_b32 s3, s16
	s_cbranch_execz .LBB153_18
; %bb.17:                               ;   in Loop: Header=BB153_3 Depth=1
	v_add_co_u32 v177, vcc_lo, v149, v34
	s_wait_alu 0xfffd
	v_add_co_ci_u32_e64 v178, null, v150, v35, vcc_lo
	v_add_co_u32 v179, vcc_lo, v151, v34
	s_wait_alu 0xfffd
	v_add_co_ci_u32_e64 v180, null, v152, v35, vcc_lo
	global_load_b32 v7, v[177:178], off
	global_load_b32 v177, v[179:180], off
.LBB153_18:                             ;   in Loop: Header=BB153_3 Depth=1
	;; [unrolled: 41-line block ×10, first 2 shown]
	s_wait_alu 0xfffe
	s_or_b32 exec_lo, exec_lo, s3
	v_add_co_u32 v194, vcc_lo, v36, 22
	s_wait_alu 0xfffd
	v_add_co_ci_u32_e64 v195, null, 0, v37, vcc_lo
	s_delay_alu instid0(VALU_DEP_1) | instskip(SKIP_1) | instid1(SALU_CYCLE_1)
	v_cmp_gt_i64_e32 vcc_lo, s[4:5], v[194:195]
	s_and_b32 s16, s2, vcc_lo
	s_and_saveexec_b32 s3, s16
	s_cbranch_execz .LBB153_52
; %bb.51:                               ;   in Loop: Header=BB153_3 Depth=1
	v_add_co_u32 v194, vcc_lo, v82, v34
	s_wait_alu 0xfffd
	v_add_co_ci_u32_e64 v195, null, v83, v35, vcc_lo
	v_add_co_u32 v196, vcc_lo, v84, v34
	s_wait_alu 0xfffd
	v_add_co_ci_u32_e64 v197, null, v85, v35, vcc_lo
	global_load_b32 v24, v[194:195], off
	global_load_b32 v192, v[196:197], off
.LBB153_52:                             ;   in Loop: Header=BB153_3 Depth=1
	s_wait_alu 0xfffe
	s_or_b32 exec_lo, exec_lo, s3
	v_add_co_u32 v194, vcc_lo, v36, 23
	s_wait_alu 0xfffd
	v_add_co_ci_u32_e64 v195, null, 0, v37, vcc_lo
	v_mov_b32_e32 v196, 0
	s_delay_alu instid0(VALU_DEP_2) | instskip(SKIP_2) | instid1(SALU_CYCLE_1)
	v_cmp_gt_i64_e32 vcc_lo, s[4:5], v[194:195]
	v_mov_b32_e32 v195, 0
	s_and_b32 s16, s2, vcc_lo
	s_and_saveexec_b32 s3, s16
	s_cbranch_execz .LBB153_54
; %bb.53:                               ;   in Loop: Header=BB153_3 Depth=1
	v_add_co_u32 v196, vcc_lo, v78, v34
	s_wait_alu 0xfffd
	v_add_co_ci_u32_e64 v197, null, v79, v35, vcc_lo
	v_add_co_u32 v198, vcc_lo, v80, v34
	s_wait_alu 0xfffd
	v_add_co_ci_u32_e64 v199, null, v81, v35, vcc_lo
	global_load_b32 v25, v[196:197], off
	global_load_b32 v196, v[198:199], off
.LBB153_54:                             ;   in Loop: Header=BB153_3 Depth=1
	s_wait_alu 0xfffe
	s_or_b32 exec_lo, exec_lo, s3
	v_add_co_u32 v197, vcc_lo, v36, 24
	s_wait_alu 0xfffd
	v_add_co_ci_u32_e64 v198, null, 0, v37, vcc_lo
	s_delay_alu instid0(VALU_DEP_1) | instskip(SKIP_1) | instid1(SALU_CYCLE_1)
	v_cmp_gt_i64_e32 vcc_lo, s[4:5], v[197:198]
	s_and_b32 s16, s2, vcc_lo
	s_and_saveexec_b32 s3, s16
	s_cbranch_execz .LBB153_56
; %bb.55:                               ;   in Loop: Header=BB153_3 Depth=1
	v_add_co_u32 v194, vcc_lo, v74, v34
	s_wait_alu 0xfffd
	v_add_co_ci_u32_e64 v195, null, v75, v35, vcc_lo
	v_add_co_u32 v197, vcc_lo, v76, v34
	s_wait_alu 0xfffd
	v_add_co_ci_u32_e64 v198, null, v77, v35, vcc_lo
	global_load_b32 v26, v[194:195], off
	global_load_b32 v195, v[197:198], off
.LBB153_56:                             ;   in Loop: Header=BB153_3 Depth=1
	s_wait_alu 0xfffe
	s_or_b32 exec_lo, exec_lo, s3
	v_add_co_u32 v197, vcc_lo, v36, 25
	s_wait_alu 0xfffd
	v_add_co_ci_u32_e64 v198, null, 0, v37, vcc_lo
	s_delay_alu instid0(VALU_DEP_1) | instskip(SKIP_2) | instid1(SALU_CYCLE_1)
	v_cmp_gt_i64_e32 vcc_lo, s[4:5], v[197:198]
	v_dual_mov_b32 v197, 0 :: v_dual_mov_b32 v198, 0
	s_and_b32 s16, s2, vcc_lo
	s_and_saveexec_b32 s3, s16
	s_cbranch_execz .LBB153_58
; %bb.57:                               ;   in Loop: Header=BB153_3 Depth=1
	v_add_co_u32 v198, vcc_lo, v70, v34
	s_wait_alu 0xfffd
	v_add_co_ci_u32_e64 v199, null, v71, v35, vcc_lo
	v_add_co_u32 v200, vcc_lo, v72, v34
	s_wait_alu 0xfffd
	v_add_co_ci_u32_e64 v201, null, v73, v35, vcc_lo
	global_load_b32 v27, v[198:199], off
	global_load_b32 v198, v[200:201], off
.LBB153_58:                             ;   in Loop: Header=BB153_3 Depth=1
	s_wait_alu 0xfffe
	s_or_b32 exec_lo, exec_lo, s3
	v_add_co_u32 v199, vcc_lo, v36, 26
	s_wait_alu 0xfffd
	v_add_co_ci_u32_e64 v200, null, 0, v37, vcc_lo
	s_delay_alu instid0(VALU_DEP_1) | instskip(SKIP_1) | instid1(SALU_CYCLE_1)
	v_cmp_gt_i64_e32 vcc_lo, s[4:5], v[199:200]
	s_and_b32 s16, s2, vcc_lo
	s_and_saveexec_b32 s3, s16
	s_cbranch_execz .LBB153_60
; %bb.59:                               ;   in Loop: Header=BB153_3 Depth=1
	v_add_co_u32 v199, vcc_lo, v66, v34
	s_wait_alu 0xfffd
	v_add_co_ci_u32_e64 v200, null, v67, v35, vcc_lo
	v_add_co_u32 v201, vcc_lo, v68, v34
	s_wait_alu 0xfffd
	v_add_co_ci_u32_e64 v202, null, v69, v35, vcc_lo
	global_load_b32 v28, v[199:200], off
	global_load_b32 v197, v[201:202], off
.LBB153_60:                             ;   in Loop: Header=BB153_3 Depth=1
	s_wait_alu 0xfffe
	s_or_b32 exec_lo, exec_lo, s3
	v_add_co_u32 v199, vcc_lo, v36, 27
	s_wait_alu 0xfffd
	v_add_co_ci_u32_e64 v200, null, 0, v37, vcc_lo
	s_delay_alu instid0(VALU_DEP_1) | instskip(SKIP_2) | instid1(SALU_CYCLE_1)
	v_cmp_gt_i64_e32 vcc_lo, s[4:5], v[199:200]
	v_dual_mov_b32 v199, 0 :: v_dual_mov_b32 v200, 0
	s_and_b32 s16, s2, vcc_lo
	s_and_saveexec_b32 s3, s16
	s_cbranch_execz .LBB153_62
; %bb.61:                               ;   in Loop: Header=BB153_3 Depth=1
	v_add_co_u32 v200, vcc_lo, v62, v34
	s_wait_alu 0xfffd
	v_add_co_ci_u32_e64 v201, null, v63, v35, vcc_lo
	v_add_co_u32 v202, vcc_lo, v64, v34
	s_wait_alu 0xfffd
	v_add_co_ci_u32_e64 v203, null, v65, v35, vcc_lo
	global_load_b32 v29, v[200:201], off
	global_load_b32 v200, v[202:203], off
.LBB153_62:                             ;   in Loop: Header=BB153_3 Depth=1
	s_wait_alu 0xfffe
	s_or_b32 exec_lo, exec_lo, s3
	v_add_co_u32 v201, vcc_lo, v36, 28
	s_wait_alu 0xfffd
	v_add_co_ci_u32_e64 v202, null, 0, v37, vcc_lo
	s_delay_alu instid0(VALU_DEP_1) | instskip(SKIP_1) | instid1(SALU_CYCLE_1)
	v_cmp_gt_i64_e32 vcc_lo, s[4:5], v[201:202]
	s_and_b32 s16, s2, vcc_lo
	s_and_saveexec_b32 s3, s16
	s_cbranch_execz .LBB153_64
; %bb.63:                               ;   in Loop: Header=BB153_3 Depth=1
	v_add_co_u32 v201, vcc_lo, v58, v34
	s_wait_alu 0xfffd
	v_add_co_ci_u32_e64 v202, null, v59, v35, vcc_lo
	v_add_co_u32 v203, vcc_lo, v60, v34
	s_wait_alu 0xfffd
	v_add_co_ci_u32_e64 v204, null, v61, v35, vcc_lo
	global_load_b32 v30, v[201:202], off
	global_load_b32 v199, v[203:204], off
.LBB153_64:                             ;   in Loop: Header=BB153_3 Depth=1
	s_wait_alu 0xfffe
	s_or_b32 exec_lo, exec_lo, s3
	v_add_co_u32 v201, vcc_lo, v36, 29
	s_wait_alu 0xfffd
	v_add_co_ci_u32_e64 v202, null, 0, v37, vcc_lo
	v_mov_b32_e32 v203, 0
	s_delay_alu instid0(VALU_DEP_2) | instskip(SKIP_2) | instid1(SALU_CYCLE_1)
	v_cmp_gt_i64_e32 vcc_lo, s[4:5], v[201:202]
	v_mov_b32_e32 v201, 0
	s_and_b32 s16, s2, vcc_lo
	s_and_saveexec_b32 s3, s16
	s_cbranch_execz .LBB153_66
; %bb.65:                               ;   in Loop: Header=BB153_3 Depth=1
	v_add_co_u32 v202, vcc_lo, v54, v34
	s_wait_alu 0xfffd
	v_add_co_ci_u32_e64 v203, null, v55, v35, vcc_lo
	v_add_co_u32 v204, vcc_lo, v56, v34
	s_wait_alu 0xfffd
	v_add_co_ci_u32_e64 v205, null, v57, v35, vcc_lo
	global_load_b32 v31, v[202:203], off
	global_load_b32 v203, v[204:205], off
.LBB153_66:                             ;   in Loop: Header=BB153_3 Depth=1
	s_wait_alu 0xfffe
	s_or_b32 exec_lo, exec_lo, s3
	v_add_co_u32 v204, vcc_lo, v36, 30
	s_wait_alu 0xfffd
	v_add_co_ci_u32_e64 v205, null, 0, v37, vcc_lo
	s_delay_alu instid0(VALU_DEP_1) | instskip(SKIP_1) | instid1(SALU_CYCLE_1)
	v_cmp_gt_i64_e32 vcc_lo, s[4:5], v[204:205]
	s_and_b32 s16, s2, vcc_lo
	s_and_saveexec_b32 s3, s16
	s_cbranch_execz .LBB153_68
; %bb.67:                               ;   in Loop: Header=BB153_3 Depth=1
	v_add_co_u32 v201, vcc_lo, v50, v34
	s_wait_alu 0xfffd
	v_add_co_ci_u32_e64 v202, null, v51, v35, vcc_lo
	v_add_co_u32 v204, vcc_lo, v52, v34
	s_wait_alu 0xfffd
	v_add_co_ci_u32_e64 v205, null, v53, v35, vcc_lo
	global_load_b32 v32, v[201:202], off
	global_load_b32 v201, v[204:205], off
.LBB153_68:                             ;   in Loop: Header=BB153_3 Depth=1
	s_wait_alu 0xfffe
	s_or_b32 exec_lo, exec_lo, s3
	v_add_co_u32 v204, vcc_lo, v36, 31
	s_wait_alu 0xfffd
	v_add_co_ci_u32_e64 v205, null, 0, v37, vcc_lo
	v_mov_b32_e32 v194, 0
	s_delay_alu instid0(VALU_DEP_2) | instskip(SKIP_1) | instid1(SALU_CYCLE_1)
	v_cmp_gt_i64_e32 vcc_lo, s[4:5], v[204:205]
	s_and_b32 s16, s2, vcc_lo
	s_and_saveexec_b32 s3, s16
	s_cbranch_execz .LBB153_70
; %bb.69:                               ;   in Loop: Header=BB153_3 Depth=1
	v_add_co_u32 v204, vcc_lo, v46, v34
	s_wait_alu 0xfffd
	v_add_co_ci_u32_e64 v205, null, v47, v35, vcc_lo
	v_add_co_u32 v206, vcc_lo, v48, v34
	s_wait_alu 0xfffd
	v_add_co_ci_u32_e64 v207, null, v49, v35, vcc_lo
	global_load_b32 v33, v[204:205], off
	global_load_b32 v194, v[206:207], off
.LBB153_70:                             ;   in Loop: Header=BB153_3 Depth=1
	s_wait_alu 0xfffe
	s_or_b32 exec_lo, exec_lo, s3
	s_wait_loadcnt 0x0
	ds_bpermute_b32 v202, v1, v170
	ds_bpermute_b32 v204, v1, v170 offset:4
	ds_bpermute_b32 v205, v1, v170 offset:8
	v_dual_mul_f32 v2, v171, v2 :: v_dual_mul_f32 v3, v173, v3
	ds_bpermute_b32 v171, v1, v170 offset:12
	ds_bpermute_b32 v173, v1, v170 offset:16
	s_mov_b32 s3, 0
	s_wait_dscnt 0x4
	v_fma_f32 v202, v2, v202, v169
	v_mul_f32_e32 v2, v172, v4
	ds_bpermute_b32 v4, v1, v170 offset:20
	s_wait_dscnt 0x4
	v_fmac_f32_e32 v202, v3, v204
	v_mul_f32_e32 v3, v175, v5
	ds_bpermute_b32 v5, v1, v170 offset:24
	s_wait_dscnt 0x4
	v_fmac_f32_e32 v202, v2, v205
	;; [unrolled: 4-line block ×6, first 2 shown]
	v_mul_f32_e32 v2, v178, v10
	ds_bpermute_b32 v5, v1, v170 offset:44
	s_wait_dscnt 0x4
	v_dual_fmac_f32 v202, v3, v6 :: v_dual_mul_f32 v3, v181, v11
	ds_bpermute_b32 v6, v1, v170 offset:48
	s_wait_dscnt 0x4
	v_fmac_f32_e32 v202, v2, v7
	v_mul_f32_e32 v2, v180, v12
	ds_bpermute_b32 v7, v1, v170 offset:52
	s_wait_dscnt 0x4
	v_fmac_f32_e32 v202, v3, v8
	v_mul_f32_e32 v3, v183, v13
	ds_bpermute_b32 v8, v1, v170 offset:56
	s_wait_dscnt 0x4
	v_fmac_f32_e32 v202, v2, v4
	v_mul_f32_e32 v2, v182, v14
	ds_bpermute_b32 v4, v1, v170 offset:60
	s_wait_dscnt 0x4
	v_dual_fmac_f32 v202, v3, v5 :: v_dual_mul_f32 v3, v185, v15
	ds_bpermute_b32 v5, v1, v170 offset:64
	s_wait_dscnt 0x4
	v_fmac_f32_e32 v202, v2, v6
	v_mul_f32_e32 v2, v184, v16
	ds_bpermute_b32 v6, v1, v170 offset:68
	s_wait_dscnt 0x4
	v_fmac_f32_e32 v202, v3, v7
	v_mul_f32_e32 v3, v187, v17
	ds_bpermute_b32 v7, v1, v170 offset:72
	s_wait_dscnt 0x4
	v_fmac_f32_e32 v202, v2, v8
	;; [unrolled: 15-line block ×4, first 2 shown]
	v_mul_f32_e32 v2, v195, v26
	ds_bpermute_b32 v6, v1, v170 offset:108
	s_wait_dscnt 0x4
	v_fmac_f32_e32 v202, v3, v7
	v_mul_f32_e32 v3, v198, v27
	ds_bpermute_b32 v7, v1, v170 offset:112
	s_wait_dscnt 0x4
	v_fmac_f32_e32 v202, v2, v8
	v_mul_f32_e32 v2, v197, v28
	ds_bpermute_b32 v8, v1, v170 offset:116
	s_wait_dscnt 0x4
	v_dual_fmac_f32 v202, v3, v4 :: v_dual_mul_f32 v3, v200, v29
	ds_bpermute_b32 v4, v1, v170 offset:120
	s_wait_dscnt 0x4
	v_dual_fmac_f32 v202, v2, v5 :: v_dual_mul_f32 v5, v199, v30
	ds_bpermute_b32 v2, v1, v170 offset:124
	s_wait_dscnt 0x4
	v_fmac_f32_e32 v202, v3, v6
	v_mul_f32_e32 v3, v203, v31
	s_wait_dscnt 0x3
	s_delay_alu instid0(VALU_DEP_2) | instskip(SKIP_1) | instid1(VALU_DEP_1)
	v_fmac_f32_e32 v202, v5, v7
	s_wait_dscnt 0x2
	v_fmac_f32_e32 v202, v3, v8
	v_mul_f32_e32 v3, v201, v32
	s_wait_dscnt 0x1
	s_delay_alu instid0(VALU_DEP_1)
	v_fmac_f32_e32 v202, v3, v4
.LBB153_71:                             ;   in Loop: Header=BB153_3 Depth=1
	s_wait_alu 0xfffe
	s_and_b32 vcc_lo, exec_lo, s3
	s_wait_alu 0xfffe
	s_cbranch_vccz .LBB153_137
; %bb.72:                               ;   in Loop: Header=BB153_3 Depth=1
	s_load_b32 s3, s[18:19], 0x0
	s_wait_kmcnt 0x0
	s_cmp_lt_u32 ttmp9, s3
	s_cselect_b32 s16, 12, 18
	s_delay_alu instid0(SALU_CYCLE_1)
	s_add_nc_u64 s[30:31], s[18:19], s[16:17]
	s_load_u16 s3, s[30:31], 0x0
	s_wait_dscnt 0x0
	s_wait_kmcnt 0x0
	v_mad_u32_u24 v2, v38, s3, v40
	s_mov_b32 s3, exec_lo
	s_delay_alu instid0(VALU_DEP_1) | instskip(NEXT) | instid1(VALU_DEP_1)
	v_and_b32_e32 v2, 31, v2
	v_add_co_u32 v2, vcc_lo, v36, v2
	s_wait_alu 0xfffd
	v_add_co_ci_u32_e64 v3, null, 0, v37, vcc_lo
	v_dual_mov_b32 v37, 0 :: v_dual_mov_b32 v36, 0
	s_delay_alu instid0(VALU_DEP_2)
	v_cmpx_gt_i64_e64 s[4:5], v[2:3]
	s_cbranch_execz .LBB153_74
; %bb.73:                               ;   in Loop: Header=BB153_3 Depth=1
	v_lshlrev_b64_e32 v[2:3], 2, v[2:3]
	s_delay_alu instid0(VALU_DEP_1) | instskip(SKIP_1) | instid1(VALU_DEP_2)
	v_add_co_u32 v2, vcc_lo, s12, v2
	s_wait_alu 0xfffd
	v_add_co_ci_u32_e64 v3, null, s13, v3, vcc_lo
	global_load_b32 v36, v[2:3], off
.LBB153_74:                             ;   in Loop: Header=BB153_3 Depth=1
	s_wait_alu 0xfffe
	s_or_b32 exec_lo, exec_lo, s3
	v_mov_b32_e32 v32, v1
	v_dual_mov_b32 v2, v1 :: v_dual_mov_b32 v3, v1
	v_dual_mov_b32 v4, v1 :: v_dual_mov_b32 v5, v1
	;; [unrolled: 1-line block ×15, first 2 shown]
	v_mov_b32_e32 v33, v32
	s_delay_alu instid0(VALU_DEP_2) | instskip(NEXT) | instid1(VALU_DEP_3)
	v_mov_b32_e32 v32, v31
	v_mov_b32_e32 v31, v30
	v_mov_b32_e32 v30, v29
	v_mov_b32_e32 v29, v28
	v_mov_b32_e32 v28, v27
	v_mov_b32_e32 v27, v26
	v_mov_b32_e32 v26, v25
	v_mov_b32_e32 v25, v24
	v_mov_b32_e32 v24, v23
	v_mov_b32_e32 v23, v22
	v_mov_b32_e32 v22, v21
	v_mov_b32_e32 v21, v20
	v_mov_b32_e32 v20, v19
	v_mov_b32_e32 v19, v18
	v_mov_b32_e32 v18, v17
	v_mov_b32_e32 v17, v16
	v_mov_b32_e32 v16, v15
	v_mov_b32_e32 v15, v14
	v_mov_b32_e32 v14, v13
	v_mov_b32_e32 v13, v12
	v_mov_b32_e32 v12, v11
	v_mov_b32_e32 v11, v10
	v_mov_b32_e32 v10, v9
	v_mov_b32_e32 v9, v8
	v_mov_b32_e32 v8, v7
	v_mov_b32_e32 v7, v6
	v_mov_b32_e32 v6, v5
	v_mov_b32_e32 v5, v4
	v_mov_b32_e32 v4, v3
	v_mov_b32_e32 v3, v2
	v_mov_b32_e32 v2, v1
	s_and_saveexec_b32 s3, s2
	s_cbranch_execz .LBB153_76
; %bb.75:                               ;   in Loop: Header=BB153_3 Depth=1
	v_add_co_u32 v2, vcc_lo, v42, v34
	s_wait_alu 0xfffd
	v_add_co_ci_u32_e64 v3, null, v43, v35, vcc_lo
	v_add_co_u32 v4, vcc_lo, v44, v34
	s_wait_alu 0xfffd
	v_add_co_ci_u32_e64 v5, null, v45, v35, vcc_lo
	global_load_b32 v2, v[2:3], off
	global_load_b32 v37, v[4:5], off
	v_dual_mov_b32 v3, v1 :: v_dual_mov_b32 v4, v1
	v_dual_mov_b32 v5, v1 :: v_dual_mov_b32 v6, v1
	v_dual_mov_b32 v7, v1 :: v_dual_mov_b32 v8, v1
	v_dual_mov_b32 v9, v1 :: v_dual_mov_b32 v10, v1
	v_dual_mov_b32 v11, v1 :: v_dual_mov_b32 v12, v1
	v_dual_mov_b32 v13, v1 :: v_dual_mov_b32 v14, v1
	v_dual_mov_b32 v15, v1 :: v_dual_mov_b32 v16, v1
	v_dual_mov_b32 v17, v1 :: v_dual_mov_b32 v18, v1
	v_dual_mov_b32 v19, v1 :: v_dual_mov_b32 v20, v1
	v_dual_mov_b32 v21, v1 :: v_dual_mov_b32 v22, v1
	v_dual_mov_b32 v23, v1 :: v_dual_mov_b32 v24, v1
	v_dual_mov_b32 v25, v1 :: v_dual_mov_b32 v26, v1
	v_dual_mov_b32 v27, v1 :: v_dual_mov_b32 v28, v1
	v_dual_mov_b32 v29, v1 :: v_dual_mov_b32 v30, v1
	v_dual_mov_b32 v31, v1 :: v_dual_mov_b32 v32, v1
	v_mov_b32_e32 v33, v1
.LBB153_76:                             ;   in Loop: Header=BB153_3 Depth=1
	s_wait_alu 0xfffe
	s_or_b32 exec_lo, exec_lo, s3
	v_dual_mov_b32 v170, 0 :: v_dual_mov_b32 v171, 0
	s_and_saveexec_b32 s3, s2
	s_cbranch_execz .LBB153_78
; %bb.77:                               ;   in Loop: Header=BB153_3 Depth=1
	v_add_co_u32 v171, vcc_lo, v165, v34
	s_wait_alu 0xfffd
	v_add_co_ci_u32_e64 v172, null, v166, v35, vcc_lo
	v_add_co_u32 v173, vcc_lo, v167, v34
	s_wait_alu 0xfffd
	v_add_co_ci_u32_e64 v174, null, v168, v35, vcc_lo
	global_load_b32 v3, v[171:172], off
	global_load_b32 v171, v[173:174], off
.LBB153_78:                             ;   in Loop: Header=BB153_3 Depth=1
	s_wait_alu 0xfffe
	s_or_b32 exec_lo, exec_lo, s3
	s_and_saveexec_b32 s3, s2
	s_cbranch_execz .LBB153_80
; %bb.79:                               ;   in Loop: Header=BB153_3 Depth=1
	v_add_co_u32 v172, vcc_lo, v161, v34
	s_wait_alu 0xfffd
	v_add_co_ci_u32_e64 v173, null, v162, v35, vcc_lo
	v_add_co_u32 v174, vcc_lo, v163, v34
	s_wait_alu 0xfffd
	v_add_co_ci_u32_e64 v175, null, v164, v35, vcc_lo
	global_load_b32 v4, v[172:173], off
	global_load_b32 v170, v[174:175], off
.LBB153_80:                             ;   in Loop: Header=BB153_3 Depth=1
	s_wait_alu 0xfffe
	s_or_b32 exec_lo, exec_lo, s3
	v_dual_mov_b32 v172, 0 :: v_dual_mov_b32 v173, 0
	s_and_saveexec_b32 s3, s2
	s_cbranch_execz .LBB153_82
; %bb.81:                               ;   in Loop: Header=BB153_3 Depth=1
	v_add_co_u32 v173, vcc_lo, v157, v34
	s_wait_alu 0xfffd
	v_add_co_ci_u32_e64 v174, null, v158, v35, vcc_lo
	v_add_co_u32 v175, vcc_lo, v159, v34
	s_wait_alu 0xfffd
	v_add_co_ci_u32_e64 v176, null, v160, v35, vcc_lo
	global_load_b32 v5, v[173:174], off
	global_load_b32 v173, v[175:176], off
.LBB153_82:                             ;   in Loop: Header=BB153_3 Depth=1
	s_wait_alu 0xfffe
	s_or_b32 exec_lo, exec_lo, s3
	s_and_saveexec_b32 s3, s2
	s_cbranch_execz .LBB153_84
; %bb.83:                               ;   in Loop: Header=BB153_3 Depth=1
	v_add_co_u32 v174, vcc_lo, v153, v34
	s_wait_alu 0xfffd
	v_add_co_ci_u32_e64 v175, null, v154, v35, vcc_lo
	v_add_co_u32 v176, vcc_lo, v155, v34
	s_wait_alu 0xfffd
	v_add_co_ci_u32_e64 v177, null, v156, v35, vcc_lo
	global_load_b32 v6, v[174:175], off
	global_load_b32 v172, v[176:177], off
.LBB153_84:                             ;   in Loop: Header=BB153_3 Depth=1
	;; [unrolled: 29-line block ×5, first 2 shown]
	s_wait_alu 0xfffe
	s_or_b32 exec_lo, exec_lo, s3
	v_dual_mov_b32 v180, 0 :: v_dual_mov_b32 v181, 0
	s_and_saveexec_b32 s3, s2
	s_cbranch_execz .LBB153_98
; %bb.97:                               ;   in Loop: Header=BB153_3 Depth=1
	v_add_co_u32 v181, vcc_lo, v125, v34
	s_wait_alu 0xfffd
	v_add_co_ci_u32_e64 v182, null, v126, v35, vcc_lo
	v_add_co_u32 v183, vcc_lo, v127, v34
	s_wait_alu 0xfffd
	v_add_co_ci_u32_e64 v184, null, v128, v35, vcc_lo
	global_load_b32 v13, v[181:182], off
	global_load_b32 v181, v[183:184], off
.LBB153_98:                             ;   in Loop: Header=BB153_3 Depth=1
	s_wait_alu 0xfffe
	s_or_b32 exec_lo, exec_lo, s3
	s_and_saveexec_b32 s3, s2
	s_cbranch_execz .LBB153_100
; %bb.99:                               ;   in Loop: Header=BB153_3 Depth=1
	v_add_co_u32 v182, vcc_lo, v121, v34
	s_wait_alu 0xfffd
	v_add_co_ci_u32_e64 v183, null, v122, v35, vcc_lo
	v_add_co_u32 v184, vcc_lo, v123, v34
	s_wait_alu 0xfffd
	v_add_co_ci_u32_e64 v185, null, v124, v35, vcc_lo
	global_load_b32 v14, v[182:183], off
	global_load_b32 v180, v[184:185], off
.LBB153_100:                            ;   in Loop: Header=BB153_3 Depth=1
	s_wait_alu 0xfffe
	s_or_b32 exec_lo, exec_lo, s3
	v_dual_mov_b32 v182, 0 :: v_dual_mov_b32 v183, 0
	s_and_saveexec_b32 s3, s2
	s_cbranch_execz .LBB153_102
; %bb.101:                              ;   in Loop: Header=BB153_3 Depth=1
	v_add_co_u32 v183, vcc_lo, v118, v34
	s_wait_alu 0xfffd
	v_add_co_ci_u32_e64 v184, null, v119, v35, vcc_lo
	v_add_co_u32 v185, vcc_lo, v0, v34
	s_wait_alu 0xfffd
	v_add_co_ci_u32_e64 v186, null, v120, v35, vcc_lo
	global_load_b32 v15, v[183:184], off
	global_load_b32 v183, v[185:186], off
.LBB153_102:                            ;   in Loop: Header=BB153_3 Depth=1
	s_wait_alu 0xfffe
	s_or_b32 exec_lo, exec_lo, s3
	s_and_saveexec_b32 s3, s2
	s_cbranch_execz .LBB153_104
; %bb.103:                              ;   in Loop: Header=BB153_3 Depth=1
	v_add_co_u32 v184, vcc_lo, v114, v34
	s_wait_alu 0xfffd
	v_add_co_ci_u32_e64 v185, null, v115, v35, vcc_lo
	v_add_co_u32 v186, vcc_lo, v116, v34
	s_wait_alu 0xfffd
	v_add_co_ci_u32_e64 v187, null, v117, v35, vcc_lo
	global_load_b32 v16, v[184:185], off
	global_load_b32 v182, v[186:187], off
.LBB153_104:                            ;   in Loop: Header=BB153_3 Depth=1
	s_wait_alu 0xfffe
	s_or_b32 exec_lo, exec_lo, s3
	v_dual_mov_b32 v184, 0 :: v_dual_mov_b32 v185, 0
	s_and_saveexec_b32 s3, s2
	s_cbranch_execz .LBB153_106
; %bb.105:                              ;   in Loop: Header=BB153_3 Depth=1
	v_add_co_u32 v185, vcc_lo, v110, v34
	s_wait_alu 0xfffd
	v_add_co_ci_u32_e64 v186, null, v111, v35, vcc_lo
	v_add_co_u32 v187, vcc_lo, v112, v34
	s_wait_alu 0xfffd
	v_add_co_ci_u32_e64 v188, null, v113, v35, vcc_lo
	global_load_b32 v17, v[185:186], off
	global_load_b32 v185, v[187:188], off
.LBB153_106:                            ;   in Loop: Header=BB153_3 Depth=1
	s_wait_alu 0xfffe
	s_or_b32 exec_lo, exec_lo, s3
	s_and_saveexec_b32 s3, s2
	s_cbranch_execz .LBB153_108
; %bb.107:                              ;   in Loop: Header=BB153_3 Depth=1
	v_add_co_u32 v186, vcc_lo, v106, v34
	s_wait_alu 0xfffd
	v_add_co_ci_u32_e64 v187, null, v107, v35, vcc_lo
	v_add_co_u32 v188, vcc_lo, v108, v34
	s_wait_alu 0xfffd
	v_add_co_ci_u32_e64 v189, null, v109, v35, vcc_lo
	global_load_b32 v18, v[186:187], off
	global_load_b32 v184, v[188:189], off
.LBB153_108:                            ;   in Loop: Header=BB153_3 Depth=1
	s_wait_alu 0xfffe
	s_or_b32 exec_lo, exec_lo, s3
	v_dual_mov_b32 v186, 0 :: v_dual_mov_b32 v187, 0
	s_and_saveexec_b32 s3, s2
	s_cbranch_execz .LBB153_110
; %bb.109:                              ;   in Loop: Header=BB153_3 Depth=1
	v_add_co_u32 v187, vcc_lo, v102, v34
	s_wait_alu 0xfffd
	v_add_co_ci_u32_e64 v188, null, v103, v35, vcc_lo
	v_add_co_u32 v189, vcc_lo, v104, v34
	s_wait_alu 0xfffd
	v_add_co_ci_u32_e64 v190, null, v105, v35, vcc_lo
	global_load_b32 v19, v[187:188], off
	global_load_b32 v187, v[189:190], off
.LBB153_110:                            ;   in Loop: Header=BB153_3 Depth=1
	s_wait_alu 0xfffe
	s_or_b32 exec_lo, exec_lo, s3
	s_and_saveexec_b32 s3, s2
	s_cbranch_execz .LBB153_112
; %bb.111:                              ;   in Loop: Header=BB153_3 Depth=1
	v_add_co_u32 v188, vcc_lo, v98, v34
	s_wait_alu 0xfffd
	v_add_co_ci_u32_e64 v189, null, v99, v35, vcc_lo
	v_add_co_u32 v190, vcc_lo, v100, v34
	s_wait_alu 0xfffd
	v_add_co_ci_u32_e64 v191, null, v101, v35, vcc_lo
	global_load_b32 v20, v[188:189], off
	global_load_b32 v186, v[190:191], off
.LBB153_112:                            ;   in Loop: Header=BB153_3 Depth=1
	s_wait_alu 0xfffe
	s_or_b32 exec_lo, exec_lo, s3
	v_dual_mov_b32 v188, 0 :: v_dual_mov_b32 v189, 0
	s_and_saveexec_b32 s3, s2
	s_cbranch_execz .LBB153_114
; %bb.113:                              ;   in Loop: Header=BB153_3 Depth=1
	v_add_co_u32 v189, vcc_lo, v94, v34
	s_wait_alu 0xfffd
	v_add_co_ci_u32_e64 v190, null, v95, v35, vcc_lo
	v_add_co_u32 v191, vcc_lo, v96, v34
	s_wait_alu 0xfffd
	v_add_co_ci_u32_e64 v192, null, v97, v35, vcc_lo
	global_load_b32 v21, v[189:190], off
	global_load_b32 v189, v[191:192], off
.LBB153_114:                            ;   in Loop: Header=BB153_3 Depth=1
	s_wait_alu 0xfffe
	s_or_b32 exec_lo, exec_lo, s3
	s_and_saveexec_b32 s3, s2
	s_cbranch_execz .LBB153_116
; %bb.115:                              ;   in Loop: Header=BB153_3 Depth=1
	v_add_co_u32 v190, vcc_lo, v90, v34
	s_wait_alu 0xfffd
	v_add_co_ci_u32_e64 v191, null, v91, v35, vcc_lo
	v_add_co_u32 v192, vcc_lo, v92, v34
	s_wait_alu 0xfffd
	v_add_co_ci_u32_e64 v193, null, v93, v35, vcc_lo
	global_load_b32 v22, v[190:191], off
	global_load_b32 v188, v[192:193], off
.LBB153_116:                            ;   in Loop: Header=BB153_3 Depth=1
	s_wait_alu 0xfffe
	s_or_b32 exec_lo, exec_lo, s3
	v_dual_mov_b32 v190, 0 :: v_dual_mov_b32 v191, 0
	s_and_saveexec_b32 s3, s2
	s_cbranch_execz .LBB153_118
; %bb.117:                              ;   in Loop: Header=BB153_3 Depth=1
	v_add_co_u32 v191, vcc_lo, v86, v34
	s_wait_alu 0xfffd
	v_add_co_ci_u32_e64 v192, null, v87, v35, vcc_lo
	v_add_co_u32 v193, vcc_lo, v88, v34
	s_wait_alu 0xfffd
	v_add_co_ci_u32_e64 v194, null, v89, v35, vcc_lo
	global_load_b32 v23, v[191:192], off
	global_load_b32 v191, v[193:194], off
.LBB153_118:                            ;   in Loop: Header=BB153_3 Depth=1
	s_wait_alu 0xfffe
	s_or_b32 exec_lo, exec_lo, s3
	s_and_saveexec_b32 s3, s2
	s_cbranch_execz .LBB153_120
; %bb.119:                              ;   in Loop: Header=BB153_3 Depth=1
	v_add_co_u32 v192, vcc_lo, v82, v34
	s_wait_alu 0xfffd
	v_add_co_ci_u32_e64 v193, null, v83, v35, vcc_lo
	v_add_co_u32 v194, vcc_lo, v84, v34
	s_wait_alu 0xfffd
	v_add_co_ci_u32_e64 v195, null, v85, v35, vcc_lo
	global_load_b32 v24, v[192:193], off
	global_load_b32 v190, v[194:195], off
.LBB153_120:                            ;   in Loop: Header=BB153_3 Depth=1
	s_wait_alu 0xfffe
	s_or_b32 exec_lo, exec_lo, s3
	v_dual_mov_b32 v192, 0 :: v_dual_mov_b32 v193, 0
	s_and_saveexec_b32 s3, s2
	s_cbranch_execz .LBB153_122
; %bb.121:                              ;   in Loop: Header=BB153_3 Depth=1
	v_add_co_u32 v193, vcc_lo, v78, v34
	s_wait_alu 0xfffd
	v_add_co_ci_u32_e64 v194, null, v79, v35, vcc_lo
	v_add_co_u32 v195, vcc_lo, v80, v34
	s_wait_alu 0xfffd
	v_add_co_ci_u32_e64 v196, null, v81, v35, vcc_lo
	global_load_b32 v25, v[193:194], off
	global_load_b32 v193, v[195:196], off
.LBB153_122:                            ;   in Loop: Header=BB153_3 Depth=1
	s_wait_alu 0xfffe
	s_or_b32 exec_lo, exec_lo, s3
	s_and_saveexec_b32 s3, s2
	s_cbranch_execz .LBB153_124
; %bb.123:                              ;   in Loop: Header=BB153_3 Depth=1
	v_add_co_u32 v194, vcc_lo, v74, v34
	s_wait_alu 0xfffd
	v_add_co_ci_u32_e64 v195, null, v75, v35, vcc_lo
	v_add_co_u32 v196, vcc_lo, v76, v34
	s_wait_alu 0xfffd
	v_add_co_ci_u32_e64 v197, null, v77, v35, vcc_lo
	global_load_b32 v26, v[194:195], off
	global_load_b32 v192, v[196:197], off
.LBB153_124:                            ;   in Loop: Header=BB153_3 Depth=1
	s_wait_alu 0xfffe
	s_or_b32 exec_lo, exec_lo, s3
	v_dual_mov_b32 v195, 0 :: v_dual_mov_b32 v196, 0
	s_and_saveexec_b32 s3, s2
	s_cbranch_execz .LBB153_126
; %bb.125:                              ;   in Loop: Header=BB153_3 Depth=1
	v_add_co_u32 v196, vcc_lo, v70, v34
	s_wait_alu 0xfffd
	v_add_co_ci_u32_e64 v197, null, v71, v35, vcc_lo
	v_add_co_u32 v198, vcc_lo, v72, v34
	s_wait_alu 0xfffd
	v_add_co_ci_u32_e64 v199, null, v73, v35, vcc_lo
	global_load_b32 v27, v[196:197], off
	global_load_b32 v196, v[198:199], off
.LBB153_126:                            ;   in Loop: Header=BB153_3 Depth=1
	s_wait_alu 0xfffe
	s_or_b32 exec_lo, exec_lo, s3
	s_and_saveexec_b32 s3, s2
	s_cbranch_execz .LBB153_128
; %bb.127:                              ;   in Loop: Header=BB153_3 Depth=1
	v_add_co_u32 v194, vcc_lo, v66, v34
	s_wait_alu 0xfffd
	v_add_co_ci_u32_e64 v195, null, v67, v35, vcc_lo
	v_add_co_u32 v197, vcc_lo, v68, v34
	s_wait_alu 0xfffd
	v_add_co_ci_u32_e64 v198, null, v69, v35, vcc_lo
	global_load_b32 v28, v[194:195], off
	global_load_b32 v195, v[197:198], off
.LBB153_128:                            ;   in Loop: Header=BB153_3 Depth=1
	s_wait_alu 0xfffe
	s_or_b32 exec_lo, exec_lo, s3
	v_dual_mov_b32 v197, 0 :: v_dual_mov_b32 v198, 0
	s_and_saveexec_b32 s3, s2
	s_cbranch_execz .LBB153_130
; %bb.129:                              ;   in Loop: Header=BB153_3 Depth=1
	v_add_co_u32 v198, vcc_lo, v62, v34
	s_wait_alu 0xfffd
	v_add_co_ci_u32_e64 v199, null, v63, v35, vcc_lo
	v_add_co_u32 v200, vcc_lo, v64, v34
	s_wait_alu 0xfffd
	v_add_co_ci_u32_e64 v201, null, v65, v35, vcc_lo
	global_load_b32 v29, v[198:199], off
	global_load_b32 v198, v[200:201], off
.LBB153_130:                            ;   in Loop: Header=BB153_3 Depth=1
	s_wait_alu 0xfffe
	s_or_b32 exec_lo, exec_lo, s3
	s_and_saveexec_b32 s3, s2
	s_cbranch_execz .LBB153_132
; %bb.131:                              ;   in Loop: Header=BB153_3 Depth=1
	v_add_co_u32 v199, vcc_lo, v58, v34
	s_wait_alu 0xfffd
	v_add_co_ci_u32_e64 v200, null, v59, v35, vcc_lo
	v_add_co_u32 v201, vcc_lo, v60, v34
	s_wait_alu 0xfffd
	v_add_co_ci_u32_e64 v202, null, v61, v35, vcc_lo
	global_load_b32 v30, v[199:200], off
	global_load_b32 v197, v[201:202], off
.LBB153_132:                            ;   in Loop: Header=BB153_3 Depth=1
	s_wait_alu 0xfffe
	s_or_b32 exec_lo, exec_lo, s3
	v_dual_mov_b32 v199, 0 :: v_dual_mov_b32 v200, 0
	s_and_saveexec_b32 s3, s2
	s_cbranch_execnz .LBB153_139
; %bb.133:                              ;   in Loop: Header=BB153_3 Depth=1
	s_wait_alu 0xfffe
	s_or_b32 exec_lo, exec_lo, s3
	s_and_saveexec_b32 s3, s2
	s_cbranch_execnz .LBB153_140
.LBB153_134:                            ;   in Loop: Header=BB153_3 Depth=1
	s_wait_alu 0xfffe
	s_or_b32 exec_lo, exec_lo, s3
	v_mov_b32_e32 v194, 0
	s_and_saveexec_b32 s3, s2
	s_cbranch_execz .LBB153_136
.LBB153_135:                            ;   in Loop: Header=BB153_3 Depth=1
	v_add_co_u32 v201, vcc_lo, v46, v34
	s_wait_alu 0xfffd
	v_add_co_ci_u32_e64 v202, null, v47, v35, vcc_lo
	v_add_co_u32 v203, vcc_lo, v48, v34
	s_wait_alu 0xfffd
	v_add_co_ci_u32_e64 v204, null, v49, v35, vcc_lo
	global_load_b32 v33, v[201:202], off
	global_load_b32 v194, v[203:204], off
.LBB153_136:                            ;   in Loop: Header=BB153_3 Depth=1
	s_wait_alu 0xfffe
	s_or_b32 exec_lo, exec_lo, s3
	s_wait_loadcnt 0x0
	ds_bpermute_b32 v201, v1, v36
	ds_bpermute_b32 v202, v1, v36 offset:4
	ds_bpermute_b32 v203, v1, v36 offset:8
	v_dual_mul_f32 v2, v37, v2 :: v_dual_mul_f32 v3, v171, v3
	ds_bpermute_b32 v37, v1, v36 offset:12
	ds_bpermute_b32 v171, v1, v36 offset:16
	s_wait_dscnt 0x4
	v_fmac_f32_e32 v169, v2, v201
	v_mul_f32_e32 v2, v170, v4
	ds_bpermute_b32 v4, v1, v36 offset:20
	s_wait_dscnt 0x4
	v_fmac_f32_e32 v169, v3, v202
	v_mul_f32_e32 v3, v173, v5
	ds_bpermute_b32 v5, v1, v36 offset:24
	s_wait_dscnt 0x4
	v_dual_fmac_f32 v169, v2, v203 :: v_dual_mul_f32 v2, v172, v6
	ds_bpermute_b32 v6, v1, v36 offset:28
	s_wait_dscnt 0x4
	v_fmac_f32_e32 v169, v3, v37
	v_mul_f32_e32 v3, v175, v7
	ds_bpermute_b32 v7, v1, v36 offset:32
	s_wait_dscnt 0x4
	v_fmac_f32_e32 v169, v2, v171
	v_mul_f32_e32 v2, v174, v8
	ds_bpermute_b32 v8, v1, v36 offset:36
	s_wait_dscnt 0x4
	v_fmac_f32_e32 v169, v3, v4
	v_mul_f32_e32 v3, v177, v9
	ds_bpermute_b32 v4, v1, v36 offset:40
	s_wait_dscnt 0x4
	v_dual_fmac_f32 v169, v2, v5 :: v_dual_mul_f32 v2, v176, v10
	ds_bpermute_b32 v5, v1, v36 offset:44
	s_wait_dscnt 0x4
	v_fmac_f32_e32 v169, v3, v6
	v_mul_f32_e32 v3, v179, v11
	;; [unrolled: 15-line block ×5, first 2 shown]
	ds_bpermute_b32 v8, v1, v36 offset:96
	s_wait_dscnt 0x4
	v_fmac_f32_e32 v169, v2, v4
	v_mul_f32_e32 v2, v190, v24
	ds_bpermute_b32 v4, v1, v36 offset:100
	s_wait_dscnt 0x4
	v_fmac_f32_e32 v169, v3, v5
	v_mul_f32_e32 v3, v193, v25
	;; [unrolled: 4-line block ×6, first 2 shown]
	ds_bpermute_b32 v4, v1, v36 offset:120
	s_wait_dscnt 0x4
	v_dual_fmac_f32 v169, v2, v5 :: v_dual_mul_f32 v2, v197, v30
	s_wait_dscnt 0x3
	s_delay_alu instid0(VALU_DEP_1) | instskip(SKIP_2) | instid1(VALU_DEP_2)
	v_fmac_f32_e32 v169, v3, v6
	v_mul_f32_e32 v3, v200, v31
	s_wait_dscnt 0x2
	v_fmac_f32_e32 v169, v2, v7
	ds_bpermute_b32 v2, v1, v36 offset:124
	s_wait_dscnt 0x2
	v_fmac_f32_e32 v169, v3, v8
	v_mul_f32_e32 v3, v199, v32
	s_wait_dscnt 0x1
	s_delay_alu instid0(VALU_DEP_1) | instskip(NEXT) | instid1(VALU_DEP_1)
	v_fmac_f32_e32 v169, v3, v4
	v_mov_b32_e32 v202, v169
.LBB153_137:                            ;   in Loop: Header=BB153_3 Depth=1
	v_add_co_u32 v42, vcc_lo, v42, s22
	s_wait_alu 0xfffd
	v_add_co_ci_u32_e64 v43, null, s23, v43, vcc_lo
	v_add_co_u32 v44, vcc_lo, v44, s22
	s_wait_alu 0xfffd
	v_add_co_ci_u32_e64 v45, null, s23, v45, vcc_lo
	;; [unrolled: 3-line block ×62, first 2 shown]
	v_add_co_u32 v165, vcc_lo, v165, s22
	v_mul_f32_e32 v3, v194, v33
	s_add_nc_u64 s[26:27], s[26:27], s[20:21]
	s_wait_alu 0xfffd
	v_add_co_ci_u32_e64 v166, null, s23, v166, vcc_lo
	v_add_co_u32 v167, vcc_lo, v167, s22
	s_wait_alu 0xfffe
	v_cmp_lt_i64_e64 s3, s[26:27], s[4:5]
	s_wait_alu 0xfffd
	v_add_co_ci_u32_e64 v168, null, s23, v168, vcc_lo
	v_add_co_u32 v39, vcc_lo, v39, s20
	s_wait_dscnt 0x0
	v_fmac_f32_e32 v202, v3, v2
	s_wait_alu 0xfffd
	v_add_co_ci_u32_e64 v41, null, 0, v41, vcc_lo
	s_and_b32 vcc_lo, exec_lo, s3
	s_add_nc_u64 s[24:25], s[24:25], s[20:21]
	s_wait_alu 0xfffe
	s_cbranch_vccz .LBB153_142
; %bb.138:                              ;   in Loop: Header=BB153_3 Depth=1
	v_mov_b32_e32 v169, v202
	s_branch .LBB153_3
.LBB153_139:                            ;   in Loop: Header=BB153_3 Depth=1
	v_add_co_u32 v200, vcc_lo, v54, v34
	s_wait_alu 0xfffd
	v_add_co_ci_u32_e64 v201, null, v55, v35, vcc_lo
	v_add_co_u32 v202, vcc_lo, v56, v34
	s_wait_alu 0xfffd
	v_add_co_ci_u32_e64 v203, null, v57, v35, vcc_lo
	global_load_b32 v31, v[200:201], off
	global_load_b32 v200, v[202:203], off
	s_wait_alu 0xfffe
	s_or_b32 exec_lo, exec_lo, s3
	s_and_saveexec_b32 s3, s2
	s_cbranch_execz .LBB153_134
.LBB153_140:                            ;   in Loop: Header=BB153_3 Depth=1
	v_add_co_u32 v201, vcc_lo, v50, v34
	s_wait_alu 0xfffd
	v_add_co_ci_u32_e64 v202, null, v51, v35, vcc_lo
	v_add_co_u32 v203, vcc_lo, v52, v34
	s_wait_alu 0xfffd
	v_add_co_ci_u32_e64 v204, null, v53, v35, vcc_lo
	global_load_b32 v32, v[201:202], off
	global_load_b32 v199, v[203:204], off
	s_wait_alu 0xfffe
	s_or_b32 exec_lo, exec_lo, s3
	v_mov_b32_e32 v194, 0
	s_and_saveexec_b32 s3, s2
	s_cbranch_execnz .LBB153_135
	s_branch .LBB153_136
.LBB153_141:
                                        ; implicit-def: $vgpr202
	s_load_b64 s[2:3], s[0:1], 0x30
	s_branch .LBB153_143
.LBB153_142:
	s_load_b64 s[2:3], s[0:1], 0x30
	s_cbranch_execnz .LBB153_220
.LBB153_143:
	v_mov_b32_e32 v202, 0
	s_and_not1_b32 vcc_lo, exec_lo, s29
	s_wait_alu 0xfffe
	s_cbranch_vccnz .LBB153_220
; %bb.144:
	v_bfe_u32 v221, v208, 10, 10
	s_lshl_b64 s[16:17], s[14:15], 2
	s_mov_b64 s[20:21], 31
	s_mov_b64 s[22:23], s[14:15]
	s_delay_alu instid0(VALU_DEP_1)
	v_dual_mov_b32 v204, 0 :: v_dual_lshlrev_b32 v1, 7, v221
	v_lshlrev_b32_e32 v220, 5, v221
	s_clause 0x1
	scratch_store_b32 off, v221, off offset:292
	scratch_store_b32 off, v208, off offset:296
	v_add_co_u32 v3, s16, v1, s16
	v_add_co_u32 v0, s18, v220, s14
	s_delay_alu instid0(VALU_DEP_1) | instskip(SKIP_2) | instid1(VALU_DEP_3)
	v_add_co_ci_u32_e64 v9, null, 0, 0, s18
	s_wait_alu 0xf1ff
	v_add_co_ci_u32_e64 v4, null, 0, s17, s16
	v_mul_lo_u32 v5, s7, v0
	s_delay_alu instid0(VALU_DEP_3)
	v_mul_lo_u32 v6, s6, v9
	v_mad_co_u64_u32 v[1:2], null, s6, v0, 0
	v_add_co_u32 v7, vcc_lo, v3, 4
	s_wait_alu 0xfffd
	v_add_co_ci_u32_e64 v8, null, 0, v4, vcc_lo
	v_add_co_u32 v11, vcc_lo, v3, 8
	s_wait_alu 0xfffd
	v_add_co_ci_u32_e64 v12, null, 0, v4, vcc_lo
	v_add3_u32 v2, v2, v6, v5
	v_add_co_u32 v5, vcc_lo, v3, 12
	s_wait_alu 0xfffd
	v_add_co_ci_u32_e64 v6, null, 0, v4, vcc_lo
	v_add_co_u32 v14, vcc_lo, v3, 16
	s_wait_alu 0xfffd
	v_add_co_ci_u32_e64 v16, null, 0, v4, vcc_lo
	v_mad_co_u64_u32 v[34:35], null, s6, v7, s[8:9]
	v_mul_lo_u32 v10, s7, v7
	v_mul_lo_u32 v8, s6, v8
	v_mad_co_u64_u32 v[42:43], null, s6, v7, s[10:11]
	v_mad_co_u64_u32 v[40:41], null, s6, v14, s[8:9]
	v_mul_lo_u32 v16, s6, v16
	v_mul_lo_u32 v7, s7, v14
	v_mad_co_u64_u32 v[50:51], null, s6, v14, s[10:11]
	v_add_co_u32 v17, vcc_lo, v3, 20
	v_mad_co_u64_u32 v[38:39], null, s6, v5, s[8:9]
	v_mul_lo_u32 v15, s7, v5
	s_wait_alu 0xfffd
	v_add_co_ci_u32_e64 v18, null, 0, v4, vcc_lo
	v_mad_co_u64_u32 v[48:49], null, s6, v5, s[10:11]
	v_add_co_u32 v5, vcc_lo, v3, 24
	v_mul_lo_u32 v6, s6, v6
	v_add3_u32 v35, v10, v35, v8
	v_add3_u32 v43, v10, v43, v8
	s_wait_alu 0xfffd
	v_add_co_ci_u32_e64 v8, null, 0, v4, vcc_lo
	v_mad_co_u64_u32 v[52:53], null, s6, v5, s[8:9]
	v_add3_u32 v41, v7, v41, v16
	v_add3_u32 v51, v7, v51, v16
	v_mul_lo_u32 v7, s7, v5
	v_mad_co_u64_u32 v[56:57], null, s6, v5, s[10:11]
	v_add_co_u32 v5, vcc_lo, v3, 28
	v_add3_u32 v39, v15, v39, v6
	v_add3_u32 v49, v15, v49, v6
	v_mul_lo_u32 v6, s6, v8
	s_wait_alu 0xfffd
	v_add_co_ci_u32_e64 v8, null, 0, v4, vcc_lo
	v_mad_co_u64_u32 v[58:59], null, s6, v5, s[8:9]
	v_mul_lo_u32 v10, s7, v5
	v_mad_co_u64_u32 v[60:61], null, s6, v5, s[10:11]
	v_add_co_u32 v5, vcc_lo, v3, 32
	v_mad_co_u64_u32 v[36:37], null, s6, v11, s[8:9]
	v_mul_lo_u32 v13, s7, v11
	v_mad_co_u64_u32 v[46:47], null, s6, v11, s[10:11]
	s_wait_alu 0xfffd
	v_add_co_ci_u32_e64 v11, null, 0, v4, vcc_lo
	v_add3_u32 v53, v7, v53, v6
	v_add3_u32 v57, v7, v57, v6
	v_mul_lo_u32 v7, s7, v5
	s_delay_alu instid0(VALU_DEP_4)
	v_mul_lo_u32 v6, s6, v11
	v_mad_co_u64_u32 v[62:63], null, s6, v5, s[8:9]
	v_mad_co_u64_u32 v[64:65], null, s6, v5, s[10:11]
	v_add_co_u32 v5, vcc_lo, v3, 36
	v_mul_lo_u32 v8, s6, v8
	v_mul_lo_u32 v12, s6, v12
	v_add3_u32 v63, v7, v63, v6
	s_delay_alu instid0(VALU_DEP_4)
	v_mad_co_u64_u32 v[66:67], null, s6, v5, s[8:9]
	v_add3_u32 v65, v7, v65, v6
	s_wait_alu 0xfffd
	v_add_co_ci_u32_e64 v6, null, 0, v4, vcc_lo
	v_mul_lo_u32 v7, s7, v5
	v_mad_co_u64_u32 v[68:69], null, s6, v5, s[10:11]
	s_delay_alu instid0(VALU_DEP_3) | instskip(SKIP_4) | instid1(VALU_DEP_4)
	v_mul_lo_u32 v6, s6, v6
	v_add_co_u32 v5, vcc_lo, v3, 40
	v_add3_u32 v59, v10, v59, v8
	v_add3_u32 v61, v10, v61, v8
	;; [unrolled: 1-line block ×3, first 2 shown]
	v_mad_co_u64_u32 v[70:71], null, s6, v5, s[8:9]
	v_add3_u32 v67, v7, v67, v6
	v_add3_u32 v69, v7, v69, v6
	s_wait_alu 0xfffd
	v_add_co_ci_u32_e64 v6, null, 0, v4, vcc_lo
	v_mul_lo_u32 v7, s7, v5
	v_mad_co_u64_u32 v[72:73], null, s6, v5, s[10:11]
	s_delay_alu instid0(VALU_DEP_3) | instskip(SKIP_3) | instid1(VALU_DEP_3)
	v_mul_lo_u32 v6, s6, v6
	v_add_co_u32 v5, vcc_lo, v3, 44
	v_add3_u32 v47, v13, v47, v12
	v_mad_co_u64_u32 v[44:45], null, s6, v17, s[8:9]
	v_mad_co_u64_u32 v[74:75], null, s6, v5, s[8:9]
	v_add3_u32 v71, v7, v71, v6
	v_add3_u32 v73, v7, v73, v6
	s_wait_alu 0xfffd
	v_add_co_ci_u32_e64 v6, null, 0, v4, vcc_lo
	v_mul_lo_u32 v7, s7, v5
	v_mad_co_u64_u32 v[76:77], null, s6, v5, s[10:11]
	s_delay_alu instid0(VALU_DEP_3) | instskip(SKIP_3) | instid1(VALU_DEP_3)
	v_mul_lo_u32 v6, s6, v6
	v_add_co_u32 v5, vcc_lo, v3, 48
	v_mul_lo_u32 v19, s7, v17
	v_mad_co_u64_u32 v[54:55], null, s6, v17, s[10:11]
	v_mad_co_u64_u32 v[78:79], null, s6, v5, s[8:9]
	v_add3_u32 v75, v7, v75, v6
	v_add3_u32 v77, v7, v77, v6
	s_wait_alu 0xfffd
	v_add_co_ci_u32_e64 v6, null, 0, v4, vcc_lo
	v_mul_lo_u32 v7, s7, v5
	v_mad_co_u64_u32 v[80:81], null, s6, v5, s[10:11]
	s_delay_alu instid0(VALU_DEP_3) | instskip(SKIP_3) | instid1(VALU_DEP_2)
	v_mul_lo_u32 v6, s6, v6
	v_add_co_u32 v5, vcc_lo, v3, 52
	v_mul_lo_u32 v18, s6, v18
	s_add_nc_u64 s[16:17], s[0:1], 64
	v_mad_co_u64_u32 v[82:83], null, s6, v5, s[8:9]
	s_delay_alu instid0(VALU_DEP_4)
	v_add3_u32 v79, v7, v79, v6
	v_add3_u32 v81, v7, v81, v6
	s_wait_alu 0xfffd
	v_add_co_ci_u32_e64 v6, null, 0, v4, vcc_lo
	v_mul_lo_u32 v7, s7, v5
	v_mad_co_u64_u32 v[84:85], null, s6, v5, s[10:11]
	s_delay_alu instid0(VALU_DEP_3) | instskip(SKIP_3) | instid1(VALU_DEP_3)
	v_mul_lo_u32 v6, s6, v6
	v_add_co_u32 v5, vcc_lo, v3, 56
	v_add3_u32 v45, v19, v45, v18
	v_add3_u32 v55, v19, v55, v18
	v_mad_co_u64_u32 v[86:87], null, s6, v5, s[8:9]
	v_add3_u32 v83, v7, v83, v6
	v_add3_u32 v85, v7, v85, v6
	s_wait_alu 0xfffd
	v_add_co_ci_u32_e64 v6, null, 0, v4, vcc_lo
	v_mul_lo_u32 v7, s7, v5
	v_mad_co_u64_u32 v[88:89], null, s6, v5, s[10:11]
	s_delay_alu instid0(VALU_DEP_3) | instskip(SKIP_1) | instid1(VALU_DEP_1)
	v_mul_lo_u32 v6, s6, v6
	v_add_co_u32 v5, vcc_lo, v3, 60
	v_mad_co_u64_u32 v[90:91], null, s6, v5, s[8:9]
	s_delay_alu instid0(VALU_DEP_3)
	v_add3_u32 v87, v7, v87, v6
	v_add3_u32 v89, v7, v89, v6
	s_wait_alu 0xfffd
	v_add_co_ci_u32_e64 v6, null, 0, v4, vcc_lo
	v_mul_lo_u32 v7, s7, v5
	v_mad_co_u64_u32 v[92:93], null, s6, v5, s[10:11]
	s_delay_alu instid0(VALU_DEP_3) | instskip(SKIP_1) | instid1(VALU_DEP_1)
	v_mul_lo_u32 v6, s6, v6
	v_add_co_u32 v5, vcc_lo, v3, 64
	v_mad_co_u64_u32 v[94:95], null, s6, v5, s[8:9]
	s_delay_alu instid0(VALU_DEP_3)
	;; [unrolled: 11-line block ×16, first 2 shown]
	v_add3_u32 v147, v7, v147, v6
	v_add3_u32 v149, v7, v149, v6
	s_wait_alu 0xfffd
	v_add_co_ci_u32_e64 v6, null, 0, v4, vcc_lo
	v_add_co_u32 v3, vcc_lo, 0x7c, v3
	s_wait_alu 0xfffd
	v_add_co_ci_u32_e64 v4, null, 0, v4, vcc_lo
	v_mul_lo_u32 v7, s7, v5
	v_mad_co_u64_u32 v[152:153], null, s6, v5, s[10:11]
	s_delay_alu instid0(VALU_DEP_3)
	v_mul_lo_u32 v4, s6, v4
	v_mul_lo_u32 v5, s7, v3
	v_mad_co_u64_u32 v[154:155], null, s6, v3, s[8:9]
	v_mad_co_u64_u32 v[156:157], null, s6, v3, s[10:11]
	v_mul_lo_u32 v6, s6, v6
	v_add_co_u32 v3, vcc_lo, v0, 31
	s_delay_alu instid0(VALU_DEP_4) | instskip(NEXT) | instid1(VALU_DEP_4)
	v_add3_u32 v155, v5, v155, v4
	v_add3_u32 v157, v5, v157, v4
	s_wait_alu 0xfffd
	v_add_co_ci_u32_e64 v4, null, 0, v9, vcc_lo
	v_add3_u32 v151, v7, v151, v6
	v_add3_u32 v153, v7, v153, v6
	v_mul_lo_u32 v6, s7, v3
	s_delay_alu instid0(VALU_DEP_4) | instskip(SKIP_1) | instid1(VALU_DEP_1)
	v_mul_lo_u32 v5, s6, v4
	v_mad_co_u64_u32 v[3:4], null, s6, v3, 0
	v_add3_u32 v4, v4, v5, v6
	v_add_co_u32 v5, vcc_lo, v0, 30
	s_wait_alu 0xfffd
	v_add_co_ci_u32_e64 v6, null, 0, v9, vcc_lo
	s_delay_alu instid0(VALU_DEP_2) | instskip(NEXT) | instid1(VALU_DEP_2)
	v_mul_lo_u32 v8, s7, v5
	v_mul_lo_u32 v7, s6, v6
	v_mad_co_u64_u32 v[5:6], null, s6, v5, 0
	s_delay_alu instid0(VALU_DEP_1) | instskip(SKIP_3) | instid1(VALU_DEP_2)
	v_add3_u32 v6, v6, v7, v8
	v_add_co_u32 v7, vcc_lo, v0, 29
	s_wait_alu 0xfffd
	v_add_co_ci_u32_e64 v8, null, 0, v9, vcc_lo
	v_mul_lo_u32 v11, s7, v7
	s_delay_alu instid0(VALU_DEP_2) | instskip(SKIP_1) | instid1(VALU_DEP_1)
	v_mul_lo_u32 v10, s6, v8
	v_mad_co_u64_u32 v[7:8], null, s6, v7, 0
	v_add3_u32 v8, v8, v10, v11
	v_add_co_u32 v10, vcc_lo, v0, 28
	s_wait_alu 0xfffd
	v_add_co_ci_u32_e64 v11, null, 0, v9, vcc_lo
	s_delay_alu instid0(VALU_DEP_2) | instskip(NEXT) | instid1(VALU_DEP_2)
	v_mul_lo_u32 v13, s7, v10
	v_mul_lo_u32 v12, s6, v11
	v_mad_co_u64_u32 v[10:11], null, s6, v10, 0
	s_delay_alu instid0(VALU_DEP_1) | instskip(SKIP_3) | instid1(VALU_DEP_2)
	v_add3_u32 v11, v11, v12, v13
	v_add_co_u32 v12, vcc_lo, v0, 27
	s_wait_alu 0xfffd
	v_add_co_ci_u32_e64 v13, null, 0, v9, vcc_lo
	v_mul_lo_u32 v15, s7, v12
	s_delay_alu instid0(VALU_DEP_2) | instskip(SKIP_1) | instid1(VALU_DEP_1)
	;; [unrolled: 17-line block ×8, first 2 shown]
	v_mul_lo_u32 v162, s6, v161
	v_mad_co_u64_u32 v[160:161], null, s6, v160, 0
	v_add3_u32 v161, v161, v162, v163
	v_add_co_u32 v162, vcc_lo, v0, 14
	s_wait_alu 0xfffd
	v_add_co_ci_u32_e64 v163, null, 0, v9, vcc_lo
	s_delay_alu instid0(VALU_DEP_2) | instskip(NEXT) | instid1(VALU_DEP_2)
	v_mul_lo_u32 v165, s7, v162
	v_mul_lo_u32 v164, s6, v163
	v_mad_co_u64_u32 v[162:163], null, s6, v162, 0
	s_delay_alu instid0(VALU_DEP_1) | instskip(SKIP_3) | instid1(VALU_DEP_2)
	v_add3_u32 v163, v163, v164, v165
	v_add_co_u32 v164, vcc_lo, v0, 13
	s_wait_alu 0xfffd
	v_add_co_ci_u32_e64 v165, null, 0, v9, vcc_lo
	v_mul_lo_u32 v166, s7, v164
	v_mad_co_u64_u32 v[168:169], null, s6, v164, 0
	s_delay_alu instid0(VALU_DEP_3) | instskip(SKIP_1) | instid1(VALU_DEP_1)
	v_mul_lo_u32 v165, s6, v165
	v_add_co_u32 v164, vcc_lo, v0, 12
	v_mad_co_u64_u32 v[170:171], null, s6, v164, 0
	s_delay_alu instid0(VALU_DEP_3) | instskip(SKIP_4) | instid1(VALU_DEP_3)
	v_add3_u32 v169, v169, v165, v166
	s_wait_alu 0xfffd
	v_add_co_ci_u32_e64 v165, null, 0, v9, vcc_lo
	v_mul_lo_u32 v166, s7, v164
	v_add_co_u32 v164, vcc_lo, v0, 11
	v_mul_lo_u32 v165, s6, v165
	s_delay_alu instid0(VALU_DEP_2) | instskip(NEXT) | instid1(VALU_DEP_2)
	v_mad_co_u64_u32 v[172:173], null, s6, v164, 0
	v_add3_u32 v171, v171, v165, v166
	s_wait_alu 0xfffd
	v_add_co_ci_u32_e64 v165, null, 0, v9, vcc_lo
	v_mul_lo_u32 v166, s7, v164
	v_add_co_u32 v164, vcc_lo, v0, 10
	s_delay_alu instid0(VALU_DEP_3) | instskip(NEXT) | instid1(VALU_DEP_2)
	v_mul_lo_u32 v165, s6, v165
	v_mad_co_u64_u32 v[174:175], null, s6, v164, 0
	s_delay_alu instid0(VALU_DEP_2) | instskip(SKIP_4) | instid1(VALU_DEP_3)
	v_add3_u32 v173, v173, v165, v166
	s_wait_alu 0xfffd
	v_add_co_ci_u32_e64 v165, null, 0, v9, vcc_lo
	v_mul_lo_u32 v166, s7, v164
	v_add_co_u32 v164, vcc_lo, v0, 9
	v_mul_lo_u32 v165, s6, v165
	s_delay_alu instid0(VALU_DEP_2) | instskip(NEXT) | instid1(VALU_DEP_2)
	v_mad_co_u64_u32 v[176:177], null, s6, v164, 0
	v_add3_u32 v175, v175, v165, v166
	s_wait_alu 0xfffd
	v_add_co_ci_u32_e64 v165, null, 0, v9, vcc_lo
	v_mul_lo_u32 v166, s7, v164
	v_add_co_u32 v164, vcc_lo, v0, 8
	s_delay_alu instid0(VALU_DEP_3) | instskip(NEXT) | instid1(VALU_DEP_2)
	v_mul_lo_u32 v165, s6, v165
	v_mad_co_u64_u32 v[178:179], null, s6, v164, 0
	s_delay_alu instid0(VALU_DEP_2) | instskip(SKIP_4) | instid1(VALU_DEP_3)
	v_add3_u32 v177, v177, v165, v166
	s_wait_alu 0xfffd
	v_add_co_ci_u32_e64 v165, null, 0, v9, vcc_lo
	v_mul_lo_u32 v166, s7, v164
	v_add_co_u32 v164, vcc_lo, v0, 7
	v_mul_lo_u32 v165, s6, v165
	s_delay_alu instid0(VALU_DEP_2) | instskip(NEXT) | instid1(VALU_DEP_2)
	v_mad_co_u64_u32 v[180:181], null, s6, v164, 0
	v_add3_u32 v179, v179, v165, v166
	s_wait_alu 0xfffd
	v_add_co_ci_u32_e64 v165, null, 0, v9, vcc_lo
	v_mul_lo_u32 v166, s7, v164
	v_add_co_u32 v164, vcc_lo, v0, 6
	s_delay_alu instid0(VALU_DEP_3) | instskip(NEXT) | instid1(VALU_DEP_2)
	v_mul_lo_u32 v165, s6, v165
	v_mad_co_u64_u32 v[182:183], null, s6, v164, 0
	s_delay_alu instid0(VALU_DEP_2) | instskip(SKIP_4) | instid1(VALU_DEP_3)
	v_add3_u32 v181, v181, v165, v166
	s_wait_alu 0xfffd
	v_add_co_ci_u32_e64 v165, null, 0, v9, vcc_lo
	v_mul_lo_u32 v166, s7, v164
	v_add_co_u32 v164, vcc_lo, v0, 5
	v_mul_lo_u32 v165, s6, v165
	s_delay_alu instid0(VALU_DEP_2) | instskip(NEXT) | instid1(VALU_DEP_2)
	v_mad_co_u64_u32 v[184:185], null, s6, v164, 0
	v_add3_u32 v183, v183, v165, v166
	s_wait_alu 0xfffd
	v_add_co_ci_u32_e64 v165, null, 0, v9, vcc_lo
	v_mul_lo_u32 v166, s7, v164
	v_add_co_u32 v164, vcc_lo, v0, 4
	s_delay_alu instid0(VALU_DEP_3) | instskip(NEXT) | instid1(VALU_DEP_2)
	v_mul_lo_u32 v165, s6, v165
	v_mad_co_u64_u32 v[186:187], null, s6, v164, 0
	s_delay_alu instid0(VALU_DEP_2) | instskip(SKIP_4) | instid1(VALU_DEP_3)
	v_add3_u32 v185, v185, v165, v166
	s_wait_alu 0xfffd
	v_add_co_ci_u32_e64 v165, null, 0, v9, vcc_lo
	v_mul_lo_u32 v166, s7, v164
	v_add_co_u32 v164, vcc_lo, v0, 3
	v_mul_lo_u32 v165, s6, v165
	s_delay_alu instid0(VALU_DEP_2) | instskip(NEXT) | instid1(VALU_DEP_2)
	v_mad_co_u64_u32 v[189:190], null, s6, v164, 0
	v_add3_u32 v187, v187, v165, v166
	s_wait_alu 0xfffd
	v_add_co_ci_u32_e64 v165, null, 0, v9, vcc_lo
	v_add_co_u32 v0, vcc_lo, v0, 2
	s_wait_alu 0xfffd
	v_add_co_ci_u32_e64 v9, null, 0, v9, vcc_lo
	v_mul_lo_u32 v166, s7, v164
	s_delay_alu instid0(VALU_DEP_3) | instskip(SKIP_1) | instid1(VALU_DEP_4)
	v_mul_lo_u32 v164, s7, v0
	v_mad_co_u64_u32 v[193:194], null, s6, v0, 0
	v_mul_lo_u32 v9, s6, v9
	v_mul_lo_u32 v165, s6, v165
	v_add_co_u32 v197, vcc_lo, v1, s6
	v_lshlrev_b64_e32 v[0:1], 2, v[1:2]
	s_wait_alu 0xfffd
	v_add_co_ci_u32_e64 v198, null, s7, v2, vcc_lo
	v_add3_u32 v194, v194, v9, v164
	v_add3_u32 v190, v190, v165, v166
	s_delay_alu instid0(VALU_DEP_4)
	v_add_co_u32 v164, vcc_lo, s8, v0
	s_wait_alu 0xfffd
	v_add_co_ci_u32_e64 v165, null, s9, v1, vcc_lo
	v_add_co_u32 v166, vcc_lo, s10, v0
	s_wait_alu 0xfffd
	v_add_co_ci_u32_e64 v167, null, s11, v1, vcc_lo
	v_lshlrev_b64_e32 v[0:1], 2, v[3:4]
	s_delay_alu instid0(VALU_DEP_1) | instskip(SKIP_1) | instid1(VALU_DEP_2)
	v_add_co_u32 v222, vcc_lo, s8, v0
	s_wait_alu 0xfffd
	v_add_co_ci_u32_e64 v223, null, s9, v1, vcc_lo
	v_add_co_u32 v224, vcc_lo, s10, v0
	s_wait_alu 0xfffd
	v_add_co_ci_u32_e64 v225, null, s11, v1, vcc_lo
	v_lshlrev_b64_e32 v[0:1], 2, v[5:6]
	s_delay_alu instid0(VALU_DEP_1) | instskip(SKIP_1) | instid1(VALU_DEP_2)
	v_add_co_u32 v227, vcc_lo, s8, v0
	s_wait_alu 0xfffd
	v_add_co_ci_u32_e64 v2, null, s9, v1, vcc_lo
	v_add_co_u32 v0, vcc_lo, s10, v0
	s_clause 0x1
	scratch_store_b32 off, v2, off
	scratch_store_b32 off, v0, off offset:4
	s_wait_alu 0xfffd
	v_add_co_ci_u32_e64 v0, null, s11, v1, vcc_lo
	scratch_store_b32 off, v0, off offset:8 ; 4-byte Folded Spill
	v_lshlrev_b64_e32 v[0:1], 2, v[7:8]
	s_delay_alu instid0(VALU_DEP_1)
	v_add_co_u32 v2, vcc_lo, s8, v0
	scratch_store_b32 off, v2, off offset:12 ; 4-byte Folded Spill
	s_wait_alu 0xfffd
	v_add_co_ci_u32_e64 v2, null, s9, v1, vcc_lo
	v_add_co_u32 v0, vcc_lo, s10, v0
	s_clause 0x1
	scratch_store_b32 off, v2, off offset:16
	scratch_store_b32 off, v0, off offset:20
	s_wait_alu 0xfffd
	v_add_co_ci_u32_e64 v0, null, s11, v1, vcc_lo
	scratch_store_b32 off, v0, off offset:24 ; 4-byte Folded Spill
	v_lshlrev_b64_e32 v[0:1], 2, v[10:11]
	s_delay_alu instid0(VALU_DEP_1)
	v_add_co_u32 v2, vcc_lo, s8, v0
	scratch_store_b32 off, v2, off offset:28 ; 4-byte Folded Spill
	s_wait_alu 0xfffd
	v_add_co_ci_u32_e64 v2, null, s9, v1, vcc_lo
	v_add_co_u32 v0, vcc_lo, s10, v0
	s_clause 0x1
	scratch_store_b32 off, v2, off offset:32
	;; [unrolled: 13-line block ×13, first 2 shown]
	scratch_store_b32 off, v0, off offset:212
	s_wait_alu 0xfffd
	v_add_co_ci_u32_e64 v0, null, s11, v1, vcc_lo
	scratch_store_b32 off, v0, off offset:216 ; 4-byte Folded Spill
	v_lshlrev_b64_e32 v[0:1], 2, v[158:159]
	s_delay_alu instid0(VALU_DEP_1) | instskip(SKIP_1) | instid1(VALU_DEP_2)
	v_add_co_u32 v228, vcc_lo, s8, v0
	s_wait_alu 0xfffd
	v_add_co_ci_u32_e64 v229, null, s9, v1, vcc_lo
	v_add_co_u32 v230, vcc_lo, s10, v0
	s_wait_alu 0xfffd
	v_add_co_ci_u32_e64 v231, null, s11, v1, vcc_lo
	v_lshlrev_b64_e32 v[0:1], 2, v[160:161]
	s_delay_alu instid0(VALU_DEP_1) | instskip(SKIP_1) | instid1(VALU_DEP_2)
	v_add_co_u32 v232, vcc_lo, s8, v0
	s_wait_alu 0xfffd
	v_add_co_ci_u32_e64 v233, null, s9, v1, vcc_lo
	v_add_co_u32 v234, vcc_lo, s10, v0
	s_wait_alu 0xfffd
	v_add_co_ci_u32_e64 v235, null, s11, v1, vcc_lo
	;; [unrolled: 8-line block ×15, first 2 shown]
	v_lshlrev_b64_e32 v[1:2], 2, v[197:198]
	s_delay_alu instid0(VALU_DEP_1)
	v_add_co_u32 v197, vcc_lo, s8, v1
	s_load_b32 s8, s[0:1], 0x44
	v_add_co_ci_u32_e64 v198, null, s9, v2, vcc_lo
	v_add_co_u32 v199, vcc_lo, s10, v1
	v_and_b32_e32 v1, 0x3ff, v208
	s_wait_alu 0xfffd
	v_add_co_ci_u32_e64 v200, null, s11, v2, vcc_lo
	s_mov_b32 s9, 0
	scratch_store_b32 off, v1, off offset:288 ; 4-byte Folded Spill
	v_dual_mov_b32 v1, 0 :: v_dual_add_nc_u32 v2, s28, v1
	s_wait_alu 0xfffe
	s_mov_b32 s11, s9
	s_delay_alu instid0(VALU_DEP_1) | instskip(SKIP_3) | instid1(VALU_DEP_2)
	v_mov_b32_e32 v3, v1
	v_mov_b32_e32 v201, v1
	s_wait_kmcnt 0x0
	s_lshl_b32 s10, s8, 5
	v_lshlrev_b64_e32 v[158:159], 2, v[2:3]
	s_wait_alu 0xfffe
	s_mul_u64 s[18:19], s[6:7], s[10:11]
	s_wait_alu 0xfffe
	s_lshl_b64 s[18:19], s[18:19], 2
.LBB153_145:                            ; =>This Inner Loop Header: Depth=1
	s_add_nc_u64 s[24:25], s[14:15], s[20:21]
	v_add_co_u32 v160, vcc_lo, s14, v220
	s_wait_alu 0xfffe
	v_cmp_ge_i64_e64 s8, s[24:25], s[4:5]
	s_wait_alu 0xfffd
	v_add_co_ci_u32_e64 v161, null, 0, v201, vcc_lo
                                        ; implicit-def: $vgpr202
	s_and_b32 vcc_lo, exec_lo, s8
	s_mov_b32 s8, -1
	s_wait_alu 0xfffe
	s_cbranch_vccz .LBB153_213
; %bb.146:                              ;   in Loop: Header=BB153_145 Depth=1
	scratch_load_b32 v2, off, off offset:288 ; 4-byte Folded Reload
	s_load_b32 s8, s[16:17], 0xc
	v_dual_mov_b32 v4, 0 :: v_dual_mov_b32 v203, 0
	scratch_store_b32 off, v4, off offset:220 ; 4-byte Folded Spill
	s_wait_kmcnt 0x0
	s_and_b32 s8, s8, 0xffff
	s_wait_loadcnt 0x0
	s_wait_alu 0xfffe
	v_mad_u32_u24 v2, v221, s8, v2
	s_mov_b32 s8, exec_lo
	s_delay_alu instid0(VALU_DEP_1) | instskip(NEXT) | instid1(VALU_DEP_1)
	v_and_b32_e32 v2, 31, v2
	v_add_co_u32 v2, vcc_lo, v160, v2
	s_wait_alu 0xfffd
	v_add_co_ci_u32_e64 v3, null, 0, v161, vcc_lo
	s_delay_alu instid0(VALU_DEP_1)
	v_cmpx_gt_i64_e64 s[4:5], v[2:3]
	s_cbranch_execz .LBB153_148
; %bb.147:                              ;   in Loop: Header=BB153_145 Depth=1
	v_lshlrev_b64_e32 v[2:3], 2, v[2:3]
	s_delay_alu instid0(VALU_DEP_1) | instskip(SKIP_1) | instid1(VALU_DEP_2)
	v_add_co_u32 v2, vcc_lo, s12, v2
	s_wait_alu 0xfffd
	v_add_co_ci_u32_e64 v3, null, s13, v3, vcc_lo
	global_load_b32 v203, v[2:3], off
.LBB153_148:                            ;   in Loop: Header=BB153_145 Depth=1
	s_wait_alu 0xfffe
	s_or_b32 exec_lo, exec_lo, s8
	v_mov_b32_e32 v32, v1
	v_dual_mov_b32 v2, v1 :: v_dual_mov_b32 v3, v1
	v_dual_mov_b32 v4, v1 :: v_dual_mov_b32 v5, v1
	;; [unrolled: 1-line block ×15, first 2 shown]
	v_mov_b32_e32 v33, v32
	s_delay_alu instid0(VALU_DEP_2) | instskip(NEXT) | instid1(VALU_DEP_3)
	v_mov_b32_e32 v32, v31
	v_mov_b32_e32 v31, v30
	;; [unrolled: 1-line block ×31, first 2 shown]
	s_mov_b32 s8, exec_lo
	v_cmpx_gt_i64_e64 s[4:5], v[160:161]
	s_cbranch_execz .LBB153_150
; %bb.149:                              ;   in Loop: Header=BB153_145 Depth=1
	v_add_co_u32 v2, vcc_lo, v166, v158
	s_wait_alu 0xfffd
	v_add_co_ci_u32_e64 v3, null, v167, v159, vcc_lo
	v_add_co_u32 v4, vcc_lo, v164, v158
	s_wait_alu 0xfffd
	v_add_co_ci_u32_e64 v5, null, v165, v159, vcc_lo
	global_load_b32 v2, v[2:3], off
	v_mov_b32_e32 v3, v1
	v_dual_mov_b32 v7, v1 :: v_dual_mov_b32 v8, v1
	v_dual_mov_b32 v9, v1 :: v_dual_mov_b32 v10, v1
	;; [unrolled: 1-line block ×14, first 2 shown]
	s_wait_loadcnt 0x0
	scratch_store_b32 off, v2, off offset:220 ; 4-byte Folded Spill
	global_load_b32 v2, v[4:5], off
	v_dual_mov_b32 v4, v1 :: v_dual_mov_b32 v5, v1
.LBB153_150:                            ;   in Loop: Header=BB153_145 Depth=1
	s_wait_alu 0xfffe
	s_or_b32 exec_lo, exec_lo, s8
	v_mov_b32_e32 v202, 0
	v_add_co_u32 v205, vcc_lo, v160, 1
	s_wait_alu 0xfffd
	v_add_co_ci_u32_e64 v206, null, 0, v161, vcc_lo
	scratch_store_b32 off, v202, off offset:224 ; 4-byte Folded Spill
	v_mov_b32_e32 v202, 0
	s_mov_b32 s8, exec_lo
	scratch_store_b32 off, v202, off offset:228 ; 4-byte Folded Spill
	v_cmpx_gt_i64_e64 s[4:5], v[205:206]
	s_cbranch_execz .LBB153_152
; %bb.151:                              ;   in Loop: Header=BB153_145 Depth=1
	v_add_co_u32 v205, vcc_lo, v199, v158
	s_wait_alu 0xfffd
	v_add_co_ci_u32_e64 v206, null, v200, v159, vcc_lo
	v_add_co_u32 v207, vcc_lo, v197, v158
	s_wait_alu 0xfffd
	v_add_co_ci_u32_e64 v208, null, v198, v159, vcc_lo
	global_load_b32 v3, v[205:206], off
	s_wait_loadcnt 0x0
	scratch_store_b32 off, v3, off offset:228 ; 4-byte Folded Spill
	global_load_b32 v3, v[207:208], off
.LBB153_152:                            ;   in Loop: Header=BB153_145 Depth=1
	s_wait_alu 0xfffe
	s_or_b32 exec_lo, exec_lo, s8
	v_add_co_u32 v205, vcc_lo, v160, 2
	s_wait_alu 0xfffd
	v_add_co_ci_u32_e64 v206, null, 0, v161, vcc_lo
	s_mov_b32 s8, exec_lo
	v_cmpx_gt_i64_e64 s[4:5], v[205:206]
	s_cbranch_execz .LBB153_154
; %bb.153:                              ;   in Loop: Header=BB153_145 Depth=1
	v_add_co_u32 v205, vcc_lo, v195, v158
	s_wait_alu 0xfffd
	v_add_co_ci_u32_e64 v206, null, v196, v159, vcc_lo
	v_add_co_u32 v207, vcc_lo, v193, v158
	s_wait_alu 0xfffd
	v_add_co_ci_u32_e64 v208, null, v194, v159, vcc_lo
	global_load_b32 v4, v[205:206], off
	s_wait_loadcnt 0x0
	scratch_store_b32 off, v4, off offset:224 ; 4-byte Folded Spill
	global_load_b32 v4, v[207:208], off
.LBB153_154:                            ;   in Loop: Header=BB153_145 Depth=1
	s_wait_alu 0xfffe
	s_or_b32 exec_lo, exec_lo, s8
	v_mov_b32_e32 v202, 0
	v_add_co_u32 v205, vcc_lo, v160, 3
	s_wait_alu 0xfffd
	v_add_co_ci_u32_e64 v206, null, 0, v161, vcc_lo
	scratch_store_b32 off, v202, off offset:232 ; 4-byte Folded Spill
	v_mov_b32_e32 v202, 0
	s_mov_b32 s8, exec_lo
	scratch_store_b32 off, v202, off offset:236 ; 4-byte Folded Spill
	v_cmpx_gt_i64_e64 s[4:5], v[205:206]
	s_cbranch_execz .LBB153_156
; %bb.155:                              ;   in Loop: Header=BB153_145 Depth=1
	v_add_co_u32 v205, vcc_lo, v191, v158
	s_wait_alu 0xfffd
	v_add_co_ci_u32_e64 v206, null, v192, v159, vcc_lo
	v_add_co_u32 v207, vcc_lo, v189, v158
	s_wait_alu 0xfffd
	v_add_co_ci_u32_e64 v208, null, v190, v159, vcc_lo
	global_load_b32 v5, v[205:206], off
	s_wait_loadcnt 0x0
	scratch_store_b32 off, v5, off offset:236 ; 4-byte Folded Spill
	global_load_b32 v5, v[207:208], off
.LBB153_156:                            ;   in Loop: Header=BB153_145 Depth=1
	s_wait_alu 0xfffe
	s_or_b32 exec_lo, exec_lo, s8
	v_add_co_u32 v205, vcc_lo, v160, 4
	s_wait_alu 0xfffd
	v_add_co_ci_u32_e64 v206, null, 0, v161, vcc_lo
	s_mov_b32 s8, exec_lo
	v_cmpx_gt_i64_e64 s[4:5], v[205:206]
	s_cbranch_execz .LBB153_158
; %bb.157:                              ;   in Loop: Header=BB153_145 Depth=1
	v_add_co_u32 v205, vcc_lo, v187, v158
	s_wait_alu 0xfffd
	v_add_co_ci_u32_e64 v206, null, v188, v159, vcc_lo
	v_add_co_u32 v207, vcc_lo, v185, v158
	s_wait_alu 0xfffd
	v_add_co_ci_u32_e64 v208, null, v186, v159, vcc_lo
	global_load_b32 v6, v[205:206], off
	s_wait_loadcnt 0x0
	scratch_store_b32 off, v6, off offset:232 ; 4-byte Folded Spill
	global_load_b32 v6, v[207:208], off
.LBB153_158:                            ;   in Loop: Header=BB153_145 Depth=1
	;; [unrolled: 44-line block ×8, first 2 shown]
	s_wait_alu 0xfffe
	s_or_b32 exec_lo, exec_lo, s8
	v_add_co_u32 v205, vcc_lo, v160, 17
	s_wait_alu 0xfffd
	v_add_co_ci_u32_e64 v206, null, 0, v161, vcc_lo
	v_mov_b32_e32 v202, 0
	s_delay_alu instid0(VALU_DEP_2)
	v_cmp_gt_i64_e32 vcc_lo, s[4:5], v[205:206]
	v_mov_b32_e32 v205, 0
	s_and_saveexec_b32 s8, vcc_lo
	s_cbranch_execz .LBB153_184
; %bb.183:                              ;   in Loop: Header=BB153_145 Depth=1
	scratch_load_b32 v19, off, off offset:212 ; 4-byte Folded Reload
	s_wait_loadcnt 0x0
	v_add_co_u32 v205, vcc_lo, v19, v158
	scratch_load_b32 v19, off, off offset:216 ; 4-byte Folded Reload
	s_wait_loadcnt 0x0
	s_wait_alu 0xfffd
	v_add_co_ci_u32_e64 v206, null, v19, v159, vcc_lo
	scratch_load_b32 v19, off, off offset:204 ; 4-byte Folded Reload
	s_wait_loadcnt 0x0
	v_add_co_u32 v207, vcc_lo, v19, v158
	scratch_load_b32 v19, off, off offset:208 ; 4-byte Folded Reload
	s_wait_loadcnt 0x0
	s_wait_alu 0xfffd
	v_add_co_ci_u32_e64 v208, null, v19, v159, vcc_lo
	global_load_b32 v205, v[205:206], off
	global_load_b32 v19, v[207:208], off
.LBB153_184:                            ;   in Loop: Header=BB153_145 Depth=1
	s_wait_alu 0xfffe
	s_or_b32 exec_lo, exec_lo, s8
	v_add_co_u32 v206, vcc_lo, v160, 18
	s_wait_alu 0xfffd
	v_add_co_ci_u32_e64 v207, null, 0, v161, vcc_lo
	s_mov_b32 s8, exec_lo
	v_cmpx_gt_i64_e64 s[4:5], v[206:207]
	s_cbranch_execz .LBB153_186
; %bb.185:                              ;   in Loop: Header=BB153_145 Depth=1
	scratch_load_b32 v20, off, off offset:196 ; 4-byte Folded Reload
	s_wait_loadcnt 0x0
	v_add_co_u32 v206, vcc_lo, v20, v158
	scratch_load_b32 v20, off, off offset:200 ; 4-byte Folded Reload
	s_wait_loadcnt 0x0
	s_wait_alu 0xfffd
	v_add_co_ci_u32_e64 v207, null, v20, v159, vcc_lo
	scratch_load_b32 v20, off, off offset:188 ; 4-byte Folded Reload
	s_wait_loadcnt 0x0
	v_add_co_u32 v208, vcc_lo, v20, v158
	scratch_load_b32 v20, off, off offset:192 ; 4-byte Folded Reload
	s_wait_loadcnt 0x0
	s_wait_alu 0xfffd
	v_add_co_ci_u32_e64 v209, null, v20, v159, vcc_lo
	global_load_b32 v202, v[206:207], off
	global_load_b32 v20, v[208:209], off
.LBB153_186:                            ;   in Loop: Header=BB153_145 Depth=1
	s_wait_alu 0xfffe
	s_or_b32 exec_lo, exec_lo, s8
	v_add_co_u32 v206, vcc_lo, v160, 19
	s_wait_alu 0xfffd
	v_add_co_ci_u32_e64 v207, null, 0, v161, vcc_lo
	s_delay_alu instid0(VALU_DEP_1)
	v_cmp_gt_i64_e32 vcc_lo, s[4:5], v[206:207]
	v_dual_mov_b32 v206, 0 :: v_dual_mov_b32 v207, 0
	s_and_saveexec_b32 s8, vcc_lo
	s_cbranch_execz .LBB153_188
; %bb.187:                              ;   in Loop: Header=BB153_145 Depth=1
	scratch_load_b32 v21, off, off offset:180 ; 4-byte Folded Reload
	s_wait_loadcnt 0x0
	v_add_co_u32 v207, vcc_lo, v21, v158
	scratch_load_b32 v21, off, off offset:184 ; 4-byte Folded Reload
	s_wait_loadcnt 0x0
	s_wait_alu 0xfffd
	v_add_co_ci_u32_e64 v208, null, v21, v159, vcc_lo
	scratch_load_b32 v21, off, off offset:172 ; 4-byte Folded Reload
	s_wait_loadcnt 0x0
	v_add_co_u32 v209, vcc_lo, v21, v158
	scratch_load_b32 v21, off, off offset:176 ; 4-byte Folded Reload
	s_wait_loadcnt 0x0
	s_wait_alu 0xfffd
	v_add_co_ci_u32_e64 v210, null, v21, v159, vcc_lo
	global_load_b32 v207, v[207:208], off
	global_load_b32 v21, v[209:210], off
.LBB153_188:                            ;   in Loop: Header=BB153_145 Depth=1
	s_wait_alu 0xfffe
	s_or_b32 exec_lo, exec_lo, s8
	v_add_co_u32 v208, vcc_lo, v160, 20
	s_wait_alu 0xfffd
	v_add_co_ci_u32_e64 v209, null, 0, v161, vcc_lo
	s_mov_b32 s8, exec_lo
	v_cmpx_gt_i64_e64 s[4:5], v[208:209]
	s_cbranch_execz .LBB153_190
; %bb.189:                              ;   in Loop: Header=BB153_145 Depth=1
	scratch_load_b32 v22, off, off offset:164 ; 4-byte Folded Reload
	s_wait_loadcnt 0x0
	v_add_co_u32 v208, vcc_lo, v22, v158
	scratch_load_b32 v22, off, off offset:168 ; 4-byte Folded Reload
	s_wait_loadcnt 0x0
	s_wait_alu 0xfffd
	v_add_co_ci_u32_e64 v209, null, v22, v159, vcc_lo
	scratch_load_b32 v22, off, off offset:156 ; 4-byte Folded Reload
	s_wait_loadcnt 0x0
	v_add_co_u32 v210, vcc_lo, v22, v158
	scratch_load_b32 v22, off, off offset:160 ; 4-byte Folded Reload
	s_wait_loadcnt 0x0
	s_wait_alu 0xfffd
	v_add_co_ci_u32_e64 v211, null, v22, v159, vcc_lo
	global_load_b32 v206, v[208:209], off
	global_load_b32 v22, v[210:211], off
.LBB153_190:                            ;   in Loop: Header=BB153_145 Depth=1
	s_wait_alu 0xfffe
	s_or_b32 exec_lo, exec_lo, s8
	v_add_co_u32 v208, vcc_lo, v160, 21
	s_wait_alu 0xfffd
	v_add_co_ci_u32_e64 v209, null, 0, v161, vcc_lo
	s_delay_alu instid0(VALU_DEP_1)
	v_cmp_gt_i64_e32 vcc_lo, s[4:5], v[208:209]
	v_dual_mov_b32 v208, 0 :: v_dual_mov_b32 v209, 0
	;; [unrolled: 54-line block ×6, first 2 shown]
	s_and_saveexec_b32 s8, vcc_lo
	s_cbranch_execz .LBB153_208
; %bb.207:                              ;   in Loop: Header=BB153_145 Depth=1
	scratch_load_b32 v31, off, off offset:20 ; 4-byte Folded Reload
	v_dual_mov_b32 v226, v225 :: v_dual_mov_b32 v225, v224
	v_dual_mov_b32 v224, v223 :: v_dual_mov_b32 v223, v222
	v_mov_b32_e32 v222, v220
	s_wait_loadcnt 0x0
	v_add_co_u32 v217, vcc_lo, v31, v158
	scratch_load_b32 v31, off, off offset:24 ; 4-byte Folded Reload
	s_wait_loadcnt 0x0
	s_wait_alu 0xfffd
	v_add_co_ci_u32_e64 v218, null, v31, v159, vcc_lo
	scratch_load_b32 v31, off, off offset:12 ; 4-byte Folded Reload
	s_wait_loadcnt 0x0
	v_add_co_u32 v219, vcc_lo, v31, v158
	scratch_load_b32 v31, off, off offset:16 ; 4-byte Folded Reload
	s_wait_loadcnt 0x0
	s_wait_alu 0xfffd
	v_add_co_ci_u32_e64 v220, null, v31, v159, vcc_lo
	global_load_b32 v217, v[217:218], off
	global_load_b32 v31, v[219:220], off
	v_mov_b32_e32 v220, v222
	v_dual_mov_b32 v222, v223 :: v_dual_mov_b32 v223, v224
	v_dual_mov_b32 v224, v225 :: v_dual_mov_b32 v225, v226
.LBB153_208:                            ;   in Loop: Header=BB153_145 Depth=1
	s_wait_alu 0xfffe
	s_or_b32 exec_lo, exec_lo, s8
	v_add_co_u32 v218, vcc_lo, v160, 30
	s_wait_alu 0xfffd
	v_add_co_ci_u32_e64 v219, null, 0, v161, vcc_lo
	s_mov_b32 s8, exec_lo
	v_cmpx_gt_i64_e64 s[4:5], v[218:219]
	s_cbranch_execz .LBB153_210
; %bb.209:                              ;   in Loop: Header=BB153_145 Depth=1
	scratch_load_b32 v32, off, off offset:4 ; 4-byte Folded Reload
	v_dual_mov_b32 v226, v225 :: v_dual_mov_b32 v225, v224
	v_dual_mov_b32 v224, v223 :: v_dual_mov_b32 v223, v222
	v_mov_b32_e32 v222, v220
	s_wait_loadcnt 0x0
	v_add_co_u32 v218, vcc_lo, v32, v158
	scratch_load_b32 v32, off, off offset:8 ; 4-byte Folded Reload
	s_wait_loadcnt 0x0
	s_wait_alu 0xfffd
	v_add_co_ci_u32_e64 v219, null, v32, v159, vcc_lo
	scratch_load_b32 v32, off, off          ; 4-byte Folded Reload
	v_add_co_u32 v220, vcc_lo, v227, v158
	s_wait_loadcnt 0x0
	s_wait_alu 0xfffd
	v_add_co_ci_u32_e64 v221, null, v32, v159, vcc_lo
	global_load_b32 v216, v[218:219], off
	global_load_b32 v32, v[220:221], off
	scratch_load_b32 v221, off, off offset:292 ; 4-byte Folded Reload
	v_mov_b32_e32 v220, v222
	v_dual_mov_b32 v222, v223 :: v_dual_mov_b32 v223, v224
	v_dual_mov_b32 v224, v225 :: v_dual_mov_b32 v225, v226
.LBB153_210:                            ;   in Loop: Header=BB153_145 Depth=1
	s_wait_alu 0xfffe
	s_or_b32 exec_lo, exec_lo, s8
	v_add_co_u32 v218, vcc_lo, v160, 31
	s_wait_alu 0xfffd
	v_add_co_ci_u32_e64 v219, null, 0, v161, vcc_lo
	s_delay_alu instid0(VALU_DEP_1)
	v_cmp_gt_i64_e32 vcc_lo, s[4:5], v[218:219]
	v_mov_b32_e32 v218, 0
	s_and_saveexec_b32 s8, vcc_lo
	s_cbranch_execz .LBB153_212
; %bb.211:                              ;   in Loop: Header=BB153_145 Depth=1
	v_add_co_u32 v218, vcc_lo, v224, v158
	s_wait_alu 0xfffd
	v_add_co_ci_u32_e64 v219, null, v225, v159, vcc_lo
	v_dual_mov_b32 v226, v225 :: v_dual_mov_b32 v225, v224
	v_dual_mov_b32 v224, v223 :: v_dual_mov_b32 v223, v222
	v_mov_b32_e32 v222, v220
	s_delay_alu instid0(VALU_DEP_2)
	v_add_co_u32 v220, vcc_lo, v223, v158
	s_wait_loadcnt 0x0
	s_wait_alu 0xfffd
	v_add_co_ci_u32_e64 v221, null, v224, v159, vcc_lo
	global_load_b32 v218, v[218:219], off
	global_load_b32 v33, v[220:221], off
	scratch_load_b32 v221, off, off offset:292 ; 4-byte Folded Reload
	v_mov_b32_e32 v220, v222
	v_dual_mov_b32 v222, v223 :: v_dual_mov_b32 v223, v224
	v_dual_mov_b32 v224, v225 :: v_dual_mov_b32 v225, v226
.LBB153_212:                            ;   in Loop: Header=BB153_145 Depth=1
	s_wait_alu 0xfffe
	s_or_b32 exec_lo, exec_lo, s8
	scratch_load_b32 v219, off, off offset:220 th:TH_LOAD_LU ; 4-byte Folded Reload
	s_mov_b32 s8, 0
	s_wait_loadcnt 0x1
	v_dual_mul_f32 v19, v205, v19 :: v_dual_mul_f32 v20, v202, v20
	ds_bpermute_b32 v202, v1, v203
	v_dual_mul_f32 v23, v209, v23 :: v_dual_mul_f32 v22, v206, v22
	v_dual_mul_f32 v27, v213, v27 :: v_dual_mul_f32 v24, v208, v24
	;; [unrolled: 1-line block ×4, first 2 shown]
	v_mul_f32_e32 v30, v214, v30
	v_mul_f32_e32 v32, v216, v32
	s_wait_loadcnt 0x0
	v_mul_f32_e32 v2, v219, v2
	scratch_load_b32 v219, off, off offset:228 th:TH_LOAD_LU ; 4-byte Folded Reload
	s_wait_dscnt 0x0
	v_fma_f32 v202, v2, v202, v204
	ds_bpermute_b32 v2, v1, v203 offset:4
	s_wait_loadcnt 0x0
	v_mul_f32_e32 v3, v219, v3
	scratch_load_b32 v219, off, off offset:224 th:TH_LOAD_LU ; 4-byte Folded Reload
	s_wait_dscnt 0x0
	v_fmac_f32_e32 v202, v3, v2
	ds_bpermute_b32 v2, v1, v203 offset:8
	ds_bpermute_b32 v3, v1, v203 offset:104
	s_wait_loadcnt 0x0
	v_mul_f32_e32 v4, v219, v4
	scratch_load_b32 v219, off, off offset:236 th:TH_LOAD_LU ; 4-byte Folded Reload
	s_wait_dscnt 0x1
	v_fmac_f32_e32 v202, v4, v2
	ds_bpermute_b32 v2, v1, v203 offset:12
	ds_bpermute_b32 v4, v1, v203 offset:112
	s_wait_loadcnt 0x0
	v_mul_f32_e32 v5, v219, v5
	scratch_load_b32 v219, off, off offset:232 th:TH_LOAD_LU ; 4-byte Folded Reload
	s_wait_dscnt 0x1
	v_dual_mul_f32 v21, v207, v21 :: v_dual_fmac_f32 v202, v5, v2
	ds_bpermute_b32 v2, v1, v203 offset:16
	ds_bpermute_b32 v5, v1, v203 offset:120
	s_wait_loadcnt 0x0
	v_mul_f32_e32 v6, v219, v6
	scratch_load_b32 v219, off, off offset:244 th:TH_LOAD_LU ; 4-byte Folded Reload
	s_wait_dscnt 0x1
	v_dual_mul_f32 v25, v211, v25 :: v_dual_fmac_f32 v202, v6, v2
	ds_bpermute_b32 v2, v1, v203 offset:20
	s_wait_loadcnt 0x0
	v_mul_f32_e32 v7, v219, v7
	scratch_load_b32 v219, off, off offset:240 th:TH_LOAD_LU ; 4-byte Folded Reload
	s_wait_dscnt 0x0
	v_fmac_f32_e32 v202, v7, v2
	ds_bpermute_b32 v2, v1, v203 offset:24
	s_wait_loadcnt 0x0
	v_mul_f32_e32 v8, v219, v8
	scratch_load_b32 v219, off, off offset:252 th:TH_LOAD_LU ; 4-byte Folded Reload
	s_wait_dscnt 0x0
	v_dual_mul_f32 v29, v215, v29 :: v_dual_fmac_f32 v202, v8, v2
	ds_bpermute_b32 v2, v1, v203 offset:28
	s_wait_loadcnt 0x0
	v_mul_f32_e32 v9, v219, v9
	scratch_load_b32 v219, off, off offset:248 th:TH_LOAD_LU ; 4-byte Folded Reload
	s_wait_dscnt 0x0
	v_fmac_f32_e32 v202, v9, v2
	ds_bpermute_b32 v2, v1, v203 offset:32
	s_wait_loadcnt 0x0
	v_mul_f32_e32 v10, v219, v10
	scratch_load_b32 v219, off, off offset:260 th:TH_LOAD_LU ; 4-byte Folded Reload
	s_wait_dscnt 0x0
	v_fmac_f32_e32 v202, v10, v2
	;; [unrolled: 6-line block ×9, first 2 shown]
	ds_bpermute_b32 v2, v1, v203 offset:64
	s_wait_loadcnt 0x0
	v_mul_f32_e32 v18, v219, v18
	s_wait_dscnt 0x0
	s_delay_alu instid0(VALU_DEP_1)
	v_fmac_f32_e32 v202, v18, v2
	ds_bpermute_b32 v2, v1, v203 offset:68
	s_wait_dscnt 0x0
	v_fmac_f32_e32 v202, v19, v2
	ds_bpermute_b32 v2, v1, v203 offset:72
	s_wait_dscnt 0x0
	;; [unrolled: 3-line block ×9, first 2 shown]
	v_fmac_f32_e32 v202, v27, v2
	ds_bpermute_b32 v2, v1, v203 offset:108
	v_fmac_f32_e32 v202, v28, v3
	ds_bpermute_b32 v3, v1, v203 offset:116
	s_wait_dscnt 0x1
	v_fmac_f32_e32 v202, v29, v2
	ds_bpermute_b32 v2, v1, v203 offset:124
	v_fmac_f32_e32 v202, v30, v4
	s_wait_dscnt 0x1
	s_delay_alu instid0(VALU_DEP_1) | instskip(NEXT) | instid1(VALU_DEP_1)
	v_fmac_f32_e32 v202, v31, v3
	v_fmac_f32_e32 v202, v32, v5
	s_wait_dscnt 0x0
	s_delay_alu instid0(VALU_DEP_1)
	v_fmac_f32_e32 v202, v33, v2
.LBB153_213:                            ;   in Loop: Header=BB153_145 Depth=1
	s_wait_alu 0xfffe
	s_and_b32 vcc_lo, exec_lo, s8
	s_wait_alu 0xfffe
	s_cbranch_vccz .LBB153_217
; %bb.214:                              ;   in Loop: Header=BB153_145 Depth=1
	scratch_load_b32 v2, off, off offset:288 ; 4-byte Folded Reload
	s_load_b32 s8, s[16:17], 0x0
	v_mov_b32_e32 v4, 0
	s_wait_kmcnt 0x0
	s_cmp_lt_u32 ttmp9, s8
	s_cselect_b32 s8, 12, 18
	s_wait_alu 0xfffe
	s_add_nc_u64 s[24:25], s[16:17], s[8:9]
	s_load_u16 s8, s[24:25], 0x0
	s_wait_loadcnt 0x0
	s_wait_kmcnt 0x0
	v_mad_u32_u24 v2, v221, s8, v2
	s_mov_b32 s8, exec_lo
	s_delay_alu instid0(VALU_DEP_1) | instskip(NEXT) | instid1(VALU_DEP_1)
	v_and_b32_e32 v2, 31, v2
	v_add_co_u32 v2, vcc_lo, v160, v2
	s_wait_alu 0xfffd
	v_add_co_ci_u32_e64 v3, null, 0, v161, vcc_lo
	s_delay_alu instid0(VALU_DEP_1)
	v_cmpx_gt_i64_e64 s[4:5], v[2:3]
	s_cbranch_execz .LBB153_216
; %bb.215:                              ;   in Loop: Header=BB153_145 Depth=1
	v_lshlrev_b64_e32 v[2:3], 2, v[2:3]
	s_delay_alu instid0(VALU_DEP_1) | instskip(SKIP_1) | instid1(VALU_DEP_2)
	v_add_co_u32 v2, vcc_lo, s12, v2
	s_wait_alu 0xfffd
	v_add_co_ci_u32_e64 v3, null, s13, v3, vcc_lo
	global_load_b32 v4, v[2:3], off
.LBB153_216:                            ;   in Loop: Header=BB153_145 Depth=1
	s_wait_alu 0xfffe
	s_or_b32 exec_lo, exec_lo, s8
	v_add_co_u32 v2, vcc_lo, v164, v158
	s_wait_alu 0xfffd
	v_add_co_ci_u32_e64 v3, null, v165, v159, vcc_lo
	global_load_b32 v5, v[2:3], off
	v_add_co_u32 v2, vcc_lo, v166, v158
	s_wait_alu 0xfffd
	v_add_co_ci_u32_e64 v3, null, v167, v159, vcc_lo
	global_load_b32 v2, v[2:3], off
	s_wait_loadcnt 0x2
	ds_bpermute_b32 v3, v1, v4
	s_wait_loadcnt 0x0
	v_mul_f32_e32 v2, v5, v2
	s_wait_dscnt 0x0
	s_delay_alu instid0(VALU_DEP_1)
	v_fmac_f32_e32 v204, v2, v3
	v_add_co_u32 v2, vcc_lo, v34, v158
	s_wait_alu 0xfffd
	v_add_co_ci_u32_e64 v3, null, v35, v159, vcc_lo
	global_load_b32 v5, v[2:3], off
	v_add_co_u32 v2, vcc_lo, v42, v158
	s_wait_alu 0xfffd
	v_add_co_ci_u32_e64 v3, null, v43, v159, vcc_lo
	global_load_b32 v2, v[2:3], off
	ds_bpermute_b32 v3, v1, v4 offset:4
	s_wait_loadcnt 0x0
	v_mul_f32_e32 v2, v5, v2
	s_wait_dscnt 0x0
	s_delay_alu instid0(VALU_DEP_1)
	v_fmac_f32_e32 v204, v2, v3
	v_add_co_u32 v2, vcc_lo, v36, v158
	s_wait_alu 0xfffd
	v_add_co_ci_u32_e64 v3, null, v37, v159, vcc_lo
	global_load_b32 v5, v[2:3], off
	v_add_co_u32 v2, vcc_lo, v46, v158
	s_wait_alu 0xfffd
	v_add_co_ci_u32_e64 v3, null, v47, v159, vcc_lo
	global_load_b32 v2, v[2:3], off
	ds_bpermute_b32 v3, v1, v4 offset:8
	;; [unrolled: 14-line block ×31, first 2 shown]
	s_wait_loadcnt 0x0
	v_mul_f32_e32 v2, v5, v2
	s_wait_dscnt 0x0
	s_delay_alu instid0(VALU_DEP_1) | instskip(NEXT) | instid1(VALU_DEP_1)
	v_fmac_f32_e32 v204, v2, v3
	v_mov_b32_e32 v202, v204
.LBB153_217:                            ;   in Loop: Header=BB153_145 Depth=1
	scratch_load_b32 v2, off, off           ; 4-byte Folded Reload
	v_add_co_u32 v164, vcc_lo, v164, s18
	s_wait_alu 0xfffd
	v_add_co_ci_u32_e64 v165, null, s19, v165, vcc_lo
	v_add_co_u32 v166, vcc_lo, v166, s18
	s_wait_alu 0xfffd
	v_add_co_ci_u32_e64 v167, null, s19, v167, vcc_lo
	;; [unrolled: 3-line block ×67, first 2 shown]
	v_add_co_u32 v227, vcc_lo, v227, s18
	s_add_nc_u64 s[22:23], s[22:23], s[10:11]
	s_add_nc_u64 s[20:21], s[20:21], s[10:11]
	s_wait_alu 0xfffe
	v_cmp_ge_i64_e64 s8, s[22:23], s[4:5]
	s_wait_loadcnt 0x0
	s_wait_alu 0xfffd
	v_add_co_ci_u32_e64 v2, null, s19, v2, vcc_lo
	scratch_store_b32 off, v2, off          ; 4-byte Folded Spill
	scratch_load_b32 v2, off, off offset:4  ; 4-byte Folded Reload
	s_wait_loadcnt 0x0
	v_add_co_u32 v2, vcc_lo, v2, s18
	scratch_store_b32 off, v2, off offset:4 ; 4-byte Folded Spill
	scratch_load_b32 v2, off, off offset:8  ; 4-byte Folded Reload
	s_wait_loadcnt 0x0
	s_wait_alu 0xfffd
	v_add_co_ci_u32_e64 v2, null, s19, v2, vcc_lo
	scratch_store_b32 off, v2, off offset:8 ; 4-byte Folded Spill
	scratch_load_b32 v2, off, off offset:12 ; 4-byte Folded Reload
	s_wait_loadcnt 0x0
	v_add_co_u32 v2, vcc_lo, v2, s18
	scratch_store_b32 off, v2, off offset:12 ; 4-byte Folded Spill
	scratch_load_b32 v2, off, off offset:16 ; 4-byte Folded Reload
	s_wait_loadcnt 0x0
	s_wait_alu 0xfffd
	v_add_co_ci_u32_e64 v2, null, s19, v2, vcc_lo
	scratch_store_b32 off, v2, off offset:16 ; 4-byte Folded Spill
	scratch_load_b32 v2, off, off offset:20 ; 4-byte Folded Reload
	s_wait_loadcnt 0x0
	v_add_co_u32 v2, vcc_lo, v2, s18
	scratch_store_b32 off, v2, off offset:20 ; 4-byte Folded Spill
	scratch_load_b32 v2, off, off offset:24 ; 4-byte Folded Reload
	;; [unrolled: 9-line block ×26, first 2 shown]
	s_wait_loadcnt 0x0
	s_wait_alu 0xfffd
	v_add_co_ci_u32_e64 v2, null, s19, v2, vcc_lo
	v_add_co_u32 v228, vcc_lo, v228, s18
	s_wait_alu 0xfffd
	v_add_co_ci_u32_e64 v229, null, s19, v229, vcc_lo
	v_add_co_u32 v230, vcc_lo, v230, s18
	;; [unrolled: 3-line block ×32, first 2 shown]
	s_wait_alu 0xfffd
	v_add_co_ci_u32_e64 v200, null, s19, v200, vcc_lo
	s_and_b32 vcc_lo, exec_lo, s8
	scratch_store_b32 off, v2, off offset:216 ; 4-byte Folded Spill
	s_wait_alu 0xfffe
	s_cbranch_vccnz .LBB153_219
; %bb.218:                              ;   in Loop: Header=BB153_145 Depth=1
	v_mov_b32_e32 v204, v202
	s_branch .LBB153_145
.LBB153_219:
	scratch_load_b32 v208, off, off offset:296 ; 4-byte Folded Reload
.LBB153_220:
	s_mov_b32 s4, ttmp9
	s_mov_b32 s5, 0
	s_wait_alu 0xfffe
	s_lshl_b64 s[4:5], s[4:5], 5
	s_wait_kmcnt 0x0
	s_cmp_lg_u64 s[2:3], 0
	s_wait_loadcnt 0x0
	s_wait_alu 0xfffe
	v_and_or_b32 v1, 0x3ff, v208, s4
	v_mov_b32_e32 v2, s5
	s_cselect_b32 s4, -1, 0
	s_delay_alu instid0(VALU_DEP_1)
	v_cmp_gt_i64_e32 vcc_lo, s[6:7], v[1:2]
	s_wait_alu 0xfffe
	s_and_b32 s4, vcc_lo, s4
	s_wait_alu 0xfffe
	s_and_saveexec_b32 s5, s4
	s_cbranch_execz .LBB153_222
; %bb.221:
	s_load_u16 s0, s[0:1], 0x4e
	v_bfe_u32 v3, v208, 10, 10
	v_mov_b32_e32 v4, 0
	s_wait_kmcnt 0x0
	s_delay_alu instid0(VALU_DEP_1) | instskip(NEXT) | instid1(VALU_DEP_1)
	v_mad_co_u64_u32 v[3:4], null, s0, ttmp7, v[3:4]
	v_mul_lo_u32 v0, v4, s6
	s_delay_alu instid0(VALU_DEP_2) | instskip(SKIP_1) | instid1(VALU_DEP_1)
	v_mul_lo_u32 v5, v3, s7
	v_mad_co_u64_u32 v[3:4], null, v3, s6, 0
	v_add3_u32 v4, v4, v5, v0
	v_lshlrev_b64_e32 v[0:1], 2, v[1:2]
	s_delay_alu instid0(VALU_DEP_2) | instskip(NEXT) | instid1(VALU_DEP_1)
	v_lshlrev_b64_e32 v[3:4], 2, v[3:4]
	v_add_co_u32 v2, vcc_lo, s2, v3
	s_wait_alu 0xfffd
	s_delay_alu instid0(VALU_DEP_2) | instskip(NEXT) | instid1(VALU_DEP_2)
	v_add_co_ci_u32_e64 v3, null, s3, v4, vcc_lo
	v_add_co_u32 v0, vcc_lo, v2, v0
	s_wait_alu 0xfffd
	s_delay_alu instid0(VALU_DEP_2)
	v_add_co_ci_u32_e64 v1, null, v3, v1, vcc_lo
	global_store_b32 v[0:1], v202, off
.LBB153_222:
	s_nop 0
	s_sendmsg sendmsg(MSG_DEALLOC_VGPRS)
	s_endpgm
	.section	.rodata,"a",@progbits
	.p2align	6, 0x0
	.amdhsa_kernel _ZN2at6native12_GLOBAL__N_135GammaBetaBackwardCUDAKernelTemplateIffLj32ELj1ELj32ELb1ELb0ELb1EEEvllPKT_S5_PKT0_S8_PS3_S9_
		.amdhsa_group_segment_fixed_size 0
		.amdhsa_private_segment_fixed_size 304
		.amdhsa_kernarg_size 320
		.amdhsa_user_sgpr_count 2
		.amdhsa_user_sgpr_dispatch_ptr 0
		.amdhsa_user_sgpr_queue_ptr 0
		.amdhsa_user_sgpr_kernarg_segment_ptr 1
		.amdhsa_user_sgpr_dispatch_id 0
		.amdhsa_user_sgpr_private_segment_size 0
		.amdhsa_wavefront_size32 1
		.amdhsa_uses_dynamic_stack 0
		.amdhsa_enable_private_segment 1
		.amdhsa_system_sgpr_workgroup_id_x 1
		.amdhsa_system_sgpr_workgroup_id_y 1
		.amdhsa_system_sgpr_workgroup_id_z 0
		.amdhsa_system_sgpr_workgroup_info 0
		.amdhsa_system_vgpr_workitem_id 1
		.amdhsa_next_free_vgpr 256
		.amdhsa_next_free_sgpr 32
		.amdhsa_reserve_vcc 1
		.amdhsa_float_round_mode_32 0
		.amdhsa_float_round_mode_16_64 0
		.amdhsa_float_denorm_mode_32 3
		.amdhsa_float_denorm_mode_16_64 3
		.amdhsa_fp16_overflow 0
		.amdhsa_workgroup_processor_mode 1
		.amdhsa_memory_ordered 1
		.amdhsa_forward_progress 1
		.amdhsa_inst_pref_size 255
		.amdhsa_round_robin_scheduling 0
		.amdhsa_exception_fp_ieee_invalid_op 0
		.amdhsa_exception_fp_denorm_src 0
		.amdhsa_exception_fp_ieee_div_zero 0
		.amdhsa_exception_fp_ieee_overflow 0
		.amdhsa_exception_fp_ieee_underflow 0
		.amdhsa_exception_fp_ieee_inexact 0
		.amdhsa_exception_int_div_zero 0
	.end_amdhsa_kernel
	.section	.text._ZN2at6native12_GLOBAL__N_135GammaBetaBackwardCUDAKernelTemplateIffLj32ELj1ELj32ELb1ELb0ELb1EEEvllPKT_S5_PKT0_S8_PS3_S9_,"axG",@progbits,_ZN2at6native12_GLOBAL__N_135GammaBetaBackwardCUDAKernelTemplateIffLj32ELj1ELj32ELb1ELb0ELb1EEEvllPKT_S5_PKT0_S8_PS3_S9_,comdat
.Lfunc_end153:
	.size	_ZN2at6native12_GLOBAL__N_135GammaBetaBackwardCUDAKernelTemplateIffLj32ELj1ELj32ELb1ELb0ELb1EEEvllPKT_S5_PKT0_S8_PS3_S9_, .Lfunc_end153-_ZN2at6native12_GLOBAL__N_135GammaBetaBackwardCUDAKernelTemplateIffLj32ELj1ELj32ELb1ELb0ELb1EEEvllPKT_S5_PKT0_S8_PS3_S9_
                                        ; -- End function
	.set _ZN2at6native12_GLOBAL__N_135GammaBetaBackwardCUDAKernelTemplateIffLj32ELj1ELj32ELb1ELb0ELb1EEEvllPKT_S5_PKT0_S8_PS3_S9_.num_vgpr, 256
	.set _ZN2at6native12_GLOBAL__N_135GammaBetaBackwardCUDAKernelTemplateIffLj32ELj1ELj32ELb1ELb0ELb1EEEvllPKT_S5_PKT0_S8_PS3_S9_.num_agpr, 0
	.set _ZN2at6native12_GLOBAL__N_135GammaBetaBackwardCUDAKernelTemplateIffLj32ELj1ELj32ELb1ELb0ELb1EEEvllPKT_S5_PKT0_S8_PS3_S9_.numbered_sgpr, 32
	.set _ZN2at6native12_GLOBAL__N_135GammaBetaBackwardCUDAKernelTemplateIffLj32ELj1ELj32ELb1ELb0ELb1EEEvllPKT_S5_PKT0_S8_PS3_S9_.num_named_barrier, 0
	.set _ZN2at6native12_GLOBAL__N_135GammaBetaBackwardCUDAKernelTemplateIffLj32ELj1ELj32ELb1ELb0ELb1EEEvllPKT_S5_PKT0_S8_PS3_S9_.private_seg_size, 304
	.set _ZN2at6native12_GLOBAL__N_135GammaBetaBackwardCUDAKernelTemplateIffLj32ELj1ELj32ELb1ELb0ELb1EEEvllPKT_S5_PKT0_S8_PS3_S9_.uses_vcc, 1
	.set _ZN2at6native12_GLOBAL__N_135GammaBetaBackwardCUDAKernelTemplateIffLj32ELj1ELj32ELb1ELb0ELb1EEEvllPKT_S5_PKT0_S8_PS3_S9_.uses_flat_scratch, 1
	.set _ZN2at6native12_GLOBAL__N_135GammaBetaBackwardCUDAKernelTemplateIffLj32ELj1ELj32ELb1ELb0ELb1EEEvllPKT_S5_PKT0_S8_PS3_S9_.has_dyn_sized_stack, 0
	.set _ZN2at6native12_GLOBAL__N_135GammaBetaBackwardCUDAKernelTemplateIffLj32ELj1ELj32ELb1ELb0ELb1EEEvllPKT_S5_PKT0_S8_PS3_S9_.has_recursion, 0
	.set _ZN2at6native12_GLOBAL__N_135GammaBetaBackwardCUDAKernelTemplateIffLj32ELj1ELj32ELb1ELb0ELb1EEEvllPKT_S5_PKT0_S8_PS3_S9_.has_indirect_call, 0
	.section	.AMDGPU.csdata,"",@progbits
; Kernel info:
; codeLenInByte = 34220
; TotalNumSgprs: 34
; NumVgprs: 256
; ScratchSize: 304
; MemoryBound: 0
; FloatMode: 240
; IeeeMode: 1
; LDSByteSize: 0 bytes/workgroup (compile time only)
; SGPRBlocks: 0
; VGPRBlocks: 31
; NumSGPRsForWavesPerEU: 34
; NumVGPRsForWavesPerEU: 256
; Occupancy: 5
; WaveLimiterHint : 0
; COMPUTE_PGM_RSRC2:SCRATCH_EN: 1
; COMPUTE_PGM_RSRC2:USER_SGPR: 2
; COMPUTE_PGM_RSRC2:TRAP_HANDLER: 0
; COMPUTE_PGM_RSRC2:TGID_X_EN: 1
; COMPUTE_PGM_RSRC2:TGID_Y_EN: 1
; COMPUTE_PGM_RSRC2:TGID_Z_EN: 0
; COMPUTE_PGM_RSRC2:TIDIG_COMP_CNT: 1
	.section	.text._ZN2at6native12_GLOBAL__N_135GammaBetaBackwardCUDAKernelTemplateIffLj32ELj1ELj8ELb1ELb1ELb1EEEvllPKT_S5_PKT0_S8_PS3_S9_,"axG",@progbits,_ZN2at6native12_GLOBAL__N_135GammaBetaBackwardCUDAKernelTemplateIffLj32ELj1ELj8ELb1ELb1ELb1EEEvllPKT_S5_PKT0_S8_PS3_S9_,comdat
	.globl	_ZN2at6native12_GLOBAL__N_135GammaBetaBackwardCUDAKernelTemplateIffLj32ELj1ELj8ELb1ELb1ELb1EEEvllPKT_S5_PKT0_S8_PS3_S9_ ; -- Begin function _ZN2at6native12_GLOBAL__N_135GammaBetaBackwardCUDAKernelTemplateIffLj32ELj1ELj8ELb1ELb1ELb1EEEvllPKT_S5_PKT0_S8_PS3_S9_
	.p2align	8
	.type	_ZN2at6native12_GLOBAL__N_135GammaBetaBackwardCUDAKernelTemplateIffLj32ELj1ELj8ELb1ELb1ELb1EEEvllPKT_S5_PKT0_S8_PS3_S9_,@function
_ZN2at6native12_GLOBAL__N_135GammaBetaBackwardCUDAKernelTemplateIffLj32ELj1ELj8ELb1ELb1ELb1EEEvllPKT_S5_PKT0_S8_PS3_S9_: ; @_ZN2at6native12_GLOBAL__N_135GammaBetaBackwardCUDAKernelTemplateIffLj32ELj1ELj8ELb1ELb1ELb1EEEvllPKT_S5_PKT0_S8_PS3_S9_
; %bb.0:
	s_clause 0x1
	s_load_b128 s[4:7], s[0:1], 0x0
	s_load_b64 s[12:13], s[0:1], 0x30
	s_lshl_b32 s14, ttmp7, 3
	s_mov_b32 s15, 0
	v_mov_b32_e32 v8, 0
	v_bfe_u32 v1, v0, 10, 10
	v_and_b32_e32 v0, 0x3ff, v0
	s_wait_kmcnt 0x0
	v_cmp_le_i64_e64 s2, s[4:5], s[14:15]
	s_and_b32 vcc_lo, exec_lo, s2
	s_cbranch_vccnz .LBB154_7
; %bb.1:
	s_load_b32 s2, s[0:1], 0x4c
	v_dual_mov_b32 v9, 8 :: v_dual_lshlrev_b32 v2, 3, v1
	s_clause 0x2
	s_load_b32 s3, s[0:1], 0x44
	s_load_b128 s[8:11], s[0:1], 0x10
	s_load_b64 s[18:19], s[0:1], 0x28
	v_dual_mov_b32 v3, 0 :: v_dual_mov_b32 v10, 4
	v_add_co_u32 v4, s16, v2, s14
	s_delay_alu instid0(VALU_DEP_1) | instskip(SKIP_1) | instid1(VALU_DEP_3)
	v_add_co_ci_u32_e64 v5, null, 0, 0, s16
	v_lshl_or_b32 v2, ttmp9, 5, v0
	v_mul_lo_u32 v8, s7, v4
	v_mad_co_u64_u32 v[6:7], null, s6, v4, 0
	s_delay_alu instid0(VALU_DEP_4) | instskip(NEXT) | instid1(VALU_DEP_4)
	v_mul_lo_u32 v17, s6, v5
	v_lshlrev_b64_e32 v[15:16], 2, v[2:3]
	s_mov_b32 s17, s15
	v_dual_mov_b32 v11, 12 :: v_dual_mov_b32 v12, 16
	v_mov_b32_e32 v13, 20
	s_wait_kmcnt 0x0
	s_and_b32 s2, s2, 0xffff
	s_lshl_b32 s16, s3, 3
	v_mad_u32_u24 v14, v1, s2, v0
	v_add3_u32 v7, v7, v17, v8
	v_mov_b32_e32 v8, 0
	s_wait_alu 0xfffe
	s_mul_u64 s[20:21], s[6:7], s[16:17]
	s_lshl_b64 s[22:23], s[6:7], 2
	v_dual_mov_b32 v2, 28 :: v_dual_and_b32 v19, 31, v14
	v_lshlrev_b64_e32 v[6:7], 2, v[6:7]
	v_mov_b32_e32 v14, 24
	s_lshl_b64 s[20:21], s[20:21], 2
	s_delay_alu instid0(VALU_DEP_3) | instskip(NEXT) | instid1(VALU_DEP_1)
	v_add_co_u32 v4, vcc_lo, v4, v19
	v_add_co_ci_u32_e64 v5, null, 0, v5, vcc_lo
	s_delay_alu instid0(VALU_DEP_4) | instskip(SKIP_2) | instid1(VALU_DEP_3)
	v_add_co_u32 v15, vcc_lo, v6, v15
	s_wait_alu 0xfffd
	v_add_co_ci_u32_e64 v16, null, v7, v16, vcc_lo
	v_lshlrev_b64_e32 v[17:18], 2, v[4:5]
	v_cmp_gt_u32_e64 s2, 8, v19
	s_delay_alu instid0(VALU_DEP_2) | instskip(SKIP_1) | instid1(VALU_DEP_3)
	v_add_co_u32 v6, vcc_lo, s18, v17
	s_wait_alu 0xfffd
	v_add_co_ci_u32_e64 v7, null, s19, v18, vcc_lo
	s_lshl_b64 s[18:19], s[16:17], 2
	s_branch .LBB154_4
.LBB154_2:                              ;   in Loop: Header=BB154_4 Depth=1
	s_or_b32 exec_lo, exec_lo, s24
.LBB154_3:                              ;   in Loop: Header=BB154_4 Depth=1
	s_wait_alu 0xfffe
	s_or_b32 exec_lo, exec_lo, s3
	v_add_co_u32 v18, vcc_lo, s8, v15
	s_wait_alu 0xfffd
	v_add_co_ci_u32_e64 v19, null, s9, v16, vcc_lo
	v_add_co_u32 v20, vcc_lo, s10, v15
	s_wait_alu 0xfffd
	v_add_co_ci_u32_e64 v21, null, s11, v16, vcc_lo
	;; [unrolled: 3-line block ×5, first 2 shown]
	global_load_b32 v28, v[18:19], off
	global_load_b32 v29, v[20:21], off
	;; [unrolled: 1-line block ×5, first 2 shown]
	v_add_co_u32 v18, vcc_lo, v24, s22
	s_wait_alu 0xfffd
	v_add_co_ci_u32_e64 v19, null, s23, v25, vcc_lo
	v_add_co_u32 v20, vcc_lo, v26, s22
	s_wait_alu 0xfffd
	v_add_co_ci_u32_e64 v21, null, s23, v27, vcc_lo
	;; [unrolled: 3-line block ×5, first 2 shown]
	global_load_b32 v33, v[18:19], off
	global_load_b32 v34, v[20:21], off
	global_load_b32 v35, v[22:23], off
	global_load_b32 v36, v[24:25], off
	global_load_b32 v37, v[26:27], off
	v_add_co_u32 v18, vcc_lo, v24, s22
	s_wait_alu 0xfffd
	v_add_co_ci_u32_e64 v19, null, s23, v25, vcc_lo
	v_add_co_u32 v20, vcc_lo, v26, s22
	s_wait_alu 0xfffd
	v_add_co_ci_u32_e64 v21, null, s23, v27, vcc_lo
	;; [unrolled: 3-line block ×4, first 2 shown]
	global_load_b32 v26, v[18:19], off
	global_load_b32 v27, v[20:21], off
	;; [unrolled: 1-line block ×4, first 2 shown]
	v_add_co_u32 v18, vcc_lo, v22, s22
	s_wait_alu 0xfffd
	v_add_co_ci_u32_e64 v19, null, s23, v23, vcc_lo
	v_add_co_u32 v20, vcc_lo, v24, s22
	s_wait_alu 0xfffd
	v_add_co_ci_u32_e64 v21, null, s23, v25, vcc_lo
	global_load_b32 v18, v[18:19], off
	global_load_b32 v19, v[20:21], off
	s_wait_loadcnt 0x10
	ds_bpermute_b32 v20, v3, v17
	ds_bpermute_b32 v21, v10, v17
	;; [unrolled: 1-line block ×4, first 2 shown]
	v_add_co_u32 v6, vcc_lo, v6, s18
	s_add_nc_u64 s[14:15], s[14:15], s[16:17]
	s_wait_alu 0xfffd
	v_add_co_ci_u32_e64 v7, null, s19, v7, vcc_lo
	v_add_co_u32 v4, vcc_lo, v4, s16
	s_wait_alu 0xfffe
	v_cmp_lt_i64_e64 s3, s[14:15], s[4:5]
	s_wait_alu 0xfffd
	v_add_co_ci_u32_e64 v5, null, 0, v5, vcc_lo
	v_add_co_u32 v15, vcc_lo, v15, s20
	s_wait_alu 0xfffd
	v_add_co_ci_u32_e64 v16, null, s21, v16, vcc_lo
	s_and_b32 vcc_lo, exec_lo, s3
	s_wait_loadcnt 0xe
	v_mul_f32_e32 v23, v28, v29
	s_wait_dscnt 0x3
	s_delay_alu instid0(VALU_DEP_1)
	v_fmac_f32_e32 v8, v23, v20
	s_wait_loadcnt 0xc
	v_mul_f32_e32 v20, v30, v31
	ds_bpermute_b32 v23, v12, v17
	s_wait_dscnt 0x3
	v_fmac_f32_e32 v8, v20, v21
	ds_bpermute_b32 v21, v13, v17
	s_wait_loadcnt 0xa
	v_mul_f32_e32 v20, v32, v33
	s_wait_dscnt 0x3
	s_delay_alu instid0(VALU_DEP_1)
	v_fmac_f32_e32 v8, v20, v22
	s_wait_loadcnt 0x8
	v_mul_f32_e32 v20, v34, v35
	ds_bpermute_b32 v22, v14, v17
	ds_bpermute_b32 v17, v2, v17
	s_wait_dscnt 0x4
	v_fmac_f32_e32 v8, v20, v24
	s_wait_loadcnt 0x6
	v_mul_f32_e32 v20, v36, v37
	s_wait_dscnt 0x3
	s_delay_alu instid0(VALU_DEP_1) | instskip(SKIP_3) | instid1(VALU_DEP_1)
	v_fmac_f32_e32 v8, v20, v23
	s_wait_loadcnt 0x4
	v_mul_f32_e32 v20, v26, v27
	s_wait_dscnt 0x2
	v_fmac_f32_e32 v8, v20, v21
	s_wait_loadcnt 0x2
	v_mul_f32_e32 v20, v38, v39
	s_wait_dscnt 0x1
	s_delay_alu instid0(VALU_DEP_1) | instskip(SKIP_3) | instid1(VALU_DEP_1)
	v_fmac_f32_e32 v8, v20, v22
	s_wait_loadcnt 0x0
	v_mul_f32_e32 v18, v18, v19
	s_wait_dscnt 0x0
	v_fmac_f32_e32 v8, v18, v17
	s_wait_alu 0xfffe
	s_cbranch_vccz .LBB154_7
.LBB154_4:                              ; =>This Inner Loop Header: Depth=1
	v_mov_b32_e32 v17, 0
	s_and_saveexec_b32 s3, s2
	s_cbranch_execz .LBB154_3
; %bb.5:                                ;   in Loop: Header=BB154_4 Depth=1
	v_mov_b32_e32 v17, 0
	s_mov_b32 s24, exec_lo
	v_cmpx_gt_i64_e64 s[4:5], v[4:5]
	s_cbranch_execz .LBB154_2
; %bb.6:                                ;   in Loop: Header=BB154_4 Depth=1
	global_load_b32 v17, v[6:7], off
	s_branch .LBB154_2
.LBB154_7:
	s_cmp_eq_u64 s[12:13], 0
	s_cbranch_scc1 .LBB154_9
; %bb.8:
	s_load_u16 s0, s[0:1], 0x4e
	v_mov_b32_e32 v2, 0
	s_mov_b32 s2, ttmp9
	s_mov_b32 s3, 0
	v_lshlrev_b32_e32 v0, 2, v0
	s_wait_kmcnt 0x0
	v_mad_co_u64_u32 v[1:2], null, s0, ttmp7, v[1:2]
	s_wait_alu 0xfffe
	s_lshl_b64 s[0:1], s[2:3], 7
	s_delay_alu instid0(VALU_DEP_1) | instskip(NEXT) | instid1(VALU_DEP_2)
	v_mul_lo_u32 v3, v2, s6
	v_mul_lo_u32 v4, v1, s7
	v_mad_co_u64_u32 v[1:2], null, v1, s6, 0
	s_delay_alu instid0(VALU_DEP_1) | instskip(NEXT) | instid1(VALU_DEP_1)
	v_add3_u32 v2, v2, v4, v3
	v_lshlrev_b64_e32 v[1:2], 2, v[1:2]
	s_delay_alu instid0(VALU_DEP_1) | instskip(SKIP_1) | instid1(VALU_DEP_2)
	v_add_co_u32 v1, vcc_lo, s12, v1
	s_wait_alu 0xfffd
	v_add_co_ci_u32_e64 v2, null, s13, v2, vcc_lo
	s_wait_alu 0xfffe
	s_delay_alu instid0(VALU_DEP_2) | instskip(SKIP_1) | instid1(VALU_DEP_2)
	v_add_co_u32 v1, vcc_lo, v1, s0
	s_wait_alu 0xfffd
	v_add_co_ci_u32_e64 v2, null, s1, v2, vcc_lo
	s_delay_alu instid0(VALU_DEP_2) | instskip(SKIP_1) | instid1(VALU_DEP_2)
	v_add_co_u32 v0, vcc_lo, v1, v0
	s_wait_alu 0xfffd
	v_add_co_ci_u32_e64 v1, null, 0, v2, vcc_lo
	global_store_b32 v[0:1], v8, off
.LBB154_9:
	s_endpgm
	.section	.rodata,"a",@progbits
	.p2align	6, 0x0
	.amdhsa_kernel _ZN2at6native12_GLOBAL__N_135GammaBetaBackwardCUDAKernelTemplateIffLj32ELj1ELj8ELb1ELb1ELb1EEEvllPKT_S5_PKT0_S8_PS3_S9_
		.amdhsa_group_segment_fixed_size 0
		.amdhsa_private_segment_fixed_size 0
		.amdhsa_kernarg_size 320
		.amdhsa_user_sgpr_count 2
		.amdhsa_user_sgpr_dispatch_ptr 0
		.amdhsa_user_sgpr_queue_ptr 0
		.amdhsa_user_sgpr_kernarg_segment_ptr 1
		.amdhsa_user_sgpr_dispatch_id 0
		.amdhsa_user_sgpr_private_segment_size 0
		.amdhsa_wavefront_size32 1
		.amdhsa_uses_dynamic_stack 0
		.amdhsa_enable_private_segment 0
		.amdhsa_system_sgpr_workgroup_id_x 1
		.amdhsa_system_sgpr_workgroup_id_y 1
		.amdhsa_system_sgpr_workgroup_id_z 0
		.amdhsa_system_sgpr_workgroup_info 0
		.amdhsa_system_vgpr_workitem_id 1
		.amdhsa_next_free_vgpr 40
		.amdhsa_next_free_sgpr 25
		.amdhsa_reserve_vcc 1
		.amdhsa_float_round_mode_32 0
		.amdhsa_float_round_mode_16_64 0
		.amdhsa_float_denorm_mode_32 3
		.amdhsa_float_denorm_mode_16_64 3
		.amdhsa_fp16_overflow 0
		.amdhsa_workgroup_processor_mode 1
		.amdhsa_memory_ordered 1
		.amdhsa_forward_progress 1
		.amdhsa_inst_pref_size 12
		.amdhsa_round_robin_scheduling 0
		.amdhsa_exception_fp_ieee_invalid_op 0
		.amdhsa_exception_fp_denorm_src 0
		.amdhsa_exception_fp_ieee_div_zero 0
		.amdhsa_exception_fp_ieee_overflow 0
		.amdhsa_exception_fp_ieee_underflow 0
		.amdhsa_exception_fp_ieee_inexact 0
		.amdhsa_exception_int_div_zero 0
	.end_amdhsa_kernel
	.section	.text._ZN2at6native12_GLOBAL__N_135GammaBetaBackwardCUDAKernelTemplateIffLj32ELj1ELj8ELb1ELb1ELb1EEEvllPKT_S5_PKT0_S8_PS3_S9_,"axG",@progbits,_ZN2at6native12_GLOBAL__N_135GammaBetaBackwardCUDAKernelTemplateIffLj32ELj1ELj8ELb1ELb1ELb1EEEvllPKT_S5_PKT0_S8_PS3_S9_,comdat
.Lfunc_end154:
	.size	_ZN2at6native12_GLOBAL__N_135GammaBetaBackwardCUDAKernelTemplateIffLj32ELj1ELj8ELb1ELb1ELb1EEEvllPKT_S5_PKT0_S8_PS3_S9_, .Lfunc_end154-_ZN2at6native12_GLOBAL__N_135GammaBetaBackwardCUDAKernelTemplateIffLj32ELj1ELj8ELb1ELb1ELb1EEEvllPKT_S5_PKT0_S8_PS3_S9_
                                        ; -- End function
	.set _ZN2at6native12_GLOBAL__N_135GammaBetaBackwardCUDAKernelTemplateIffLj32ELj1ELj8ELb1ELb1ELb1EEEvllPKT_S5_PKT0_S8_PS3_S9_.num_vgpr, 40
	.set _ZN2at6native12_GLOBAL__N_135GammaBetaBackwardCUDAKernelTemplateIffLj32ELj1ELj8ELb1ELb1ELb1EEEvllPKT_S5_PKT0_S8_PS3_S9_.num_agpr, 0
	.set _ZN2at6native12_GLOBAL__N_135GammaBetaBackwardCUDAKernelTemplateIffLj32ELj1ELj8ELb1ELb1ELb1EEEvllPKT_S5_PKT0_S8_PS3_S9_.numbered_sgpr, 25
	.set _ZN2at6native12_GLOBAL__N_135GammaBetaBackwardCUDAKernelTemplateIffLj32ELj1ELj8ELb1ELb1ELb1EEEvllPKT_S5_PKT0_S8_PS3_S9_.num_named_barrier, 0
	.set _ZN2at6native12_GLOBAL__N_135GammaBetaBackwardCUDAKernelTemplateIffLj32ELj1ELj8ELb1ELb1ELb1EEEvllPKT_S5_PKT0_S8_PS3_S9_.private_seg_size, 0
	.set _ZN2at6native12_GLOBAL__N_135GammaBetaBackwardCUDAKernelTemplateIffLj32ELj1ELj8ELb1ELb1ELb1EEEvllPKT_S5_PKT0_S8_PS3_S9_.uses_vcc, 1
	.set _ZN2at6native12_GLOBAL__N_135GammaBetaBackwardCUDAKernelTemplateIffLj32ELj1ELj8ELb1ELb1ELb1EEEvllPKT_S5_PKT0_S8_PS3_S9_.uses_flat_scratch, 0
	.set _ZN2at6native12_GLOBAL__N_135GammaBetaBackwardCUDAKernelTemplateIffLj32ELj1ELj8ELb1ELb1ELb1EEEvllPKT_S5_PKT0_S8_PS3_S9_.has_dyn_sized_stack, 0
	.set _ZN2at6native12_GLOBAL__N_135GammaBetaBackwardCUDAKernelTemplateIffLj32ELj1ELj8ELb1ELb1ELb1EEEvllPKT_S5_PKT0_S8_PS3_S9_.has_recursion, 0
	.set _ZN2at6native12_GLOBAL__N_135GammaBetaBackwardCUDAKernelTemplateIffLj32ELj1ELj8ELb1ELb1ELb1EEEvllPKT_S5_PKT0_S8_PS3_S9_.has_indirect_call, 0
	.section	.AMDGPU.csdata,"",@progbits
; Kernel info:
; codeLenInByte = 1412
; TotalNumSgprs: 27
; NumVgprs: 40
; ScratchSize: 0
; MemoryBound: 0
; FloatMode: 240
; IeeeMode: 1
; LDSByteSize: 0 bytes/workgroup (compile time only)
; SGPRBlocks: 0
; VGPRBlocks: 4
; NumSGPRsForWavesPerEU: 27
; NumVGPRsForWavesPerEU: 40
; Occupancy: 16
; WaveLimiterHint : 0
; COMPUTE_PGM_RSRC2:SCRATCH_EN: 0
; COMPUTE_PGM_RSRC2:USER_SGPR: 2
; COMPUTE_PGM_RSRC2:TRAP_HANDLER: 0
; COMPUTE_PGM_RSRC2:TGID_X_EN: 1
; COMPUTE_PGM_RSRC2:TGID_Y_EN: 1
; COMPUTE_PGM_RSRC2:TGID_Z_EN: 0
; COMPUTE_PGM_RSRC2:TIDIG_COMP_CNT: 1
	.section	.text._ZN2at6native12_GLOBAL__N_135GammaBetaBackwardCUDAKernelTemplateIffLj32ELj1ELj8ELb1ELb0ELb1EEEvllPKT_S5_PKT0_S8_PS3_S9_,"axG",@progbits,_ZN2at6native12_GLOBAL__N_135GammaBetaBackwardCUDAKernelTemplateIffLj32ELj1ELj8ELb1ELb0ELb1EEEvllPKT_S5_PKT0_S8_PS3_S9_,comdat
	.globl	_ZN2at6native12_GLOBAL__N_135GammaBetaBackwardCUDAKernelTemplateIffLj32ELj1ELj8ELb1ELb0ELb1EEEvllPKT_S5_PKT0_S8_PS3_S9_ ; -- Begin function _ZN2at6native12_GLOBAL__N_135GammaBetaBackwardCUDAKernelTemplateIffLj32ELj1ELj8ELb1ELb0ELb1EEEvllPKT_S5_PKT0_S8_PS3_S9_
	.p2align	8
	.type	_ZN2at6native12_GLOBAL__N_135GammaBetaBackwardCUDAKernelTemplateIffLj32ELj1ELj8ELb1ELb0ELb1EEEvllPKT_S5_PKT0_S8_PS3_S9_,@function
_ZN2at6native12_GLOBAL__N_135GammaBetaBackwardCUDAKernelTemplateIffLj32ELj1ELj8ELb1ELb0ELb1EEEvllPKT_S5_PKT0_S8_PS3_S9_: ; @_ZN2at6native12_GLOBAL__N_135GammaBetaBackwardCUDAKernelTemplateIffLj32ELj1ELj8ELb1ELb0ELb1EEEvllPKT_S5_PKT0_S8_PS3_S9_
; %bb.0:
	s_clause 0x1
	s_load_b256 s[4:11], s[0:1], 0x0
	s_load_b64 s[12:13], s[0:1], 0x28
	s_lshl_b32 s28, ttmp9, 5
	s_mov_b32 s15, 0
	s_or_b32 s14, s28, 31
	s_wait_kmcnt 0x0
	v_cmp_le_i64_e64 s2, s[6:7], s[14:15]
	s_lshl_b32 s14, ttmp7, 3
	s_wait_alu 0xfffe
	v_cmp_gt_i64_e64 s29, s[4:5], s[14:15]
	s_and_b32 vcc_lo, exec_lo, s2
	v_cndmask_b32_e64 v1, 0, 1, s29
	s_delay_alu instid0(VALU_DEP_1)
	v_cmp_ne_u32_e64 s2, 1, v1
	s_cbranch_vccz .LBB155_49
; %bb.1:
	v_mov_b32_e32 v87, 0
	s_and_b32 vcc_lo, exec_lo, s2
	s_cbranch_vccnz .LBB155_50
; %bb.2:
	v_bfe_u32 v22, v0, 10, 10
	v_dual_mov_b32 v1, 0 :: v_dual_and_b32 v24, 0x3ff, v0
	s_load_b32 s3, s[0:1], 0x44
	s_mov_b32 s17, 0
	s_delay_alu instid0(VALU_DEP_2) | instskip(NEXT) | instid1(VALU_DEP_2)
	v_dual_mov_b32 v58, 0 :: v_dual_lshlrev_b32 v23, 3, v22
	v_dual_mov_b32 v5, v1 :: v_dual_add_nc_u32 v4, s28, v24
	s_mov_b32 s21, s17
	s_delay_alu instid0(VALU_DEP_2) | instskip(NEXT) | instid1(VALU_DEP_1)
	v_add_co_u32 v10, s2, v23, s14
	v_add_co_ci_u32_e64 v11, null, 0, 0, s2
	s_delay_alu instid0(VALU_DEP_3) | instskip(NEXT) | instid1(VALU_DEP_3)
	v_cmp_gt_i64_e64 s2, s[6:7], v[4:5]
	v_mul_lo_u32 v6, s7, v10
	v_mad_co_u64_u32 v[2:3], null, s6, v10, 0
	s_delay_alu instid0(VALU_DEP_4)
	v_mul_lo_u32 v7, s6, v11
	v_lshlrev_b64_e32 v[18:19], 2, v[4:5]
	v_mov_b32_e32 v25, v1
	s_add_nc_u64 s[18:19], s[0:1], 64
	s_mov_b64 s[24:25], 7
	s_wait_kmcnt 0x0
	s_lshl_b32 s20, s3, 3
	s_mov_b64 s[26:27], s[14:15]
	s_mul_u64 s[22:23], s[6:7], s[20:21]
	v_add3_u32 v3, v3, v7, v6
	v_add_co_u32 v6, vcc_lo, v10, 7
	s_delay_alu instid0(VALU_DEP_1)
	v_add_co_ci_u32_e64 v7, null, 0, v11, vcc_lo
	v_add_co_u32 v8, vcc_lo, v10, 6
	s_wait_alu 0xfffd
	v_add_co_ci_u32_e64 v9, null, 0, v11, vcc_lo
	v_lshlrev_b64_e32 v[4:5], 2, v[2:3]
	v_mul_lo_u32 v12, s7, v6
	v_mul_lo_u32 v13, s6, v7
	v_mad_co_u64_u32 v[6:7], null, s6, v6, 0
	v_mul_lo_u32 v14, s7, v8
	v_mul_lo_u32 v15, s6, v9
	v_mad_co_u64_u32 v[8:9], null, s6, v8, 0
	v_add_co_u32 v26, vcc_lo, s8, v4
	s_wait_alu 0xfffd
	v_add_co_ci_u32_e64 v27, null, s9, v5, vcc_lo
	v_add_co_u32 v28, vcc_lo, s10, v4
	v_add3_u32 v7, v7, v13, v12
	s_wait_alu 0xfffd
	v_add_co_ci_u32_e64 v29, null, s11, v5, vcc_lo
	v_add_co_u32 v12, vcc_lo, v10, 5
	v_add3_u32 v9, v9, v15, v14
	s_wait_alu 0xfffd
	v_add_co_ci_u32_e64 v13, null, 0, v11, vcc_lo
	v_lshlrev_b64_e32 v[4:5], 2, v[6:7]
	v_mul_lo_u32 v14, s7, v12
	v_lshlrev_b64_e32 v[6:7], 2, v[8:9]
	s_delay_alu instid0(VALU_DEP_4)
	v_mul_lo_u32 v13, s6, v13
	v_mad_co_u64_u32 v[8:9], null, s6, v12, 0
	v_add_co_u32 v30, vcc_lo, s8, v4
	s_wait_alu 0xfffd
	v_add_co_ci_u32_e64 v31, null, s9, v5, vcc_lo
	v_add_co_u32 v32, vcc_lo, s10, v4
	s_wait_alu 0xfffd
	v_add_co_ci_u32_e64 v33, null, s11, v5, vcc_lo
	v_add_co_u32 v34, vcc_lo, s8, v6
	v_add3_u32 v9, v9, v13, v14
	s_wait_alu 0xfffd
	v_add_co_ci_u32_e64 v35, null, s9, v7, vcc_lo
	v_add_co_u32 v12, vcc_lo, v10, 4
	v_add_co_u32 v36, s3, s10, v6
	s_wait_alu 0xfffd
	v_add_co_ci_u32_e64 v6, null, 0, v11, vcc_lo
	v_lshlrev_b64_e32 v[4:5], 2, v[8:9]
	v_add_co_u32 v8, vcc_lo, v10, 3
	s_wait_alu 0xfffd
	v_add_co_ci_u32_e64 v9, null, 0, v11, vcc_lo
	s_wait_alu 0xf1ff
	v_add_co_ci_u32_e64 v37, null, s11, v7, s3
	v_mul_lo_u32 v13, s7, v12
	v_mul_lo_u32 v14, s6, v6
	v_mad_co_u64_u32 v[6:7], null, s6, v12, 0
	v_mul_lo_u32 v12, s7, v8
	v_mul_lo_u32 v15, s6, v9
	v_mad_co_u64_u32 v[8:9], null, s6, v8, 0
	v_add_co_u32 v38, vcc_lo, s8, v4
	s_wait_alu 0xfffd
	v_add_co_ci_u32_e64 v39, null, s9, v5, vcc_lo
	v_add3_u32 v7, v7, v14, v13
	v_add_co_u32 v40, vcc_lo, s10, v4
	s_wait_alu 0xfffd
	v_add_co_ci_u32_e64 v41, null, s11, v5, vcc_lo
	v_add_co_u32 v10, vcc_lo, v10, 2
	v_add3_u32 v9, v9, v15, v12
	s_wait_alu 0xfffd
	v_add_co_ci_u32_e64 v11, null, 0, v11, vcc_lo
	v_lshlrev_b64_e32 v[4:5], 2, v[6:7]
	v_mul_lo_u32 v12, s7, v10
	v_lshlrev_b64_e32 v[6:7], 2, v[8:9]
	s_delay_alu instid0(VALU_DEP_4)
	v_mul_lo_u32 v11, s6, v11
	v_mad_co_u64_u32 v[8:9], null, s6, v10, 0
	v_add_co_u32 v42, vcc_lo, s8, v4
	s_wait_alu 0xfffd
	v_add_co_ci_u32_e64 v43, null, s9, v5, vcc_lo
	v_add_co_u32 v44, vcc_lo, s10, v4
	s_wait_alu 0xfffd
	v_add_co_ci_u32_e64 v45, null, s11, v5, vcc_lo
	;; [unrolled: 3-line block ×3, first 2 shown]
	v_add3_u32 v9, v9, v11, v12
	v_add_co_u32 v48, vcc_lo, s10, v6
	s_wait_alu 0xfffd
	v_add_co_ci_u32_e64 v49, null, s11, v7, vcc_lo
	v_add_co_u32 v2, vcc_lo, v2, s6
	s_wait_alu 0xfffd
	v_add_co_ci_u32_e64 v3, null, s7, v3, vcc_lo
	v_lshlrev_b64_e32 v[4:5], 2, v[8:9]
	s_lshl_b64 s[22:23], s[22:23], 2
	s_delay_alu instid0(VALU_DEP_2) | instskip(NEXT) | instid1(VALU_DEP_2)
	v_lshlrev_b64_e32 v[2:3], 2, v[2:3]
	v_add_co_u32 v50, vcc_lo, s8, v4
	s_wait_alu 0xfffd
	s_delay_alu instid0(VALU_DEP_3)
	v_add_co_ci_u32_e64 v51, null, s9, v5, vcc_lo
	v_add_co_u32 v52, vcc_lo, s10, v4
	s_wait_alu 0xfffd
	v_add_co_ci_u32_e64 v53, null, s11, v5, vcc_lo
	v_add_co_u32 v54, vcc_lo, s8, v2
	s_wait_alu 0xfffd
	v_add_co_ci_u32_e64 v55, null, s9, v3, vcc_lo
	v_add_co_u32 v56, vcc_lo, s10, v2
	s_wait_alu 0xfffd
	v_add_co_ci_u32_e64 v57, null, s11, v3, vcc_lo
.LBB155_3:                              ; =>This Inner Loop Header: Depth=1
	s_add_nc_u64 s[30:31], s[14:15], s[24:25]
	v_add_co_u32 v20, vcc_lo, s14, v23
	s_wait_alu 0xfffe
	v_cmp_ge_i64_e64 s3, s[30:31], s[4:5]
	s_wait_alu 0xfffd
	v_add_co_ci_u32_e64 v21, null, 0, v25, vcc_lo
                                        ; implicit-def: $vgpr2_vgpr3_vgpr4_vgpr5_vgpr6_vgpr7_vgpr8_vgpr9
                                        ; implicit-def: $vgpr87
                                        ; implicit-def: $vgpr10_vgpr11_vgpr12_vgpr13_vgpr14_vgpr15_vgpr16_vgpr17
                                        ; implicit-def: $vgpr2
	s_and_b32 vcc_lo, exec_lo, s3
	s_mov_b32 s3, -1
	s_wait_alu 0xfffe
	s_cbranch_vccz .LBB155_25
; %bb.4:                                ;   in Loop: Header=BB155_3 Depth=1
	s_load_b32 s3, s[18:19], 0xc
	v_mov_b32_e32 v59, 0
	s_wait_kmcnt 0x0
	s_and_b32 s3, s3, 0xffff
	s_wait_alu 0xfffe
	v_mad_u32_u24 v2, v22, s3, v24
	s_mov_b32 s3, exec_lo
	s_delay_alu instid0(VALU_DEP_1) | instskip(NEXT) | instid1(VALU_DEP_1)
	v_and_b32_e32 v2, 31, v2
	v_cmpx_gt_u32_e32 8, v2
	s_cbranch_execz .LBB155_8
; %bb.5:                                ;   in Loop: Header=BB155_3 Depth=1
	v_add_co_u32 v2, vcc_lo, v20, v2
	s_wait_alu 0xfffd
	v_add_co_ci_u32_e64 v3, null, 0, v21, vcc_lo
	v_mov_b32_e32 v59, 0
	s_mov_b32 s16, exec_lo
	s_delay_alu instid0(VALU_DEP_2)
	v_cmpx_gt_i64_e64 s[4:5], v[2:3]
	s_cbranch_execz .LBB155_7
; %bb.6:                                ;   in Loop: Header=BB155_3 Depth=1
	v_lshlrev_b64_e32 v[2:3], 2, v[2:3]
	s_delay_alu instid0(VALU_DEP_1) | instskip(SKIP_1) | instid1(VALU_DEP_2)
	v_add_co_u32 v2, vcc_lo, s12, v2
	s_wait_alu 0xfffd
	v_add_co_ci_u32_e64 v3, null, s13, v3, vcc_lo
	global_load_b32 v59, v[2:3], off
.LBB155_7:                              ;   in Loop: Header=BB155_3 Depth=1
	s_or_b32 exec_lo, exec_lo, s16
.LBB155_8:                              ;   in Loop: Header=BB155_3 Depth=1
	s_wait_alu 0xfffe
	s_or_b32 exec_lo, exec_lo, s3
	v_mov_b32_e32 v8, v1
	v_dual_mov_b32 v2, v1 :: v_dual_mov_b32 v3, v1
	v_dual_mov_b32 v4, v1 :: v_dual_mov_b32 v5, v1
	;; [unrolled: 1-line block ×3, first 2 shown]
	v_cmp_gt_i64_e32 vcc_lo, s[4:5], v[20:21]
	s_delay_alu instid0(VALU_DEP_3) | instskip(NEXT) | instid1(VALU_DEP_3)
	v_dual_mov_b32 v17, v8 :: v_dual_mov_b32 v14, v5
	v_dual_mov_b32 v15, v6 :: v_dual_mov_b32 v16, v7
	;; [unrolled: 1-line block ×4, first 2 shown]
	v_mov_b32_e32 v9, v8
	v_mov_b32_e32 v8, v7
	;; [unrolled: 1-line block ×8, first 2 shown]
	s_and_b32 s16, s2, vcc_lo
	s_delay_alu instid0(SALU_CYCLE_1)
	s_and_saveexec_b32 s3, s16
	s_cbranch_execz .LBB155_10
; %bb.9:                                ;   in Loop: Header=BB155_3 Depth=1
	v_add_co_u32 v2, vcc_lo, v26, v18
	s_wait_alu 0xfffd
	v_add_co_ci_u32_e64 v3, null, v27, v19, vcc_lo
	v_add_co_u32 v4, vcc_lo, v28, v18
	s_wait_alu 0xfffd
	v_add_co_ci_u32_e64 v5, null, v29, v19, vcc_lo
	global_load_b32 v2, v[2:3], off
	global_load_b32 v10, v[4:5], off
	v_dual_mov_b32 v3, v1 :: v_dual_mov_b32 v4, v1
	v_dual_mov_b32 v5, v1 :: v_dual_mov_b32 v6, v1
	;; [unrolled: 1-line block ×6, first 2 shown]
	v_mov_b32_e32 v15, v1
	v_mov_b32_e32 v17, v1
.LBB155_10:                             ;   in Loop: Header=BB155_3 Depth=1
	s_wait_alu 0xfffe
	s_or_b32 exec_lo, exec_lo, s3
	v_add_co_u32 v60, vcc_lo, v20, 1
	s_wait_alu 0xfffd
	v_add_co_ci_u32_e64 v61, null, 0, v21, vcc_lo
	s_delay_alu instid0(VALU_DEP_1) | instskip(SKIP_1) | instid1(SALU_CYCLE_1)
	v_cmp_gt_i64_e32 vcc_lo, s[4:5], v[60:61]
	s_and_b32 s16, s2, vcc_lo
	s_and_saveexec_b32 s3, s16
	s_cbranch_execz .LBB155_12
; %bb.11:                               ;   in Loop: Header=BB155_3 Depth=1
	v_add_co_u32 v60, vcc_lo, v54, v18
	s_wait_alu 0xfffd
	v_add_co_ci_u32_e64 v61, null, v55, v19, vcc_lo
	v_add_co_u32 v62, vcc_lo, v56, v18
	s_wait_alu 0xfffd
	v_add_co_ci_u32_e64 v63, null, v57, v19, vcc_lo
	global_load_b32 v3, v[60:61], off
	global_load_b32 v11, v[62:63], off
.LBB155_12:                             ;   in Loop: Header=BB155_3 Depth=1
	s_wait_alu 0xfffe
	s_or_b32 exec_lo, exec_lo, s3
	v_add_co_u32 v60, vcc_lo, v20, 2
	s_wait_alu 0xfffd
	v_add_co_ci_u32_e64 v61, null, 0, v21, vcc_lo
	s_delay_alu instid0(VALU_DEP_1) | instskip(SKIP_1) | instid1(SALU_CYCLE_1)
	v_cmp_gt_i64_e32 vcc_lo, s[4:5], v[60:61]
	s_and_b32 s16, s2, vcc_lo
	s_and_saveexec_b32 s3, s16
	s_cbranch_execz .LBB155_14
; %bb.13:                               ;   in Loop: Header=BB155_3 Depth=1
	v_add_co_u32 v60, vcc_lo, v50, v18
	s_wait_alu 0xfffd
	v_add_co_ci_u32_e64 v61, null, v51, v19, vcc_lo
	v_add_co_u32 v62, vcc_lo, v52, v18
	s_wait_alu 0xfffd
	v_add_co_ci_u32_e64 v63, null, v53, v19, vcc_lo
	global_load_b32 v4, v[60:61], off
	global_load_b32 v12, v[62:63], off
.LBB155_14:                             ;   in Loop: Header=BB155_3 Depth=1
	;; [unrolled: 20-line block ×7, first 2 shown]
	s_wait_alu 0xfffe
	s_or_b32 exec_lo, exec_lo, s3
	s_wait_loadcnt 0x0
	ds_bpermute_b32 v60, v1, v59
	ds_bpermute_b32 v61, v1, v59 offset:4
	ds_bpermute_b32 v62, v1, v59 offset:8
	v_dual_mul_f32 v2, v10, v2 :: v_dual_mul_f32 v3, v11, v3
	ds_bpermute_b32 v10, v1, v59 offset:12
	ds_bpermute_b32 v11, v1, v59 offset:16
	s_mov_b32 s3, 0
	v_mul_f32_e32 v6, v14, v6
	s_wait_dscnt 0x4
	v_fma_f32 v87, v2, v60, v58
	v_mul_f32_e32 v2, v12, v4
	ds_bpermute_b32 v4, v1, v59 offset:20
	s_wait_dscnt 0x4
	v_fmac_f32_e32 v87, v3, v61
	v_mul_f32_e32 v3, v13, v5
	ds_bpermute_b32 v5, v1, v59 offset:24
	s_wait_dscnt 0x4
	v_fmac_f32_e32 v87, v2, v62
	ds_bpermute_b32 v2, v1, v59 offset:28
	s_wait_dscnt 0x4
	v_fmac_f32_e32 v87, v3, v10
	v_mul_f32_e32 v3, v15, v7
	s_wait_dscnt 0x3
	s_delay_alu instid0(VALU_DEP_2) | instskip(SKIP_1) | instid1(VALU_DEP_1)
	v_fmac_f32_e32 v87, v6, v11
	s_wait_dscnt 0x2
	v_fmac_f32_e32 v87, v3, v4
	v_mul_f32_e32 v3, v16, v8
	s_wait_dscnt 0x1
	s_delay_alu instid0(VALU_DEP_1)
	v_fmac_f32_e32 v87, v3, v5
.LBB155_25:                             ;   in Loop: Header=BB155_3 Depth=1
	s_wait_alu 0xfffe
	s_and_b32 vcc_lo, exec_lo, s3
	s_wait_alu 0xfffe
	s_cbranch_vccz .LBB155_40
; %bb.26:                               ;   in Loop: Header=BB155_3 Depth=1
	s_load_b32 s3, s[18:19], 0x0
	v_mov_b32_e32 v59, 0
	s_wait_kmcnt 0x0
	s_cmp_lt_u32 ttmp9, s3
	s_cselect_b32 s16, 12, 18
	s_delay_alu instid0(SALU_CYCLE_1)
	s_add_nc_u64 s[30:31], s[18:19], s[16:17]
	s_load_u16 s3, s[30:31], 0x0
	s_wait_dscnt 0x0
	s_wait_kmcnt 0x0
	v_mad_u32_u24 v2, v22, s3, v24
	s_mov_b32 s3, exec_lo
	s_delay_alu instid0(VALU_DEP_1) | instskip(NEXT) | instid1(VALU_DEP_1)
	v_and_b32_e32 v2, 31, v2
	v_cmpx_gt_u32_e32 8, v2
	s_cbranch_execz .LBB155_30
; %bb.27:                               ;   in Loop: Header=BB155_3 Depth=1
	v_add_co_u32 v2, vcc_lo, v20, v2
	s_wait_alu 0xfffd
	v_add_co_ci_u32_e64 v3, null, 0, v21, vcc_lo
	v_mov_b32_e32 v59, 0
	s_mov_b32 s16, exec_lo
	s_delay_alu instid0(VALU_DEP_2)
	v_cmpx_gt_i64_e64 s[4:5], v[2:3]
	s_cbranch_execz .LBB155_29
; %bb.28:                               ;   in Loop: Header=BB155_3 Depth=1
	v_lshlrev_b64_e32 v[2:3], 2, v[2:3]
	s_delay_alu instid0(VALU_DEP_1) | instskip(SKIP_1) | instid1(VALU_DEP_2)
	v_add_co_u32 v2, vcc_lo, s12, v2
	s_wait_alu 0xfffd
	v_add_co_ci_u32_e64 v3, null, s13, v3, vcc_lo
	global_load_b32 v59, v[2:3], off
.LBB155_29:                             ;   in Loop: Header=BB155_3 Depth=1
	s_or_b32 exec_lo, exec_lo, s16
.LBB155_30:                             ;   in Loop: Header=BB155_3 Depth=1
	s_wait_alu 0xfffe
	s_or_b32 exec_lo, exec_lo, s3
	v_mov_b32_e32 v8, v1
	v_dual_mov_b32 v2, v1 :: v_dual_mov_b32 v3, v1
	v_dual_mov_b32 v4, v1 :: v_dual_mov_b32 v5, v1
	v_dual_mov_b32 v6, v1 :: v_dual_mov_b32 v7, v1
	s_delay_alu instid0(VALU_DEP_4) | instskip(NEXT) | instid1(VALU_DEP_3)
	v_mov_b32_e32 v17, v8
	v_dual_mov_b32 v13, v4 :: v_dual_mov_b32 v12, v3
	s_delay_alu instid0(VALU_DEP_3) | instskip(NEXT) | instid1(VALU_DEP_4)
	v_dual_mov_b32 v15, v6 :: v_dual_mov_b32 v14, v5
	v_dual_mov_b32 v16, v7 :: v_dual_mov_b32 v11, v2
	;; [unrolled: 1-line block ×3, first 2 shown]
	v_mov_b32_e32 v8, v7
	v_mov_b32_e32 v7, v6
	;; [unrolled: 1-line block ×7, first 2 shown]
	s_and_saveexec_b32 s3, s2
	s_cbranch_execnz .LBB155_42
; %bb.31:                               ;   in Loop: Header=BB155_3 Depth=1
	s_wait_alu 0xfffe
	s_or_b32 exec_lo, exec_lo, s3
	s_and_saveexec_b32 s3, s2
	s_cbranch_execnz .LBB155_43
.LBB155_32:                             ;   in Loop: Header=BB155_3 Depth=1
	s_wait_alu 0xfffe
	s_or_b32 exec_lo, exec_lo, s3
	s_and_saveexec_b32 s3, s2
	s_cbranch_execnz .LBB155_44
.LBB155_33:                             ;   in Loop: Header=BB155_3 Depth=1
	s_wait_alu 0xfffe
	s_or_b32 exec_lo, exec_lo, s3
	s_and_saveexec_b32 s3, s2
	s_cbranch_execnz .LBB155_45
.LBB155_34:                             ;   in Loop: Header=BB155_3 Depth=1
	s_wait_alu 0xfffe
	s_or_b32 exec_lo, exec_lo, s3
	s_and_saveexec_b32 s3, s2
	s_cbranch_execnz .LBB155_46
.LBB155_35:                             ;   in Loop: Header=BB155_3 Depth=1
	s_wait_alu 0xfffe
	s_or_b32 exec_lo, exec_lo, s3
	s_and_saveexec_b32 s3, s2
	s_cbranch_execnz .LBB155_47
.LBB155_36:                             ;   in Loop: Header=BB155_3 Depth=1
	s_wait_alu 0xfffe
	s_or_b32 exec_lo, exec_lo, s3
	s_and_saveexec_b32 s3, s2
	s_cbranch_execnz .LBB155_48
.LBB155_37:                             ;   in Loop: Header=BB155_3 Depth=1
	s_wait_alu 0xfffe
	s_or_b32 exec_lo, exec_lo, s3
	s_and_saveexec_b32 s3, s2
	s_cbranch_execz .LBB155_39
.LBB155_38:                             ;   in Loop: Header=BB155_3 Depth=1
	v_add_co_u32 v20, vcc_lo, v30, v18
	s_wait_alu 0xfffd
	v_add_co_ci_u32_e64 v21, null, v31, v19, vcc_lo
	v_add_co_u32 v60, vcc_lo, v32, v18
	s_wait_alu 0xfffd
	v_add_co_ci_u32_e64 v61, null, v33, v19, vcc_lo
	global_load_b32 v9, v[20:21], off
	global_load_b32 v17, v[60:61], off
.LBB155_39:                             ;   in Loop: Header=BB155_3 Depth=1
	s_wait_alu 0xfffe
	s_or_b32 exec_lo, exec_lo, s3
	s_wait_loadcnt 0x0
	ds_bpermute_b32 v20, v1, v59
	ds_bpermute_b32 v21, v1, v59 offset:4
	ds_bpermute_b32 v60, v1, v59 offset:8
	v_dual_mul_f32 v2, v10, v2 :: v_dual_mul_f32 v3, v11, v3
	ds_bpermute_b32 v10, v1, v59 offset:12
	ds_bpermute_b32 v11, v1, v59 offset:16
	s_wait_dscnt 0x4
	v_fmac_f32_e32 v58, v2, v20
	v_mul_f32_e32 v2, v12, v4
	ds_bpermute_b32 v4, v1, v59 offset:20
	s_wait_dscnt 0x4
	v_fmac_f32_e32 v58, v3, v21
	v_mul_f32_e32 v3, v13, v5
	;; [unrolled: 4-line block ×3, first 2 shown]
	s_wait_dscnt 0x3
	s_delay_alu instid0(VALU_DEP_2) | instskip(SKIP_2) | instid1(VALU_DEP_2)
	v_fmac_f32_e32 v58, v3, v10
	v_mul_f32_e32 v3, v15, v7
	s_wait_dscnt 0x2
	v_fmac_f32_e32 v58, v2, v11
	ds_bpermute_b32 v2, v1, v59 offset:28
	s_wait_dscnt 0x2
	v_fmac_f32_e32 v58, v3, v4
	v_mul_f32_e32 v3, v16, v8
	s_wait_dscnt 0x1
	s_delay_alu instid0(VALU_DEP_1) | instskip(NEXT) | instid1(VALU_DEP_1)
	v_fmac_f32_e32 v58, v3, v5
	v_mov_b32_e32 v87, v58
.LBB155_40:                             ;   in Loop: Header=BB155_3 Depth=1
	v_add_co_u32 v26, vcc_lo, v26, s22
	s_wait_alu 0xfffd
	v_add_co_ci_u32_e64 v27, null, s23, v27, vcc_lo
	v_add_co_u32 v28, vcc_lo, v28, s22
	s_wait_alu 0xfffd
	v_add_co_ci_u32_e64 v29, null, s23, v29, vcc_lo
	v_add_co_u32 v30, vcc_lo, v30, s22
	s_wait_alu 0xfffd
	v_add_co_ci_u32_e64 v31, null, s23, v31, vcc_lo
	v_add_co_u32 v32, vcc_lo, v32, s22
	s_wait_alu 0xfffd
	v_add_co_ci_u32_e64 v33, null, s23, v33, vcc_lo
	v_add_co_u32 v34, vcc_lo, v34, s22
	s_wait_alu 0xfffd
	v_add_co_ci_u32_e64 v35, null, s23, v35, vcc_lo
	v_add_co_u32 v36, vcc_lo, v36, s22
	s_wait_alu 0xfffd
	v_add_co_ci_u32_e64 v37, null, s23, v37, vcc_lo
	v_add_co_u32 v38, vcc_lo, v38, s22
	s_wait_alu 0xfffd
	v_add_co_ci_u32_e64 v39, null, s23, v39, vcc_lo
	v_add_co_u32 v40, vcc_lo, v40, s22
	s_wait_alu 0xfffd
	v_add_co_ci_u32_e64 v41, null, s23, v41, vcc_lo
	v_add_co_u32 v42, vcc_lo, v42, s22
	s_wait_alu 0xfffd
	v_add_co_ci_u32_e64 v43, null, s23, v43, vcc_lo
	v_add_co_u32 v44, vcc_lo, v44, s22
	s_wait_alu 0xfffd
	v_add_co_ci_u32_e64 v45, null, s23, v45, vcc_lo
	v_add_co_u32 v46, vcc_lo, v46, s22
	s_wait_alu 0xfffd
	v_add_co_ci_u32_e64 v47, null, s23, v47, vcc_lo
	v_add_co_u32 v48, vcc_lo, v48, s22
	s_wait_alu 0xfffd
	v_add_co_ci_u32_e64 v49, null, s23, v49, vcc_lo
	v_add_co_u32 v50, vcc_lo, v50, s22
	s_wait_alu 0xfffd
	v_add_co_ci_u32_e64 v51, null, s23, v51, vcc_lo
	v_add_co_u32 v52, vcc_lo, v52, s22
	s_wait_alu 0xfffd
	v_add_co_ci_u32_e64 v53, null, s23, v53, vcc_lo
	v_add_co_u32 v54, vcc_lo, v54, s22
	v_mul_f32_e32 v3, v9, v17
	s_add_nc_u64 s[26:27], s[26:27], s[20:21]
	s_wait_alu 0xfffd
	v_add_co_ci_u32_e64 v55, null, s23, v55, vcc_lo
	v_add_co_u32 v56, vcc_lo, v56, s22
	s_wait_alu 0xfffe
	v_cmp_lt_i64_e64 s3, s[26:27], s[4:5]
	s_wait_alu 0xfffd
	v_add_co_ci_u32_e64 v57, null, s23, v57, vcc_lo
	v_add_co_u32 v23, vcc_lo, v23, s20
	s_wait_dscnt 0x0
	v_fmac_f32_e32 v87, v3, v2
	s_wait_alu 0xfffd
	v_add_co_ci_u32_e64 v25, null, 0, v25, vcc_lo
	s_and_b32 vcc_lo, exec_lo, s3
	s_add_nc_u64 s[24:25], s[24:25], s[20:21]
	s_wait_alu 0xfffe
	s_cbranch_vccz .LBB155_50
; %bb.41:                               ;   in Loop: Header=BB155_3 Depth=1
	v_mov_b32_e32 v58, v87
	s_branch .LBB155_3
.LBB155_42:                             ;   in Loop: Header=BB155_3 Depth=1
	v_add_co_u32 v2, vcc_lo, v26, v18
	s_wait_alu 0xfffd
	v_add_co_ci_u32_e64 v3, null, v27, v19, vcc_lo
	v_add_co_u32 v4, vcc_lo, v28, v18
	s_wait_alu 0xfffd
	v_add_co_ci_u32_e64 v5, null, v29, v19, vcc_lo
	global_load_b32 v2, v[2:3], off
	global_load_b32 v10, v[4:5], off
	v_dual_mov_b32 v3, v1 :: v_dual_mov_b32 v4, v1
	v_dual_mov_b32 v5, v1 :: v_dual_mov_b32 v6, v1
	;; [unrolled: 1-line block ×6, first 2 shown]
	v_mov_b32_e32 v15, v1
	v_mov_b32_e32 v17, v1
	s_wait_alu 0xfffe
	s_or_b32 exec_lo, exec_lo, s3
	s_and_saveexec_b32 s3, s2
	s_cbranch_execz .LBB155_32
.LBB155_43:                             ;   in Loop: Header=BB155_3 Depth=1
	v_add_co_u32 v20, vcc_lo, v54, v18
	s_wait_alu 0xfffd
	v_add_co_ci_u32_e64 v21, null, v55, v19, vcc_lo
	v_add_co_u32 v60, vcc_lo, v56, v18
	s_wait_alu 0xfffd
	v_add_co_ci_u32_e64 v61, null, v57, v19, vcc_lo
	global_load_b32 v3, v[20:21], off
	global_load_b32 v11, v[60:61], off
	s_wait_alu 0xfffe
	s_or_b32 exec_lo, exec_lo, s3
	s_and_saveexec_b32 s3, s2
	s_cbranch_execz .LBB155_33
.LBB155_44:                             ;   in Loop: Header=BB155_3 Depth=1
	v_add_co_u32 v20, vcc_lo, v50, v18
	s_wait_alu 0xfffd
	v_add_co_ci_u32_e64 v21, null, v51, v19, vcc_lo
	v_add_co_u32 v60, vcc_lo, v52, v18
	s_wait_alu 0xfffd
	v_add_co_ci_u32_e64 v61, null, v53, v19, vcc_lo
	global_load_b32 v4, v[20:21], off
	global_load_b32 v12, v[60:61], off
	s_wait_alu 0xfffe
	s_or_b32 exec_lo, exec_lo, s3
	s_and_saveexec_b32 s3, s2
	s_cbranch_execz .LBB155_34
.LBB155_45:                             ;   in Loop: Header=BB155_3 Depth=1
	v_add_co_u32 v20, vcc_lo, v46, v18
	s_wait_alu 0xfffd
	v_add_co_ci_u32_e64 v21, null, v47, v19, vcc_lo
	v_add_co_u32 v60, vcc_lo, v48, v18
	s_wait_alu 0xfffd
	v_add_co_ci_u32_e64 v61, null, v49, v19, vcc_lo
	global_load_b32 v5, v[20:21], off
	global_load_b32 v13, v[60:61], off
	s_wait_alu 0xfffe
	s_or_b32 exec_lo, exec_lo, s3
	s_and_saveexec_b32 s3, s2
	s_cbranch_execz .LBB155_35
.LBB155_46:                             ;   in Loop: Header=BB155_3 Depth=1
	v_add_co_u32 v20, vcc_lo, v42, v18
	s_wait_alu 0xfffd
	v_add_co_ci_u32_e64 v21, null, v43, v19, vcc_lo
	v_add_co_u32 v60, vcc_lo, v44, v18
	s_wait_alu 0xfffd
	v_add_co_ci_u32_e64 v61, null, v45, v19, vcc_lo
	global_load_b32 v6, v[20:21], off
	global_load_b32 v14, v[60:61], off
	s_wait_alu 0xfffe
	s_or_b32 exec_lo, exec_lo, s3
	s_and_saveexec_b32 s3, s2
	s_cbranch_execz .LBB155_36
.LBB155_47:                             ;   in Loop: Header=BB155_3 Depth=1
	v_add_co_u32 v20, vcc_lo, v38, v18
	s_wait_alu 0xfffd
	v_add_co_ci_u32_e64 v21, null, v39, v19, vcc_lo
	v_add_co_u32 v60, vcc_lo, v40, v18
	s_wait_alu 0xfffd
	v_add_co_ci_u32_e64 v61, null, v41, v19, vcc_lo
	global_load_b32 v7, v[20:21], off
	global_load_b32 v15, v[60:61], off
	s_wait_alu 0xfffe
	s_or_b32 exec_lo, exec_lo, s3
	s_and_saveexec_b32 s3, s2
	s_cbranch_execz .LBB155_37
.LBB155_48:                             ;   in Loop: Header=BB155_3 Depth=1
	v_add_co_u32 v20, vcc_lo, v34, v18
	s_wait_alu 0xfffd
	v_add_co_ci_u32_e64 v21, null, v35, v19, vcc_lo
	v_add_co_u32 v60, vcc_lo, v36, v18
	s_wait_alu 0xfffd
	v_add_co_ci_u32_e64 v61, null, v37, v19, vcc_lo
	global_load_b32 v8, v[20:21], off
	global_load_b32 v16, v[60:61], off
	s_wait_alu 0xfffe
	s_or_b32 exec_lo, exec_lo, s3
	s_and_saveexec_b32 s3, s2
	s_cbranch_execnz .LBB155_38
	s_branch .LBB155_39
.LBB155_49:
                                        ; implicit-def: $vgpr87
	s_load_b64 s[16:17], s[0:1], 0x30
	s_branch .LBB155_51
.LBB155_50:
	s_load_b64 s[16:17], s[0:1], 0x30
	s_cbranch_execnz .LBB155_83
.LBB155_51:
	v_mov_b32_e32 v87, 0
	s_and_not1_b32 vcc_lo, exec_lo, s29
	s_wait_alu 0xfffe
	s_cbranch_vccnz .LBB155_83
; %bb.52:
	v_bfe_u32 v50, v0, 10, 10
	v_dual_mov_b32 v1, 0 :: v_dual_and_b32 v52, 0x3ff, v0
	s_lshl_b64 s[22:23], s[14:15], 2
	s_mov_b32 s3, 0
	s_delay_alu instid0(VALU_DEP_2) | instskip(NEXT) | instid1(VALU_DEP_2)
	v_dual_mov_b32 v86, 0 :: v_dual_lshlrev_b32 v51, 3, v50
	v_dual_mov_b32 v53, v1 :: v_dual_lshlrev_b32 v8, 5, v50
	v_dual_mov_b32 v5, v1 :: v_dual_add_nc_u32 v4, s28, v52
	s_delay_alu instid0(VALU_DEP_3) | instskip(SKIP_2) | instid1(VALU_DEP_3)
	v_add_co_u32 v10, s2, v51, s14
	s_wait_alu 0xf1ff
	v_add_co_ci_u32_e64 v11, null, 0, 0, s2
	v_lshlrev_b64_e32 v[18:19], 2, v[4:5]
	s_delay_alu instid0(VALU_DEP_3) | instskip(SKIP_1) | instid1(VALU_DEP_4)
	v_mul_lo_u32 v6, s7, v10
	v_mad_co_u64_u32 v[2:3], null, s6, v10, 0
	v_mul_lo_u32 v7, s6, v11
	s_load_b32 s2, s[0:1], 0x44
	s_mov_b32 s21, s3
	s_add_nc_u64 s[18:19], s[0:1], 64
	s_delay_alu instid0(VALU_DEP_1) | instskip(SKIP_3) | instid1(VALU_DEP_3)
	v_add3_u32 v3, v3, v7, v6
	v_add_co_u32 v6, s20, v8, s22
	s_wait_alu 0xf1ff
	v_add_co_ci_u32_e64 v7, null, 0, s23, s20
	v_lshlrev_b64_e32 v[4:5], 2, v[2:3]
	s_delay_alu instid0(VALU_DEP_3) | instskip(SKIP_1) | instid1(VALU_DEP_3)
	v_add_co_u32 v8, vcc_lo, v6, 4
	s_wait_alu 0xfffd
	v_add_co_ci_u32_e64 v9, null, 0, v7, vcc_lo
	s_delay_alu instid0(VALU_DEP_3)
	v_add_co_u32 v54, vcc_lo, s8, v4
	s_wait_alu 0xfffd
	v_add_co_ci_u32_e64 v55, null, s9, v5, vcc_lo
	v_add_co_u32 v56, vcc_lo, s10, v4
	s_wait_alu 0xfffd
	v_add_co_ci_u32_e64 v57, null, s11, v5, vcc_lo
	;; [unrolled: 3-line block ×5, first 2 shown]
	v_add_co_u32 v42, vcc_lo, v6, 20
	v_mad_co_u64_u32 v[22:23], null, s6, v4, s[8:9]
	v_mul_lo_u32 v5, s6, v5
	v_mul_lo_u32 v15, s7, v4
	v_mad_co_u64_u32 v[36:37], null, s6, v4, s[10:11]
	s_wait_alu 0xfffd
	v_add_co_ci_u32_e64 v30, null, 0, v7, vcc_lo
	v_add_co_u32 v44, vcc_lo, v6, 24
	s_wait_alu 0xfffd
	v_add_co_ci_u32_e64 v32, null, 0, v7, vcc_lo
	v_add_co_u32 v6, vcc_lo, v6, 28
	v_mad_co_u64_u32 v[20:21], null, s6, v8, s[8:9]
	v_mul_lo_u32 v9, s6, v9
	v_mul_lo_u32 v12, s7, v8
	v_mad_co_u64_u32 v[34:35], null, s6, v8, s[10:11]
	s_wait_alu 0xfffd
	v_add_co_ci_u32_e64 v7, null, 0, v7, vcc_lo
	v_add_co_u32 v4, vcc_lo, v10, 7
	v_add3_u32 v23, v15, v23, v5
	v_add3_u32 v37, v15, v37, v5
	s_wait_alu 0xfffd
	v_add_co_ci_u32_e64 v5, null, 0, v11, vcc_lo
	v_mul_lo_u32 v62, s6, v7
	v_add_co_u32 v7, vcc_lo, v10, 6
	v_add3_u32 v21, v12, v21, v9
	v_add3_u32 v35, v12, v35, v9
	s_wait_alu 0xfffd
	v_add_co_ci_u32_e64 v12, null, 0, v11, vcc_lo
	v_mul_lo_u32 v8, s7, v4
	v_mul_lo_u32 v9, s6, v5
	v_mad_co_u64_u32 v[4:5], null, s6, v4, 0
	v_mad_co_u64_u32 v[24:25], null, s6, v13, s[8:9]
	v_mul_lo_u32 v17, s7, v13
	v_mul_lo_u32 v60, s6, v32
	v_mad_co_u64_u32 v[32:33], null, s6, v6, s[8:9]
	v_mul_lo_u32 v63, s7, v6
	v_mad_co_u64_u32 v[38:39], null, s6, v13, s[10:11]
	v_mad_co_u64_u32 v[46:47], null, s6, v6, s[10:11]
	v_mul_lo_u32 v13, s7, v7
	v_mul_lo_u32 v12, s6, v12
	v_mad_co_u64_u32 v[6:7], null, s6, v7, 0
	v_add3_u32 v5, v5, v9, v8
	v_add_co_u32 v8, vcc_lo, v10, 5
	v_mul_lo_u32 v48, s6, v28
	v_mad_co_u64_u32 v[28:29], null, s6, v42, s[8:9]
	v_mul_lo_u32 v58, s6, v30
	v_mul_lo_u32 v59, s7, v42
	v_mad_co_u64_u32 v[42:43], null, s6, v42, s[10:11]
	s_wait_alu 0xfffd
	v_add_co_ci_u32_e64 v9, null, 0, v11, vcc_lo
	v_add3_u32 v7, v7, v12, v13
	v_mad_co_u64_u32 v[30:31], null, s6, v44, s[8:9]
	v_mul_lo_u32 v61, s7, v44
	v_mad_co_u64_u32 v[44:45], null, s6, v44, s[10:11]
	v_lshlrev_b64_e32 v[4:5], 2, v[4:5]
	v_mul_lo_u32 v12, s7, v8
	v_mul_lo_u32 v13, s6, v9
	v_mad_co_u64_u32 v[8:9], null, s6, v8, 0
	v_lshlrev_b64_e32 v[6:7], 2, v[6:7]
	v_add3_u32 v29, v59, v29, v58
	v_add3_u32 v43, v59, v43, v58
	v_add_co_u32 v58, vcc_lo, s8, v4
	v_add3_u32 v31, v61, v31, v60
	v_add3_u32 v45, v61, v45, v60
	s_wait_alu 0xfffd
	v_add_co_ci_u32_e64 v59, null, s9, v5, vcc_lo
	v_add_co_u32 v60, vcc_lo, s10, v4
	v_add3_u32 v33, v63, v33, v62
	v_add3_u32 v47, v63, v47, v62
	s_wait_alu 0xfffd
	v_add_co_ci_u32_e64 v61, null, s11, v5, vcc_lo
	v_add_co_u32 v62, vcc_lo, s8, v6
	v_mul_lo_u32 v14, s6, v14
	v_add3_u32 v9, v9, v13, v12
	s_wait_alu 0xfffd
	v_add_co_ci_u32_e64 v63, null, s9, v7, vcc_lo
	v_add_co_u32 v12, vcc_lo, v10, 4
	s_wait_kmcnt 0x0
	s_lshl_b32 s20, s2, 3
	v_add_co_u32 v64, s2, s10, v6
	s_wait_alu 0xfffd
	v_add_co_ci_u32_e64 v6, null, 0, v11, vcc_lo
	v_lshlrev_b64_e32 v[4:5], 2, v[8:9]
	v_add_co_u32 v8, vcc_lo, v10, 3
	s_wait_alu 0xfffd
	v_add_co_ci_u32_e64 v9, null, 0, v11, vcc_lo
	v_add3_u32 v25, v17, v25, v14
	v_add3_u32 v39, v17, v39, v14
	s_wait_alu 0xf1ff
	v_add_co_ci_u32_e64 v65, null, s11, v7, s2
	v_mul_lo_u32 v13, s7, v12
	v_mul_lo_u32 v14, s6, v6
	v_mad_co_u64_u32 v[6:7], null, s6, v12, 0
	v_mul_lo_u32 v12, s7, v8
	v_mul_lo_u32 v15, s6, v9
	v_mad_co_u64_u32 v[8:9], null, s6, v8, 0
	v_add_co_u32 v66, vcc_lo, s8, v4
	s_wait_alu 0xfffd
	v_add_co_ci_u32_e64 v67, null, s9, v5, vcc_lo
	v_add3_u32 v7, v7, v14, v13
	v_add_co_u32 v68, vcc_lo, s10, v4
	s_wait_alu 0xfffd
	v_add_co_ci_u32_e64 v69, null, s11, v5, vcc_lo
	v_add_co_u32 v10, vcc_lo, v10, 2
	v_add3_u32 v9, v9, v15, v12
	s_wait_alu 0xfffd
	v_add_co_ci_u32_e64 v11, null, 0, v11, vcc_lo
	v_lshlrev_b64_e32 v[4:5], 2, v[6:7]
	v_mul_lo_u32 v12, s7, v10
	v_lshlrev_b64_e32 v[6:7], 2, v[8:9]
	s_delay_alu instid0(VALU_DEP_4)
	v_mul_lo_u32 v11, s6, v11
	v_mad_co_u64_u32 v[8:9], null, s6, v10, 0
	v_add_co_u32 v70, vcc_lo, s8, v4
	s_wait_alu 0xfffd
	v_add_co_ci_u32_e64 v71, null, s9, v5, vcc_lo
	v_add_co_u32 v72, vcc_lo, s10, v4
	s_wait_alu 0xfffd
	v_add_co_ci_u32_e64 v73, null, s11, v5, vcc_lo
	;; [unrolled: 3-line block ×3, first 2 shown]
	v_add3_u32 v9, v9, v11, v12
	v_add_co_u32 v76, vcc_lo, s10, v6
	s_wait_alu 0xfffd
	v_add_co_ci_u32_e64 v77, null, s11, v7, vcc_lo
	v_add_co_u32 v2, vcc_lo, v2, s6
	s_wait_alu 0xfffd
	v_add_co_ci_u32_e64 v3, null, s7, v3, vcc_lo
	v_lshlrev_b64_e32 v[4:5], 2, v[8:9]
	v_mad_co_u64_u32 v[26:27], null, s6, v16, s[8:9]
	s_delay_alu instid0(VALU_DEP_3)
	v_lshlrev_b64_e32 v[2:3], 2, v[2:3]
	v_mul_lo_u32 v49, s7, v16
	v_mad_co_u64_u32 v[40:41], null, s6, v16, s[10:11]
	v_add_co_u32 v78, vcc_lo, s8, v4
	s_wait_alu 0xfffd
	v_add_co_ci_u32_e64 v79, null, s9, v5, vcc_lo
	v_add_co_u32 v80, vcc_lo, s10, v4
	s_wait_alu 0xfffd
	v_add_co_ci_u32_e64 v81, null, s11, v5, vcc_lo
	v_add_co_u32 v82, vcc_lo, s8, v2
	s_wait_alu 0xfffd
	v_add_co_ci_u32_e64 v83, null, s9, v3, vcc_lo
	v_add_co_u32 v84, vcc_lo, s10, v2
	v_add3_u32 v27, v49, v27, v48
	v_add3_u32 v41, v49, v41, v48
	s_wait_alu 0xfffd
	v_add_co_ci_u32_e64 v85, null, s11, v3, vcc_lo
	s_wait_alu 0xfffe
	s_mul_u64 s[22:23], s[6:7], s[20:21]
	s_mov_b64 s[10:11], 7
	s_wait_alu 0xfffe
	s_lshl_b64 s[8:9], s[22:23], 2
	s_mov_b64 s[22:23], s[14:15]
.LBB155_53:                             ; =>This Inner Loop Header: Depth=1
	s_add_nc_u64 s[24:25], s[14:15], s[10:11]
	v_add_co_u32 v48, vcc_lo, s14, v51
	s_wait_alu 0xfffe
	v_cmp_ge_i64_e64 s2, s[24:25], s[4:5]
	s_wait_alu 0xfffd
	v_add_co_ci_u32_e64 v49, null, 0, v53, vcc_lo
                                        ; implicit-def: $vgpr87
	s_and_b32 vcc_lo, exec_lo, s2
	s_mov_b32 s2, -1
	s_wait_alu 0xfffe
	s_cbranch_vccz .LBB155_75
; %bb.54:                               ;   in Loop: Header=BB155_53 Depth=1
	s_load_b32 s2, s[18:19], 0xc
	v_mov_b32_e32 v88, 0
	s_wait_kmcnt 0x0
	s_and_b32 s2, s2, 0xffff
	s_wait_alu 0xfffe
	v_mad_u32_u24 v2, v50, s2, v52
	s_mov_b32 s2, exec_lo
	s_delay_alu instid0(VALU_DEP_1) | instskip(NEXT) | instid1(VALU_DEP_1)
	v_and_b32_e32 v2, 31, v2
	v_cmpx_gt_u32_e32 8, v2
	s_cbranch_execz .LBB155_58
; %bb.55:                               ;   in Loop: Header=BB155_53 Depth=1
	v_add_co_u32 v2, vcc_lo, v48, v2
	s_wait_alu 0xfffd
	v_add_co_ci_u32_e64 v3, null, 0, v49, vcc_lo
	v_mov_b32_e32 v88, 0
	s_mov_b32 s24, exec_lo
	s_delay_alu instid0(VALU_DEP_2)
	v_cmpx_gt_i64_e64 s[4:5], v[2:3]
	s_cbranch_execz .LBB155_57
; %bb.56:                               ;   in Loop: Header=BB155_53 Depth=1
	v_lshlrev_b64_e32 v[2:3], 2, v[2:3]
	s_delay_alu instid0(VALU_DEP_1) | instskip(SKIP_1) | instid1(VALU_DEP_2)
	v_add_co_u32 v2, vcc_lo, s12, v2
	s_wait_alu 0xfffd
	v_add_co_ci_u32_e64 v3, null, s13, v3, vcc_lo
	global_load_b32 v88, v[2:3], off
.LBB155_57:                             ;   in Loop: Header=BB155_53 Depth=1
	s_wait_alu 0xfffe
	s_or_b32 exec_lo, exec_lo, s24
.LBB155_58:                             ;   in Loop: Header=BB155_53 Depth=1
	s_wait_alu 0xfffe
	s_or_b32 exec_lo, exec_lo, s2
	v_mov_b32_e32 v8, v1
	v_dual_mov_b32 v2, v1 :: v_dual_mov_b32 v3, v1
	v_dual_mov_b32 v4, v1 :: v_dual_mov_b32 v5, v1
	;; [unrolled: 1-line block ×3, first 2 shown]
	s_delay_alu instid0(VALU_DEP_4) | instskip(NEXT) | instid1(VALU_DEP_3)
	v_mov_b32_e32 v17, v8
	v_dual_mov_b32 v13, v4 :: v_dual_mov_b32 v12, v3
	s_delay_alu instid0(VALU_DEP_3) | instskip(NEXT) | instid1(VALU_DEP_4)
	v_dual_mov_b32 v15, v6 :: v_dual_mov_b32 v14, v5
	v_dual_mov_b32 v16, v7 :: v_dual_mov_b32 v11, v2
	v_dual_mov_b32 v10, v1 :: v_dual_mov_b32 v9, v8
	v_mov_b32_e32 v8, v7
	v_mov_b32_e32 v7, v6
	;; [unrolled: 1-line block ×7, first 2 shown]
	s_mov_b32 s2, exec_lo
	v_cmpx_gt_i64_e64 s[4:5], v[48:49]
	s_cbranch_execz .LBB155_60
; %bb.59:                               ;   in Loop: Header=BB155_53 Depth=1
	v_add_co_u32 v2, vcc_lo, v54, v18
	s_wait_alu 0xfffd
	v_add_co_ci_u32_e64 v3, null, v55, v19, vcc_lo
	v_add_co_u32 v4, vcc_lo, v56, v18
	s_wait_alu 0xfffd
	v_add_co_ci_u32_e64 v5, null, v57, v19, vcc_lo
	global_load_b32 v2, v[2:3], off
	global_load_b32 v10, v[4:5], off
	v_dual_mov_b32 v3, v1 :: v_dual_mov_b32 v4, v1
	v_dual_mov_b32 v5, v1 :: v_dual_mov_b32 v6, v1
	;; [unrolled: 1-line block ×6, first 2 shown]
	v_mov_b32_e32 v15, v1
	v_mov_b32_e32 v17, v1
.LBB155_60:                             ;   in Loop: Header=BB155_53 Depth=1
	s_wait_alu 0xfffe
	s_or_b32 exec_lo, exec_lo, s2
	v_add_co_u32 v89, vcc_lo, v48, 1
	s_wait_alu 0xfffd
	v_add_co_ci_u32_e64 v90, null, 0, v49, vcc_lo
	s_mov_b32 s2, exec_lo
	v_cmpx_gt_i64_e64 s[4:5], v[89:90]
	s_cbranch_execz .LBB155_62
; %bb.61:                               ;   in Loop: Header=BB155_53 Depth=1
	v_add_co_u32 v89, vcc_lo, v82, v18
	s_wait_alu 0xfffd
	v_add_co_ci_u32_e64 v90, null, v83, v19, vcc_lo
	v_add_co_u32 v91, vcc_lo, v84, v18
	s_wait_alu 0xfffd
	v_add_co_ci_u32_e64 v92, null, v85, v19, vcc_lo
	global_load_b32 v3, v[89:90], off
	global_load_b32 v11, v[91:92], off
.LBB155_62:                             ;   in Loop: Header=BB155_53 Depth=1
	s_wait_alu 0xfffe
	s_or_b32 exec_lo, exec_lo, s2
	v_add_co_u32 v89, vcc_lo, v48, 2
	s_wait_alu 0xfffd
	v_add_co_ci_u32_e64 v90, null, 0, v49, vcc_lo
	s_mov_b32 s2, exec_lo
	v_cmpx_gt_i64_e64 s[4:5], v[89:90]
	s_cbranch_execz .LBB155_64
; %bb.63:                               ;   in Loop: Header=BB155_53 Depth=1
	v_add_co_u32 v89, vcc_lo, v78, v18
	s_wait_alu 0xfffd
	v_add_co_ci_u32_e64 v90, null, v79, v19, vcc_lo
	v_add_co_u32 v91, vcc_lo, v80, v18
	s_wait_alu 0xfffd
	v_add_co_ci_u32_e64 v92, null, v81, v19, vcc_lo
	global_load_b32 v4, v[89:90], off
	global_load_b32 v12, v[91:92], off
.LBB155_64:                             ;   in Loop: Header=BB155_53 Depth=1
	;; [unrolled: 18-line block ×7, first 2 shown]
	s_wait_alu 0xfffe
	s_or_b32 exec_lo, exec_lo, s2
	s_wait_loadcnt 0x0
	ds_bpermute_b32 v87, v1, v88
	ds_bpermute_b32 v89, v1, v88 offset:4
	ds_bpermute_b32 v90, v1, v88 offset:8
	v_dual_mul_f32 v2, v10, v2 :: v_dual_mul_f32 v3, v11, v3
	ds_bpermute_b32 v10, v1, v88 offset:12
	ds_bpermute_b32 v11, v1, v88 offset:16
	s_mov_b32 s2, 0
	s_wait_dscnt 0x4
	v_fma_f32 v87, v2, v87, v86
	v_mul_f32_e32 v2, v12, v4
	ds_bpermute_b32 v4, v1, v88 offset:20
	s_wait_dscnt 0x4
	v_fmac_f32_e32 v87, v3, v89
	v_mul_f32_e32 v3, v13, v5
	ds_bpermute_b32 v5, v1, v88 offset:24
	s_wait_dscnt 0x4
	v_fmac_f32_e32 v87, v2, v90
	v_mul_f32_e32 v2, v14, v6
	v_mul_f32_e32 v6, v15, v7
	s_wait_dscnt 0x3
	s_delay_alu instid0(VALU_DEP_3) | instskip(SKIP_4) | instid1(VALU_DEP_1)
	v_fmac_f32_e32 v87, v3, v10
	ds_bpermute_b32 v3, v1, v88 offset:28
	s_wait_dscnt 0x3
	v_dual_fmac_f32 v87, v2, v11 :: v_dual_mul_f32 v2, v16, v8
	s_wait_dscnt 0x2
	v_fmac_f32_e32 v87, v6, v4
	s_wait_dscnt 0x1
	s_delay_alu instid0(VALU_DEP_1) | instskip(SKIP_2) | instid1(VALU_DEP_1)
	v_fmac_f32_e32 v87, v2, v5
	v_mul_f32_e32 v2, v17, v9
	s_wait_dscnt 0x0
	v_fmac_f32_e32 v87, v2, v3
.LBB155_75:                             ;   in Loop: Header=BB155_53 Depth=1
	s_wait_alu 0xfffe
	s_and_b32 vcc_lo, exec_lo, s2
	s_wait_alu 0xfffe
	s_cbranch_vccz .LBB155_81
; %bb.76:                               ;   in Loop: Header=BB155_53 Depth=1
	s_load_b32 s2, s[18:19], 0x0
	v_mov_b32_e32 v4, 0
	s_wait_kmcnt 0x0
	s_cmp_lt_u32 ttmp9, s2
	s_cselect_b32 s2, 12, 18
	s_wait_alu 0xfffe
	s_add_nc_u64 s[24:25], s[18:19], s[2:3]
	s_load_u16 s2, s[24:25], 0x0
	s_wait_kmcnt 0x0
	v_mad_u32_u24 v2, v50, s2, v52
	s_mov_b32 s2, exec_lo
	s_delay_alu instid0(VALU_DEP_1) | instskip(NEXT) | instid1(VALU_DEP_1)
	v_and_b32_e32 v2, 31, v2
	v_cmpx_gt_u32_e32 8, v2
	s_cbranch_execz .LBB155_80
; %bb.77:                               ;   in Loop: Header=BB155_53 Depth=1
	v_add_co_u32 v2, vcc_lo, v48, v2
	s_wait_alu 0xfffd
	v_add_co_ci_u32_e64 v3, null, 0, v49, vcc_lo
	v_mov_b32_e32 v4, 0
	s_mov_b32 s24, exec_lo
	s_delay_alu instid0(VALU_DEP_2)
	v_cmpx_gt_i64_e64 s[4:5], v[2:3]
	s_cbranch_execz .LBB155_79
; %bb.78:                               ;   in Loop: Header=BB155_53 Depth=1
	v_lshlrev_b64_e32 v[2:3], 2, v[2:3]
	s_delay_alu instid0(VALU_DEP_1) | instskip(SKIP_1) | instid1(VALU_DEP_2)
	v_add_co_u32 v2, vcc_lo, s12, v2
	s_wait_alu 0xfffd
	v_add_co_ci_u32_e64 v3, null, s13, v3, vcc_lo
	global_load_b32 v4, v[2:3], off
.LBB155_79:                             ;   in Loop: Header=BB155_53 Depth=1
	s_wait_alu 0xfffe
	s_or_b32 exec_lo, exec_lo, s24
.LBB155_80:                             ;   in Loop: Header=BB155_53 Depth=1
	s_wait_alu 0xfffe
	s_or_b32 exec_lo, exec_lo, s2
	v_add_co_u32 v2, vcc_lo, v54, v18
	s_wait_alu 0xfffd
	v_add_co_ci_u32_e64 v3, null, v55, v19, vcc_lo
	v_add_co_u32 v5, vcc_lo, v56, v18
	s_wait_alu 0xfffd
	v_add_co_ci_u32_e64 v6, null, v57, v19, vcc_lo
	;; [unrolled: 3-line block ×4, first 2 shown]
	global_load_b32 v13, v[2:3], off
	global_load_b32 v14, v[5:6], off
	;; [unrolled: 1-line block ×4, first 2 shown]
	v_add_co_u32 v2, vcc_lo, v22, v18
	s_wait_alu 0xfffd
	v_add_co_ci_u32_e64 v3, null, v23, v19, vcc_lo
	v_add_co_u32 v5, vcc_lo, v36, v18
	s_wait_alu 0xfffd
	v_add_co_ci_u32_e64 v6, null, v37, v19, vcc_lo
	;; [unrolled: 3-line block ×5, first 2 shown]
	global_load_b32 v17, v[2:3], off
	global_load_b32 v48, v[5:6], off
	;; [unrolled: 1-line block ×5, first 2 shown]
	v_add_co_u32 v2, vcc_lo, v40, v18
	s_wait_alu 0xfffd
	v_add_co_ci_u32_e64 v3, null, v41, v19, vcc_lo
	v_add_co_u32 v5, vcc_lo, v28, v18
	s_wait_alu 0xfffd
	v_add_co_ci_u32_e64 v6, null, v29, v19, vcc_lo
	;; [unrolled: 3-line block ×5, first 2 shown]
	global_load_b32 v89, v[2:3], off
	global_load_b32 v90, v[5:6], off
	;; [unrolled: 1-line block ×5, first 2 shown]
	v_add_co_u32 v2, vcc_lo, v32, v18
	s_wait_alu 0xfffd
	v_add_co_ci_u32_e64 v3, null, v33, v19, vcc_lo
	v_add_co_u32 v5, vcc_lo, v46, v18
	s_wait_alu 0xfffd
	v_add_co_ci_u32_e64 v6, null, v47, v19, vcc_lo
	global_load_b32 v2, v[2:3], off
	global_load_b32 v3, v[5:6], off
	s_wait_loadcnt 0x10
	ds_bpermute_b32 v5, v1, v4
	ds_bpermute_b32 v6, v1, v4 offset:4
	ds_bpermute_b32 v10, v1, v4 offset:8
	;; [unrolled: 1-line block ×3, first 2 shown]
	s_wait_loadcnt 0xe
	v_mul_f32_e32 v12, v13, v14
	ds_bpermute_b32 v13, v1, v4 offset:16
	s_wait_loadcnt 0x4
	v_dual_mul_f32 v14, v15, v16 :: v_dual_mul_f32 v7, v90, v7
	s_wait_dscnt 0x4
	v_fmac_f32_e32 v86, v12, v5
	ds_bpermute_b32 v5, v1, v4 offset:20
	v_mul_f32_e32 v12, v17, v48
	s_wait_loadcnt 0x2
	v_mul_f32_e32 v8, v8, v9
	s_wait_dscnt 0x4
	v_fmac_f32_e32 v86, v14, v6
	ds_bpermute_b32 v6, v1, v4 offset:24
	v_mul_f32_e32 v14, v49, v87
	ds_bpermute_b32 v4, v1, v4 offset:28
	s_wait_dscnt 0x5
	v_fmac_f32_e32 v86, v12, v10
	v_mul_f32_e32 v10, v88, v89
	s_wait_loadcnt 0x0
	v_mul_f32_e32 v2, v2, v3
	s_wait_dscnt 0x4
	v_fmac_f32_e32 v86, v14, v11
	s_wait_dscnt 0x3
	s_delay_alu instid0(VALU_DEP_1) | instskip(SKIP_1) | instid1(VALU_DEP_1)
	v_fmac_f32_e32 v86, v10, v13
	s_wait_dscnt 0x2
	v_fmac_f32_e32 v86, v7, v5
	s_wait_dscnt 0x1
	s_delay_alu instid0(VALU_DEP_1) | instskip(SKIP_1) | instid1(VALU_DEP_1)
	v_fmac_f32_e32 v86, v8, v6
	s_wait_dscnt 0x0
	v_fmac_f32_e32 v86, v2, v4
	s_delay_alu instid0(VALU_DEP_1)
	v_mov_b32_e32 v87, v86
.LBB155_81:                             ;   in Loop: Header=BB155_53 Depth=1
	v_add_co_u32 v54, vcc_lo, v54, s8
	s_wait_alu 0xfffd
	v_add_co_ci_u32_e64 v55, null, s9, v55, vcc_lo
	v_add_co_u32 v56, vcc_lo, v56, s8
	s_wait_alu 0xfffd
	v_add_co_ci_u32_e64 v57, null, s9, v57, vcc_lo
	;; [unrolled: 3-line block ×28, first 2 shown]
	v_add_co_u32 v80, vcc_lo, v80, s8
	s_add_nc_u64 s[22:23], s[22:23], s[20:21]
	s_wait_alu 0xfffd
	v_add_co_ci_u32_e64 v81, null, s9, v81, vcc_lo
	v_add_co_u32 v82, vcc_lo, v82, s8
	s_wait_alu 0xfffe
	v_cmp_ge_i64_e64 s2, s[22:23], s[4:5]
	s_wait_alu 0xfffd
	v_add_co_ci_u32_e64 v83, null, s9, v83, vcc_lo
	v_add_co_u32 v84, vcc_lo, v84, s8
	s_wait_alu 0xfffd
	v_add_co_ci_u32_e64 v85, null, s9, v85, vcc_lo
	s_and_b32 vcc_lo, exec_lo, s2
	s_add_nc_u64 s[10:11], s[10:11], s[20:21]
	s_wait_alu 0xfffe
	s_cbranch_vccnz .LBB155_83
; %bb.82:                               ;   in Loop: Header=BB155_53 Depth=1
	v_mov_b32_e32 v86, v87
	s_branch .LBB155_53
.LBB155_83:
	s_mov_b32 s2, ttmp9
	s_mov_b32 s3, 0
	s_wait_alu 0xfffe
	s_lshl_b64 s[2:3], s[2:3], 5
	s_wait_kmcnt 0x0
	s_cmp_lg_u64 s[16:17], 0
	s_wait_alu 0xfffe
	v_and_or_b32 v1, 0x3ff, v0, s2
	v_mov_b32_e32 v2, s3
	s_cselect_b32 s2, -1, 0
	s_delay_alu instid0(VALU_DEP_1)
	v_cmp_gt_i64_e32 vcc_lo, s[6:7], v[1:2]
	s_wait_alu 0xfffe
	s_and_b32 s2, vcc_lo, s2
	s_wait_alu 0xfffe
	s_and_saveexec_b32 s3, s2
	s_cbranch_execz .LBB155_85
; %bb.84:
	s_load_u16 s0, s[0:1], 0x4e
	v_bfe_u32 v3, v0, 10, 10
	v_mov_b32_e32 v4, 0
	s_wait_kmcnt 0x0
	s_delay_alu instid0(VALU_DEP_1) | instskip(NEXT) | instid1(VALU_DEP_1)
	v_mad_co_u64_u32 v[3:4], null, s0, ttmp7, v[3:4]
	v_mul_lo_u32 v0, v4, s6
	s_delay_alu instid0(VALU_DEP_2) | instskip(SKIP_1) | instid1(VALU_DEP_1)
	v_mul_lo_u32 v5, v3, s7
	v_mad_co_u64_u32 v[3:4], null, v3, s6, 0
	v_add3_u32 v4, v4, v5, v0
	v_lshlrev_b64_e32 v[0:1], 2, v[1:2]
	s_delay_alu instid0(VALU_DEP_2) | instskip(NEXT) | instid1(VALU_DEP_1)
	v_lshlrev_b64_e32 v[3:4], 2, v[3:4]
	v_add_co_u32 v2, vcc_lo, s16, v3
	s_wait_alu 0xfffd
	s_delay_alu instid0(VALU_DEP_2) | instskip(NEXT) | instid1(VALU_DEP_2)
	v_add_co_ci_u32_e64 v3, null, s17, v4, vcc_lo
	v_add_co_u32 v0, vcc_lo, v2, v0
	s_wait_alu 0xfffd
	s_delay_alu instid0(VALU_DEP_2)
	v_add_co_ci_u32_e64 v1, null, v3, v1, vcc_lo
	global_store_b32 v[0:1], v87, off
.LBB155_85:
	s_endpgm
	.section	.rodata,"a",@progbits
	.p2align	6, 0x0
	.amdhsa_kernel _ZN2at6native12_GLOBAL__N_135GammaBetaBackwardCUDAKernelTemplateIffLj32ELj1ELj8ELb1ELb0ELb1EEEvllPKT_S5_PKT0_S8_PS3_S9_
		.amdhsa_group_segment_fixed_size 0
		.amdhsa_private_segment_fixed_size 0
		.amdhsa_kernarg_size 320
		.amdhsa_user_sgpr_count 2
		.amdhsa_user_sgpr_dispatch_ptr 0
		.amdhsa_user_sgpr_queue_ptr 0
		.amdhsa_user_sgpr_kernarg_segment_ptr 1
		.amdhsa_user_sgpr_dispatch_id 0
		.amdhsa_user_sgpr_private_segment_size 0
		.amdhsa_wavefront_size32 1
		.amdhsa_uses_dynamic_stack 0
		.amdhsa_enable_private_segment 0
		.amdhsa_system_sgpr_workgroup_id_x 1
		.amdhsa_system_sgpr_workgroup_id_y 1
		.amdhsa_system_sgpr_workgroup_id_z 0
		.amdhsa_system_sgpr_workgroup_info 0
		.amdhsa_system_vgpr_workitem_id 1
		.amdhsa_next_free_vgpr 93
		.amdhsa_next_free_sgpr 32
		.amdhsa_reserve_vcc 1
		.amdhsa_float_round_mode_32 0
		.amdhsa_float_round_mode_16_64 0
		.amdhsa_float_denorm_mode_32 3
		.amdhsa_float_denorm_mode_16_64 3
		.amdhsa_fp16_overflow 0
		.amdhsa_workgroup_processor_mode 1
		.amdhsa_memory_ordered 1
		.amdhsa_forward_progress 1
		.amdhsa_inst_pref_size 68
		.amdhsa_round_robin_scheduling 0
		.amdhsa_exception_fp_ieee_invalid_op 0
		.amdhsa_exception_fp_denorm_src 0
		.amdhsa_exception_fp_ieee_div_zero 0
		.amdhsa_exception_fp_ieee_overflow 0
		.amdhsa_exception_fp_ieee_underflow 0
		.amdhsa_exception_fp_ieee_inexact 0
		.amdhsa_exception_int_div_zero 0
	.end_amdhsa_kernel
	.section	.text._ZN2at6native12_GLOBAL__N_135GammaBetaBackwardCUDAKernelTemplateIffLj32ELj1ELj8ELb1ELb0ELb1EEEvllPKT_S5_PKT0_S8_PS3_S9_,"axG",@progbits,_ZN2at6native12_GLOBAL__N_135GammaBetaBackwardCUDAKernelTemplateIffLj32ELj1ELj8ELb1ELb0ELb1EEEvllPKT_S5_PKT0_S8_PS3_S9_,comdat
.Lfunc_end155:
	.size	_ZN2at6native12_GLOBAL__N_135GammaBetaBackwardCUDAKernelTemplateIffLj32ELj1ELj8ELb1ELb0ELb1EEEvllPKT_S5_PKT0_S8_PS3_S9_, .Lfunc_end155-_ZN2at6native12_GLOBAL__N_135GammaBetaBackwardCUDAKernelTemplateIffLj32ELj1ELj8ELb1ELb0ELb1EEEvllPKT_S5_PKT0_S8_PS3_S9_
                                        ; -- End function
	.set _ZN2at6native12_GLOBAL__N_135GammaBetaBackwardCUDAKernelTemplateIffLj32ELj1ELj8ELb1ELb0ELb1EEEvllPKT_S5_PKT0_S8_PS3_S9_.num_vgpr, 93
	.set _ZN2at6native12_GLOBAL__N_135GammaBetaBackwardCUDAKernelTemplateIffLj32ELj1ELj8ELb1ELb0ELb1EEEvllPKT_S5_PKT0_S8_PS3_S9_.num_agpr, 0
	.set _ZN2at6native12_GLOBAL__N_135GammaBetaBackwardCUDAKernelTemplateIffLj32ELj1ELj8ELb1ELb0ELb1EEEvllPKT_S5_PKT0_S8_PS3_S9_.numbered_sgpr, 32
	.set _ZN2at6native12_GLOBAL__N_135GammaBetaBackwardCUDAKernelTemplateIffLj32ELj1ELj8ELb1ELb0ELb1EEEvllPKT_S5_PKT0_S8_PS3_S9_.num_named_barrier, 0
	.set _ZN2at6native12_GLOBAL__N_135GammaBetaBackwardCUDAKernelTemplateIffLj32ELj1ELj8ELb1ELb0ELb1EEEvllPKT_S5_PKT0_S8_PS3_S9_.private_seg_size, 0
	.set _ZN2at6native12_GLOBAL__N_135GammaBetaBackwardCUDAKernelTemplateIffLj32ELj1ELj8ELb1ELb0ELb1EEEvllPKT_S5_PKT0_S8_PS3_S9_.uses_vcc, 1
	.set _ZN2at6native12_GLOBAL__N_135GammaBetaBackwardCUDAKernelTemplateIffLj32ELj1ELj8ELb1ELb0ELb1EEEvllPKT_S5_PKT0_S8_PS3_S9_.uses_flat_scratch, 0
	.set _ZN2at6native12_GLOBAL__N_135GammaBetaBackwardCUDAKernelTemplateIffLj32ELj1ELj8ELb1ELb0ELb1EEEvllPKT_S5_PKT0_S8_PS3_S9_.has_dyn_sized_stack, 0
	.set _ZN2at6native12_GLOBAL__N_135GammaBetaBackwardCUDAKernelTemplateIffLj32ELj1ELj8ELb1ELb0ELb1EEEvllPKT_S5_PKT0_S8_PS3_S9_.has_recursion, 0
	.set _ZN2at6native12_GLOBAL__N_135GammaBetaBackwardCUDAKernelTemplateIffLj32ELj1ELj8ELb1ELb0ELb1EEEvllPKT_S5_PKT0_S8_PS3_S9_.has_indirect_call, 0
	.section	.AMDGPU.csdata,"",@progbits
; Kernel info:
; codeLenInByte = 8592
; TotalNumSgprs: 34
; NumVgprs: 93
; ScratchSize: 0
; MemoryBound: 0
; FloatMode: 240
; IeeeMode: 1
; LDSByteSize: 0 bytes/workgroup (compile time only)
; SGPRBlocks: 0
; VGPRBlocks: 11
; NumSGPRsForWavesPerEU: 34
; NumVGPRsForWavesPerEU: 93
; Occupancy: 16
; WaveLimiterHint : 0
; COMPUTE_PGM_RSRC2:SCRATCH_EN: 0
; COMPUTE_PGM_RSRC2:USER_SGPR: 2
; COMPUTE_PGM_RSRC2:TRAP_HANDLER: 0
; COMPUTE_PGM_RSRC2:TGID_X_EN: 1
; COMPUTE_PGM_RSRC2:TGID_Y_EN: 1
; COMPUTE_PGM_RSRC2:TGID_Z_EN: 0
; COMPUTE_PGM_RSRC2:TIDIG_COMP_CNT: 1
	.section	.text._ZN2at6native12_GLOBAL__N_135GammaBetaBackwardCUDAKernelTemplateIffLj32ELj8ELj64ELb0ELb1ELb1EEEvllPKT_S5_PKT0_S8_PS3_S9_,"axG",@progbits,_ZN2at6native12_GLOBAL__N_135GammaBetaBackwardCUDAKernelTemplateIffLj32ELj8ELj64ELb0ELb1ELb1EEEvllPKT_S5_PKT0_S8_PS3_S9_,comdat
	.globl	_ZN2at6native12_GLOBAL__N_135GammaBetaBackwardCUDAKernelTemplateIffLj32ELj8ELj64ELb0ELb1ELb1EEEvllPKT_S5_PKT0_S8_PS3_S9_ ; -- Begin function _ZN2at6native12_GLOBAL__N_135GammaBetaBackwardCUDAKernelTemplateIffLj32ELj8ELj64ELb0ELb1ELb1EEEvllPKT_S5_PKT0_S8_PS3_S9_
	.p2align	8
	.type	_ZN2at6native12_GLOBAL__N_135GammaBetaBackwardCUDAKernelTemplateIffLj32ELj8ELj64ELb0ELb1ELb1EEEvllPKT_S5_PKT0_S8_PS3_S9_,@function
_ZN2at6native12_GLOBAL__N_135GammaBetaBackwardCUDAKernelTemplateIffLj32ELj8ELj64ELb0ELb1ELb1EEEvllPKT_S5_PKT0_S8_PS3_S9_: ; @_ZN2at6native12_GLOBAL__N_135GammaBetaBackwardCUDAKernelTemplateIffLj32ELj8ELj64ELb0ELb1ELb1EEEvllPKT_S5_PKT0_S8_PS3_S9_
; %bb.0:
	s_load_b128 s[4:7], s[0:1], 0x0
	s_lshl_b32 s12, ttmp7, 6
	s_mov_b32 s13, 0
	v_bfe_u32 v7, v0, 10, 10
	s_wait_kmcnt 0x0
	v_cmp_gt_i64_e64 s2, s[4:5], s[12:13]
	s_and_b32 vcc_lo, exec_lo, s2
	s_cbranch_vccnz .LBB156_2
; %bb.1:
	v_bfe_u32 v1, v0, 10, 10
	s_mov_b32 s2, s13
	v_and_b32_e32 v6, 0x3ff, v0
	v_mov_b32_e32 v12, 0
	s_and_not1_b32 vcc_lo, exec_lo, s2
	s_cbranch_vccz .LBB156_3
	s_branch .LBB156_10
.LBB156_2:
                                        ; implicit-def: $vgpr1
	v_and_b32_e32 v6, 0x3ff, v0
	v_mov_b32_e32 v12, 0
.LBB156_3:
	s_load_b32 s2, s[0:1], 0x4c
	v_dual_mov_b32 v1, 0 :: v_dual_lshlrev_b32 v0, 3, v7
	s_clause 0x2
	s_load_b32 s3, s[0:1], 0x44
	s_load_b128 s[8:11], s[0:1], 0x10
	s_load_b64 s[16:17], s[0:1], 0x28
	s_mov_b32 s15, 0
	v_dual_mov_b32 v8, 8 :: v_dual_mov_b32 v9, 4
	v_add_co_u32 v2, s14, v0, s12
	s_delay_alu instid0(VALU_DEP_1) | instskip(SKIP_1) | instid1(VALU_DEP_3)
	v_add_co_ci_u32_e64 v3, null, 0, 0, s14
	v_lshl_add_u32 v0, ttmp9, 5, v6
	v_mul_lo_u32 v12, s7, v2
	v_mad_co_u64_u32 v[4:5], null, s6, v2, 0
	s_delay_alu instid0(VALU_DEP_4) | instskip(NEXT) | instid1(VALU_DEP_4)
	v_mul_lo_u32 v14, s6, v3
	v_lshlrev_b64_e32 v[15:16], 2, v[0:1]
	v_dual_mov_b32 v10, 12 :: v_dual_mov_b32 v11, 16
	v_mov_b32_e32 v0, 24
	s_wait_kmcnt 0x0
	s_and_b32 s2, s2, 0xffff
	s_lshl_b32 s14, s3, 6
	v_mad_u32_u24 v13, v7, s2, v6
	v_add3_u32 v5, v5, v14, v12
	v_mov_b32_e32 v14, 28
	v_mov_b32_e32 v12, 0
	s_wait_alu 0xfffe
	s_mul_u64 s[18:19], s[6:7], s[14:15]
	v_and_b32_e32 v19, 31, v13
	v_lshlrev_b64_e32 v[4:5], 2, v[4:5]
	v_mov_b32_e32 v13, 20
	s_lshl_b64 s[18:19], s[18:19], 2
	s_lshl_b64 s[6:7], s[6:7], 2
	v_add_co_u32 v2, vcc_lo, v2, v19
	s_delay_alu instid0(VALU_DEP_1) | instskip(SKIP_3) | instid1(VALU_DEP_3)
	v_add_co_ci_u32_e64 v3, null, 0, v3, vcc_lo
	v_add_co_u32 v15, vcc_lo, v4, v15
	s_wait_alu 0xfffd
	v_add_co_ci_u32_e64 v16, null, v5, v16, vcc_lo
	v_lshlrev_b64_e32 v[17:18], 2, v[2:3]
	v_cmp_gt_u32_e64 s2, 8, v19
	s_delay_alu instid0(VALU_DEP_2) | instskip(SKIP_1) | instid1(VALU_DEP_3)
	v_add_co_u32 v4, vcc_lo, s16, v17
	s_wait_alu 0xfffd
	v_add_co_ci_u32_e64 v5, null, s17, v18, vcc_lo
	s_lshl_b64 s[16:17], s[14:15], 2
	s_branch .LBB156_6
.LBB156_4:                              ;   in Loop: Header=BB156_6 Depth=1
	s_or_b32 exec_lo, exec_lo, s20
.LBB156_5:                              ;   in Loop: Header=BB156_6 Depth=1
	s_wait_alu 0xfffe
	s_or_b32 exec_lo, exec_lo, s3
	v_add_co_u32 v18, vcc_lo, s8, v15
	s_wait_alu 0xfffd
	v_add_co_ci_u32_e64 v19, null, s9, v16, vcc_lo
	v_add_co_u32 v20, vcc_lo, s10, v15
	s_wait_alu 0xfffd
	v_add_co_ci_u32_e64 v21, null, s11, v16, vcc_lo
	v_add_co_u32 v22, vcc_lo, v18, s6
	s_wait_alu 0xfffd
	v_add_co_ci_u32_e64 v23, null, s7, v19, vcc_lo
	v_add_co_u32 v24, vcc_lo, v20, s6
	s_wait_alu 0xfffd
	v_add_co_ci_u32_e64 v25, null, s7, v21, vcc_lo
	v_add_co_u32 v26, vcc_lo, v22, s6
	s_wait_alu 0xfffd
	v_add_co_ci_u32_e64 v27, null, s7, v23, vcc_lo
	global_load_b32 v28, v[18:19], off
	global_load_b32 v29, v[20:21], off
	;; [unrolled: 1-line block ×5, first 2 shown]
	v_add_co_u32 v18, vcc_lo, v24, s6
	s_wait_alu 0xfffd
	v_add_co_ci_u32_e64 v19, null, s7, v25, vcc_lo
	v_add_co_u32 v20, vcc_lo, v26, s6
	s_wait_alu 0xfffd
	v_add_co_ci_u32_e64 v21, null, s7, v27, vcc_lo
	;; [unrolled: 3-line block ×5, first 2 shown]
	global_load_b32 v33, v[18:19], off
	global_load_b32 v34, v[20:21], off
	;; [unrolled: 1-line block ×5, first 2 shown]
	v_add_co_u32 v18, vcc_lo, v24, s6
	s_wait_alu 0xfffd
	v_add_co_ci_u32_e64 v19, null, s7, v25, vcc_lo
	v_add_co_u32 v20, vcc_lo, v26, s6
	s_wait_alu 0xfffd
	v_add_co_ci_u32_e64 v21, null, s7, v27, vcc_lo
	;; [unrolled: 3-line block ×4, first 2 shown]
	global_load_b32 v26, v[18:19], off
	global_load_b32 v27, v[20:21], off
	;; [unrolled: 1-line block ×4, first 2 shown]
	v_add_co_u32 v18, vcc_lo, v22, s6
	s_wait_alu 0xfffd
	v_add_co_ci_u32_e64 v19, null, s7, v23, vcc_lo
	v_add_co_u32 v20, vcc_lo, v24, s6
	s_wait_alu 0xfffd
	v_add_co_ci_u32_e64 v21, null, s7, v25, vcc_lo
	global_load_b32 v18, v[18:19], off
	global_load_b32 v19, v[20:21], off
	s_wait_loadcnt 0x10
	ds_bpermute_b32 v20, v1, v17
	ds_bpermute_b32 v21, v9, v17
	;; [unrolled: 1-line block ×4, first 2 shown]
	v_add_co_u32 v4, vcc_lo, v4, s16
	s_add_nc_u64 s[12:13], s[12:13], s[14:15]
	s_wait_alu 0xfffd
	v_add_co_ci_u32_e64 v5, null, s17, v5, vcc_lo
	v_add_co_u32 v2, vcc_lo, v2, s14
	s_wait_alu 0xfffe
	v_cmp_lt_i64_e64 s3, s[12:13], s[4:5]
	s_wait_alu 0xfffd
	v_add_co_ci_u32_e64 v3, null, 0, v3, vcc_lo
	v_add_co_u32 v15, vcc_lo, v15, s18
	s_wait_alu 0xfffd
	v_add_co_ci_u32_e64 v16, null, s19, v16, vcc_lo
	s_and_b32 vcc_lo, exec_lo, s3
	s_wait_loadcnt 0xe
	v_mul_f32_e32 v23, v28, v29
	s_wait_dscnt 0x3
	s_delay_alu instid0(VALU_DEP_1)
	v_fmac_f32_e32 v12, v23, v20
	s_wait_loadcnt 0xc
	v_mul_f32_e32 v20, v30, v31
	ds_bpermute_b32 v23, v11, v17
	s_wait_dscnt 0x3
	v_fmac_f32_e32 v12, v20, v21
	ds_bpermute_b32 v21, v13, v17
	s_wait_loadcnt 0xa
	v_mul_f32_e32 v20, v32, v33
	s_wait_dscnt 0x3
	s_delay_alu instid0(VALU_DEP_1)
	v_fmac_f32_e32 v12, v20, v22
	s_wait_loadcnt 0x8
	v_mul_f32_e32 v20, v34, v35
	ds_bpermute_b32 v22, v0, v17
	ds_bpermute_b32 v17, v14, v17
	s_wait_dscnt 0x4
	v_fmac_f32_e32 v12, v20, v24
	s_wait_loadcnt 0x6
	v_mul_f32_e32 v20, v36, v37
	s_wait_dscnt 0x3
	s_delay_alu instid0(VALU_DEP_1) | instskip(SKIP_3) | instid1(VALU_DEP_1)
	v_fmac_f32_e32 v12, v20, v23
	s_wait_loadcnt 0x4
	v_mul_f32_e32 v20, v26, v27
	s_wait_dscnt 0x2
	v_fmac_f32_e32 v12, v20, v21
	s_wait_loadcnt 0x2
	v_mul_f32_e32 v20, v38, v39
	s_wait_dscnt 0x1
	s_delay_alu instid0(VALU_DEP_1) | instskip(SKIP_3) | instid1(VALU_DEP_1)
	v_fmac_f32_e32 v12, v20, v22
	s_wait_loadcnt 0x0
	v_mul_f32_e32 v18, v18, v19
	s_wait_dscnt 0x0
	v_fmac_f32_e32 v12, v18, v17
	s_wait_alu 0xfffe
	s_cbranch_vccz .LBB156_9
.LBB156_6:                              ; =>This Inner Loop Header: Depth=1
	v_mov_b32_e32 v17, 0
	s_and_saveexec_b32 s3, s2
	s_cbranch_execz .LBB156_5
; %bb.7:                                ;   in Loop: Header=BB156_6 Depth=1
	v_mov_b32_e32 v17, 0
	s_mov_b32 s20, exec_lo
	v_cmpx_gt_i64_e64 s[4:5], v[2:3]
	s_cbranch_execz .LBB156_4
; %bb.8:                                ;   in Loop: Header=BB156_6 Depth=1
	global_load_b32 v17, v[4:5], off
	s_branch .LBB156_4
.LBB156_9:
	v_mov_b32_e32 v1, v7
.LBB156_10:
	s_load_b64 s[2:3], s[0:1], 0x30
	s_delay_alu instid0(VALU_DEP_1) | instskip(SKIP_3) | instid1(VALU_DEP_3)
	v_mad_u32_u24 v0, v1, 33, v6
	v_lshrrev_b32_e32 v2, 5, v6
	v_mov_b32_e32 v4, 0
	s_mov_b32 s0, exec_lo
	v_lshl_add_u32 v3, v0, 2, 0
	s_delay_alu instid0(VALU_DEP_3)
	v_add_nc_u32_e32 v0, v2, v1
	ds_store_b32 v3, v12
	ds_store_b32 v3, v4 offset:1056
	s_wait_dscnt 0x0
	s_barrier_signal -1
	s_barrier_wait -1
	global_inv scope:SCOPE_SE
	v_cmpx_gt_u32_e32 32, v0
	s_cbranch_execz .LBB156_30
; %bb.11:
	v_and_b32_e32 v1, 31, v6
	s_delay_alu instid0(VALU_DEP_1)
	v_cmp_gt_u32_e32 vcc_lo, 8, v1
	v_mul_u32_u24_e32 v2, 33, v1
                                        ; implicit-def: $vgpr1
	s_and_saveexec_b32 s0, vcc_lo
	s_cbranch_execz .LBB156_13
; %bb.12:
	v_lshlrev_b32_e32 v1, 2, v0
	s_delay_alu instid0(VALU_DEP_2) | instskip(NEXT) | instid1(VALU_DEP_1)
	v_lshlrev_b32_e32 v3, 2, v2
	v_add3_u32 v1, 0, v1, v3
	ds_load_b32 v1, v1
.LBB156_13:
	s_wait_alu 0xfffe
	s_or_b32 exec_lo, exec_lo, s0
	v_mbcnt_lo_u32_b32 v5, -1, 0
	s_mov_b32 s4, ttmp9
	s_wait_kmcnt 0x0
	s_cmp_lg_u64 s[2:3], 0
	s_mov_b32 s5, 0
	s_cselect_b32 s1, -1, 0
	v_xor_b32_e32 v3, 4, v5
	v_xor_b32_e32 v4, 2, v5
	;; [unrolled: 1-line block ×3, first 2 shown]
	s_wait_alu 0xfffe
	s_lshl_b64 s[4:5], s[4:5], 7
	s_wait_alu 0xfffe
	s_add_nc_u64 s[2:3], s[2:3], s[4:5]
	v_cmp_gt_i32_e64 s0, 32, v3
	s_wait_alu 0xf1ff
	s_delay_alu instid0(VALU_DEP_1) | instskip(SKIP_1) | instid1(VALU_DEP_2)
	v_cndmask_b32_e64 v3, v5, v3, s0
	v_cmp_gt_i32_e64 s0, 32, v4
	v_lshlrev_b32_e32 v3, 2, v3
	s_wait_alu 0xf1ff
	s_delay_alu instid0(VALU_DEP_2)
	v_cndmask_b32_e64 v4, v5, v4, s0
	v_cmp_gt_i32_e64 s0, 32, v8
	s_wait_dscnt 0x0
	ds_bpermute_b32 v7, v3, v1
	v_lshlrev_b32_e32 v4, 2, v4
	s_wait_alu 0xf1ff
	v_cndmask_b32_e64 v5, v5, v8, s0
	v_cmp_eq_u32_e64 s0, 0, v6
	s_and_b32 s1, s0, s1
	s_wait_dscnt 0x0
	v_add_f32_e32 v1, v1, v7
	ds_bpermute_b32 v7, v4, v1
	s_wait_dscnt 0x0
	v_add_f32_e32 v1, v1, v7
	v_lshlrev_b32_e32 v5, 2, v5
	ds_bpermute_b32 v7, v5, v1
	s_wait_dscnt 0x0
	v_add_f32_e32 v6, v1, v7
	s_wait_alu 0xfffe
	s_and_saveexec_b32 s4, s1
	s_cbranch_execz .LBB156_15
; %bb.14:
	v_mov_b32_e32 v1, 0
	s_delay_alu instid0(VALU_DEP_1) | instskip(NEXT) | instid1(VALU_DEP_1)
	v_lshlrev_b64_e32 v[7:8], 2, v[0:1]
	v_add_co_u32 v7, s0, s2, v7
	s_wait_alu 0xf1ff
	s_delay_alu instid0(VALU_DEP_2)
	v_add_co_ci_u32_e64 v8, null, s3, v8, s0
	global_store_b32 v[7:8], v6, off
.LBB156_15:
	s_wait_alu 0xfffe
	s_or_b32 exec_lo, exec_lo, s4
	v_cmp_gt_u32_e64 s0, 24, v0
	s_and_b32 exec_lo, exec_lo, s0
	s_cbranch_execz .LBB156_30
; %bb.16:
	s_and_saveexec_b32 s0, vcc_lo
	s_cbranch_execz .LBB156_18
; %bb.17:
	v_lshlrev_b32_e32 v1, 2, v0
	v_lshlrev_b32_e32 v6, 2, v2
	s_delay_alu instid0(VALU_DEP_1)
	v_add3_u32 v1, 0, v1, v6
	ds_load_b32 v6, v1 offset:32
.LBB156_18:
	s_wait_alu 0xfffe
	s_or_b32 exec_lo, exec_lo, s0
	s_wait_dscnt 0x0
	ds_bpermute_b32 v1, v3, v6
	s_wait_dscnt 0x0
	v_add_f32_e32 v1, v6, v1
	ds_bpermute_b32 v6, v4, v1
	s_wait_dscnt 0x0
	v_add_f32_e32 v1, v1, v6
	;; [unrolled: 3-line block ×3, first 2 shown]
	s_and_saveexec_b32 s4, s1
	s_cbranch_execz .LBB156_20
; %bb.19:
	v_mov_b32_e32 v1, 0
	s_delay_alu instid0(VALU_DEP_1) | instskip(NEXT) | instid1(VALU_DEP_1)
	v_lshlrev_b64_e32 v[7:8], 2, v[0:1]
	v_add_co_u32 v7, s0, s2, v7
	s_wait_alu 0xf1ff
	s_delay_alu instid0(VALU_DEP_2)
	v_add_co_ci_u32_e64 v8, null, s3, v8, s0
	global_store_b32 v[7:8], v6, off offset:32
.LBB156_20:
	s_wait_alu 0xfffe
	s_or_b32 exec_lo, exec_lo, s4
	v_cmp_gt_u32_e64 s0, 16, v0
	s_and_b32 exec_lo, exec_lo, s0
	s_cbranch_execz .LBB156_30
; %bb.21:
	s_and_saveexec_b32 s0, vcc_lo
	s_cbranch_execz .LBB156_23
; %bb.22:
	v_lshlrev_b32_e32 v1, 2, v0
	v_lshlrev_b32_e32 v6, 2, v2
	s_delay_alu instid0(VALU_DEP_1)
	v_add3_u32 v1, 0, v1, v6
	ds_load_b32 v6, v1 offset:64
.LBB156_23:
	s_wait_alu 0xfffe
	s_or_b32 exec_lo, exec_lo, s0
	s_wait_dscnt 0x0
	ds_bpermute_b32 v1, v3, v6
	s_wait_dscnt 0x0
	v_add_f32_e32 v1, v6, v1
	ds_bpermute_b32 v6, v4, v1
	s_wait_dscnt 0x0
	v_add_f32_e32 v1, v1, v6
	;; [unrolled: 3-line block ×3, first 2 shown]
	s_and_saveexec_b32 s4, s1
	s_cbranch_execz .LBB156_25
; %bb.24:
	v_mov_b32_e32 v1, 0
	s_delay_alu instid0(VALU_DEP_1) | instskip(NEXT) | instid1(VALU_DEP_1)
	v_lshlrev_b64_e32 v[7:8], 2, v[0:1]
	v_add_co_u32 v7, s0, s2, v7
	s_wait_alu 0xf1ff
	s_delay_alu instid0(VALU_DEP_2)
	v_add_co_ci_u32_e64 v8, null, s3, v8, s0
	global_store_b32 v[7:8], v6, off offset:64
.LBB156_25:
	s_wait_alu 0xfffe
	s_or_b32 exec_lo, exec_lo, s4
	v_cmp_gt_u32_e64 s0, 8, v0
	s_and_b32 exec_lo, exec_lo, s0
	s_cbranch_execz .LBB156_30
; %bb.26:
	s_and_saveexec_b32 s0, vcc_lo
	s_cbranch_execz .LBB156_28
; %bb.27:
	v_lshlrev_b32_e32 v1, 2, v0
	v_lshlrev_b32_e32 v2, 2, v2
	s_delay_alu instid0(VALU_DEP_1)
	v_add3_u32 v1, 0, v1, v2
	ds_load_b32 v6, v1 offset:96
.LBB156_28:
	s_wait_alu 0xfffe
	s_or_b32 exec_lo, exec_lo, s0
	s_wait_dscnt 0x0
	ds_bpermute_b32 v1, v3, v6
	s_wait_dscnt 0x0
	v_add_f32_e32 v1, v6, v1
	ds_bpermute_b32 v2, v4, v1
	s_wait_dscnt 0x0
	v_add_f32_e32 v2, v1, v2
	ds_bpermute_b32 v3, v5, v2
	s_and_saveexec_b32 s0, s1
	s_wait_alu 0xfffe
	s_xor_b32 s0, exec_lo, s0
	s_cbranch_execz .LBB156_30
; %bb.29:
	s_wait_dscnt 0x0
	v_dual_mov_b32 v1, 0 :: v_dual_add_f32 v2, v2, v3
	s_delay_alu instid0(VALU_DEP_1) | instskip(NEXT) | instid1(VALU_DEP_1)
	v_lshlrev_b64_e32 v[0:1], 2, v[0:1]
	v_add_co_u32 v0, vcc_lo, s2, v0
	s_wait_alu 0xfffd
	s_delay_alu instid0(VALU_DEP_2)
	v_add_co_ci_u32_e64 v1, null, s3, v1, vcc_lo
	global_store_b32 v[0:1], v2, off offset:96
.LBB156_30:
	s_endpgm
	.section	.rodata,"a",@progbits
	.p2align	6, 0x0
	.amdhsa_kernel _ZN2at6native12_GLOBAL__N_135GammaBetaBackwardCUDAKernelTemplateIffLj32ELj8ELj64ELb0ELb1ELb1EEEvllPKT_S5_PKT0_S8_PS3_S9_
		.amdhsa_group_segment_fixed_size 0
		.amdhsa_private_segment_fixed_size 0
		.amdhsa_kernarg_size 320
		.amdhsa_user_sgpr_count 2
		.amdhsa_user_sgpr_dispatch_ptr 0
		.amdhsa_user_sgpr_queue_ptr 0
		.amdhsa_user_sgpr_kernarg_segment_ptr 1
		.amdhsa_user_sgpr_dispatch_id 0
		.amdhsa_user_sgpr_private_segment_size 0
		.amdhsa_wavefront_size32 1
		.amdhsa_uses_dynamic_stack 0
		.amdhsa_enable_private_segment 0
		.amdhsa_system_sgpr_workgroup_id_x 1
		.amdhsa_system_sgpr_workgroup_id_y 1
		.amdhsa_system_sgpr_workgroup_id_z 0
		.amdhsa_system_sgpr_workgroup_info 0
		.amdhsa_system_vgpr_workitem_id 1
		.amdhsa_next_free_vgpr 40
		.amdhsa_next_free_sgpr 21
		.amdhsa_reserve_vcc 1
		.amdhsa_float_round_mode_32 0
		.amdhsa_float_round_mode_16_64 0
		.amdhsa_float_denorm_mode_32 3
		.amdhsa_float_denorm_mode_16_64 3
		.amdhsa_fp16_overflow 0
		.amdhsa_workgroup_processor_mode 1
		.amdhsa_memory_ordered 1
		.amdhsa_forward_progress 1
		.amdhsa_inst_pref_size 18
		.amdhsa_round_robin_scheduling 0
		.amdhsa_exception_fp_ieee_invalid_op 0
		.amdhsa_exception_fp_denorm_src 0
		.amdhsa_exception_fp_ieee_div_zero 0
		.amdhsa_exception_fp_ieee_overflow 0
		.amdhsa_exception_fp_ieee_underflow 0
		.amdhsa_exception_fp_ieee_inexact 0
		.amdhsa_exception_int_div_zero 0
	.end_amdhsa_kernel
	.section	.text._ZN2at6native12_GLOBAL__N_135GammaBetaBackwardCUDAKernelTemplateIffLj32ELj8ELj64ELb0ELb1ELb1EEEvllPKT_S5_PKT0_S8_PS3_S9_,"axG",@progbits,_ZN2at6native12_GLOBAL__N_135GammaBetaBackwardCUDAKernelTemplateIffLj32ELj8ELj64ELb0ELb1ELb1EEEvllPKT_S5_PKT0_S8_PS3_S9_,comdat
.Lfunc_end156:
	.size	_ZN2at6native12_GLOBAL__N_135GammaBetaBackwardCUDAKernelTemplateIffLj32ELj8ELj64ELb0ELb1ELb1EEEvllPKT_S5_PKT0_S8_PS3_S9_, .Lfunc_end156-_ZN2at6native12_GLOBAL__N_135GammaBetaBackwardCUDAKernelTemplateIffLj32ELj8ELj64ELb0ELb1ELb1EEEvllPKT_S5_PKT0_S8_PS3_S9_
                                        ; -- End function
	.set _ZN2at6native12_GLOBAL__N_135GammaBetaBackwardCUDAKernelTemplateIffLj32ELj8ELj64ELb0ELb1ELb1EEEvllPKT_S5_PKT0_S8_PS3_S9_.num_vgpr, 40
	.set _ZN2at6native12_GLOBAL__N_135GammaBetaBackwardCUDAKernelTemplateIffLj32ELj8ELj64ELb0ELb1ELb1EEEvllPKT_S5_PKT0_S8_PS3_S9_.num_agpr, 0
	.set _ZN2at6native12_GLOBAL__N_135GammaBetaBackwardCUDAKernelTemplateIffLj32ELj8ELj64ELb0ELb1ELb1EEEvllPKT_S5_PKT0_S8_PS3_S9_.numbered_sgpr, 21
	.set _ZN2at6native12_GLOBAL__N_135GammaBetaBackwardCUDAKernelTemplateIffLj32ELj8ELj64ELb0ELb1ELb1EEEvllPKT_S5_PKT0_S8_PS3_S9_.num_named_barrier, 0
	.set _ZN2at6native12_GLOBAL__N_135GammaBetaBackwardCUDAKernelTemplateIffLj32ELj8ELj64ELb0ELb1ELb1EEEvllPKT_S5_PKT0_S8_PS3_S9_.private_seg_size, 0
	.set _ZN2at6native12_GLOBAL__N_135GammaBetaBackwardCUDAKernelTemplateIffLj32ELj8ELj64ELb0ELb1ELb1EEEvllPKT_S5_PKT0_S8_PS3_S9_.uses_vcc, 1
	.set _ZN2at6native12_GLOBAL__N_135GammaBetaBackwardCUDAKernelTemplateIffLj32ELj8ELj64ELb0ELb1ELb1EEEvllPKT_S5_PKT0_S8_PS3_S9_.uses_flat_scratch, 0
	.set _ZN2at6native12_GLOBAL__N_135GammaBetaBackwardCUDAKernelTemplateIffLj32ELj8ELj64ELb0ELb1ELb1EEEvllPKT_S5_PKT0_S8_PS3_S9_.has_dyn_sized_stack, 0
	.set _ZN2at6native12_GLOBAL__N_135GammaBetaBackwardCUDAKernelTemplateIffLj32ELj8ELj64ELb0ELb1ELb1EEEvllPKT_S5_PKT0_S8_PS3_S9_.has_recursion, 0
	.set _ZN2at6native12_GLOBAL__N_135GammaBetaBackwardCUDAKernelTemplateIffLj32ELj8ELj64ELb0ELb1ELb1EEEvllPKT_S5_PKT0_S8_PS3_S9_.has_indirect_call, 0
	.section	.AMDGPU.csdata,"",@progbits
; Kernel info:
; codeLenInByte = 2204
; TotalNumSgprs: 23
; NumVgprs: 40
; ScratchSize: 0
; MemoryBound: 0
; FloatMode: 240
; IeeeMode: 1
; LDSByteSize: 0 bytes/workgroup (compile time only)
; SGPRBlocks: 0
; VGPRBlocks: 4
; NumSGPRsForWavesPerEU: 23
; NumVGPRsForWavesPerEU: 40
; Occupancy: 16
; WaveLimiterHint : 0
; COMPUTE_PGM_RSRC2:SCRATCH_EN: 0
; COMPUTE_PGM_RSRC2:USER_SGPR: 2
; COMPUTE_PGM_RSRC2:TRAP_HANDLER: 0
; COMPUTE_PGM_RSRC2:TGID_X_EN: 1
; COMPUTE_PGM_RSRC2:TGID_Y_EN: 1
; COMPUTE_PGM_RSRC2:TGID_Z_EN: 0
; COMPUTE_PGM_RSRC2:TIDIG_COMP_CNT: 1
	.section	.text._ZN2at6native12_GLOBAL__N_135GammaBetaBackwardCUDAKernelTemplateIffLj32ELj8ELj64ELb0ELb0ELb1EEEvllPKT_S5_PKT0_S8_PS3_S9_,"axG",@progbits,_ZN2at6native12_GLOBAL__N_135GammaBetaBackwardCUDAKernelTemplateIffLj32ELj8ELj64ELb0ELb0ELb1EEEvllPKT_S5_PKT0_S8_PS3_S9_,comdat
	.globl	_ZN2at6native12_GLOBAL__N_135GammaBetaBackwardCUDAKernelTemplateIffLj32ELj8ELj64ELb0ELb0ELb1EEEvllPKT_S5_PKT0_S8_PS3_S9_ ; -- Begin function _ZN2at6native12_GLOBAL__N_135GammaBetaBackwardCUDAKernelTemplateIffLj32ELj8ELj64ELb0ELb0ELb1EEEvllPKT_S5_PKT0_S8_PS3_S9_
	.p2align	8
	.type	_ZN2at6native12_GLOBAL__N_135GammaBetaBackwardCUDAKernelTemplateIffLj32ELj8ELj64ELb0ELb0ELb1EEEvllPKT_S5_PKT0_S8_PS3_S9_,@function
_ZN2at6native12_GLOBAL__N_135GammaBetaBackwardCUDAKernelTemplateIffLj32ELj8ELj64ELb0ELb0ELb1EEEvllPKT_S5_PKT0_S8_PS3_S9_: ; @_ZN2at6native12_GLOBAL__N_135GammaBetaBackwardCUDAKernelTemplateIffLj32ELj8ELj64ELb0ELb0ELb1EEEvllPKT_S5_PKT0_S8_PS3_S9_
; %bb.0:
	s_clause 0x1
	s_load_b256 s[4:11], s[0:1], 0x0
	s_load_b64 s[12:13], s[0:1], 0x28
	s_lshl_b32 s28, ttmp9, 5
	s_mov_b32 s15, 0
	s_or_b32 s14, s28, 31
	s_wait_kmcnt 0x0
	v_cmp_le_i64_e64 s2, s[6:7], s[14:15]
	s_lshl_b32 s14, ttmp7, 6
	s_wait_alu 0xfffe
	v_cmp_gt_i64_e64 s29, s[4:5], s[14:15]
	s_and_b32 vcc_lo, exec_lo, s2
	v_cndmask_b32_e64 v1, 0, 1, s29
	s_delay_alu instid0(VALU_DEP_1)
	v_cmp_ne_u32_e64 s2, 1, v1
	s_cbranch_vccz .LBB157_49
; %bb.1:
	v_mov_b32_e32 v86, 0
	s_and_b32 vcc_lo, exec_lo, s2
	s_cbranch_vccnz .LBB157_50
; %bb.2:
	v_bfe_u32 v20, v0, 10, 10
	v_dual_mov_b32 v1, 0 :: v_dual_and_b32 v22, 0x3ff, v0
	s_load_b32 s3, s[0:1], 0x44
	s_mov_b32 s17, 0
	s_delay_alu instid0(VALU_DEP_2) | instskip(NEXT) | instid1(VALU_DEP_2)
	v_lshlrev_b32_e32 v21, 3, v20
	v_dual_mov_b32 v3, v1 :: v_dual_add_nc_u32 v2, s28, v22
	s_mov_b32 s21, s17
	v_mov_b32_e32 v55, 0
	s_delay_alu instid0(VALU_DEP_3) | instskip(NEXT) | instid1(VALU_DEP_1)
	v_add_co_u32 v10, s2, v21, s14
	v_add_co_ci_u32_e64 v11, null, 0, 0, s2
	v_cmp_gt_i64_e64 s2, s[6:7], v[2:3]
	s_delay_alu instid0(VALU_DEP_3) | instskip(SKIP_1) | instid1(VALU_DEP_4)
	v_mul_lo_u32 v6, s7, v10
	v_mad_co_u64_u32 v[4:5], null, s6, v10, 0
	v_mul_lo_u32 v7, s6, v11
	v_add_co_u32 v8, vcc_lo, v10, 7
	s_delay_alu instid0(VALU_DEP_1) | instskip(SKIP_1) | instid1(VALU_DEP_3)
	v_add_co_ci_u32_e64 v9, null, 0, v11, vcc_lo
	v_lshlrev_b64_e32 v[18:19], 2, v[2:3]
	v_mul_lo_u32 v12, s7, v8
	s_wait_kmcnt 0x0
	s_lshl_b32 s20, s3, 6
	v_add3_u32 v5, v5, v7, v6
	v_mad_co_u64_u32 v[6:7], null, s6, v8, 0
	v_add_co_u32 v8, vcc_lo, v10, 6
	v_mul_lo_u32 v13, s6, v9
	s_wait_alu 0xfffd
	v_add_co_ci_u32_e64 v9, null, 0, v11, vcc_lo
	v_lshlrev_b64_e32 v[2:3], 2, v[4:5]
	v_mul_lo_u32 v14, s7, v8
	s_mul_u64 s[22:23], s[6:7], s[20:21]
	s_delay_alu instid0(VALU_DEP_3) | instskip(SKIP_1) | instid1(VALU_DEP_4)
	v_mul_lo_u32 v15, s6, v9
	v_mad_co_u64_u32 v[8:9], null, s6, v8, 0
	v_add_co_u32 v23, vcc_lo, s8, v2
	s_wait_alu 0xfffd
	v_add_co_ci_u32_e64 v24, null, s9, v3, vcc_lo
	v_add_co_u32 v25, vcc_lo, s10, v2
	v_add3_u32 v7, v7, v13, v12
	s_wait_alu 0xfffd
	v_add_co_ci_u32_e64 v26, null, s11, v3, vcc_lo
	v_add_co_u32 v12, vcc_lo, v10, 5
	v_add3_u32 v9, v9, v15, v14
	s_wait_alu 0xfffd
	v_add_co_ci_u32_e64 v13, null, 0, v11, vcc_lo
	v_lshlrev_b64_e32 v[2:3], 2, v[6:7]
	v_mul_lo_u32 v14, s7, v12
	v_lshlrev_b64_e32 v[6:7], 2, v[8:9]
	s_delay_alu instid0(VALU_DEP_4)
	v_mul_lo_u32 v13, s6, v13
	v_mad_co_u64_u32 v[8:9], null, s6, v12, 0
	v_add_co_u32 v27, vcc_lo, s8, v2
	s_wait_alu 0xfffd
	v_add_co_ci_u32_e64 v28, null, s9, v3, vcc_lo
	v_add_co_u32 v29, vcc_lo, s10, v2
	s_wait_alu 0xfffd
	v_add_co_ci_u32_e64 v30, null, s11, v3, vcc_lo
	v_add_co_u32 v31, vcc_lo, s8, v6
	v_add3_u32 v9, v9, v13, v14
	s_wait_alu 0xfffd
	v_add_co_ci_u32_e64 v32, null, s9, v7, vcc_lo
	v_add_co_u32 v12, vcc_lo, v10, 4
	v_add_co_u32 v33, s3, s10, v6
	s_wait_alu 0xfffd
	v_add_co_ci_u32_e64 v6, null, 0, v11, vcc_lo
	v_lshlrev_b64_e32 v[2:3], 2, v[8:9]
	v_add_co_u32 v8, vcc_lo, v10, 3
	s_wait_alu 0xfffd
	v_add_co_ci_u32_e64 v9, null, 0, v11, vcc_lo
	s_wait_alu 0xf1ff
	v_add_co_ci_u32_e64 v34, null, s11, v7, s3
	v_mul_lo_u32 v13, s7, v12
	v_mul_lo_u32 v14, s6, v6
	v_mad_co_u64_u32 v[6:7], null, s6, v12, 0
	v_mul_lo_u32 v12, s7, v8
	v_mul_lo_u32 v15, s6, v9
	v_mad_co_u64_u32 v[8:9], null, s6, v8, 0
	v_add_co_u32 v35, vcc_lo, s8, v2
	s_wait_alu 0xfffd
	v_add_co_ci_u32_e64 v36, null, s9, v3, vcc_lo
	v_add3_u32 v7, v7, v14, v13
	v_add_co_u32 v37, vcc_lo, s10, v2
	s_wait_alu 0xfffd
	v_add_co_ci_u32_e64 v38, null, s11, v3, vcc_lo
	v_add_co_u32 v10, vcc_lo, v10, 2
	v_add3_u32 v9, v9, v15, v12
	s_wait_alu 0xfffd
	v_add_co_ci_u32_e64 v11, null, 0, v11, vcc_lo
	v_lshlrev_b64_e32 v[2:3], 2, v[6:7]
	v_mul_lo_u32 v12, s7, v10
	v_lshlrev_b64_e32 v[6:7], 2, v[8:9]
	s_delay_alu instid0(VALU_DEP_4)
	v_mul_lo_u32 v11, s6, v11
	v_mad_co_u64_u32 v[8:9], null, s6, v10, 0
	v_add_co_u32 v39, vcc_lo, s8, v2
	s_wait_alu 0xfffd
	v_add_co_ci_u32_e64 v40, null, s9, v3, vcc_lo
	v_add_co_u32 v41, vcc_lo, s10, v2
	s_wait_alu 0xfffd
	v_add_co_ci_u32_e64 v42, null, s11, v3, vcc_lo
	;; [unrolled: 3-line block ×3, first 2 shown]
	v_add3_u32 v9, v9, v11, v12
	v_add_co_u32 v45, vcc_lo, s10, v6
	s_wait_alu 0xfffd
	v_add_co_ci_u32_e64 v46, null, s11, v7, vcc_lo
	v_add_co_u32 v4, vcc_lo, v4, s6
	s_wait_alu 0xfffd
	v_add_co_ci_u32_e64 v5, null, s7, v5, vcc_lo
	v_lshlrev_b64_e32 v[2:3], 2, v[8:9]
	s_add_nc_u64 s[18:19], s[0:1], 64
	s_lshl_b64 s[22:23], s[22:23], 2
	s_delay_alu instid0(VALU_DEP_2)
	v_lshlrev_b64_e32 v[4:5], 2, v[4:5]
	s_add_nc_u64 s[24:25], s[14:15], 63
	s_mov_b64 s[26:27], s[14:15]
	v_add_co_u32 v47, vcc_lo, s8, v2
	s_wait_alu 0xfffd
	v_add_co_ci_u32_e64 v48, null, s9, v3, vcc_lo
	v_add_co_u32 v49, vcc_lo, s10, v2
	s_wait_alu 0xfffd
	v_add_co_ci_u32_e64 v50, null, s11, v3, vcc_lo
	;; [unrolled: 3-line block ×4, first 2 shown]
.LBB157_3:                              ; =>This Inner Loop Header: Depth=1
	v_cmp_ge_i64_e64 s3, s[24:25], s[4:5]
	v_add_co_u32 v56, s16, v21, s24
	s_wait_alu 0xf1ff
	v_add_co_ci_u32_e64 v57, null, 0, s25, s16
                                        ; implicit-def: $vgpr2_vgpr3_vgpr4_vgpr5_vgpr6_vgpr7_vgpr8_vgpr9
                                        ; implicit-def: $vgpr86
                                        ; implicit-def: $vgpr10_vgpr11_vgpr12_vgpr13_vgpr14_vgpr15_vgpr16_vgpr17
                                        ; implicit-def: $vgpr2
	s_and_b32 vcc_lo, exec_lo, s3
	s_mov_b32 s3, -1
	s_wait_alu 0xfffe
	s_cbranch_vccz .LBB157_25
; %bb.4:                                ;   in Loop: Header=BB157_3 Depth=1
	s_load_b32 s3, s[18:19], 0xc
	v_mov_b32_e32 v58, 0
	s_wait_kmcnt 0x0
	s_and_b32 s3, s3, 0xffff
	s_wait_alu 0xfffe
	v_mad_u32_u24 v2, v20, s3, v22
	s_mov_b32 s3, exec_lo
	s_delay_alu instid0(VALU_DEP_1) | instskip(NEXT) | instid1(VALU_DEP_1)
	v_and_b32_e32 v2, 31, v2
	v_cmpx_gt_u32_e32 8, v2
	s_cbranch_execz .LBB157_8
; %bb.5:                                ;   in Loop: Header=BB157_3 Depth=1
	v_add_co_u32 v2, vcc_lo, v56, v2
	s_wait_alu 0xfffd
	v_add_co_ci_u32_e64 v3, null, 0, v57, vcc_lo
	v_mov_b32_e32 v58, 0
	s_delay_alu instid0(VALU_DEP_3) | instskip(SKIP_1) | instid1(VALU_DEP_3)
	v_add_co_u32 v2, vcc_lo, 0xffffffc1, v2
	s_wait_alu 0xfffd
	v_add_co_ci_u32_e64 v3, null, -1, v3, vcc_lo
	s_mov_b32 s16, exec_lo
	v_cmpx_gt_i64_e64 s[4:5], v[2:3]
	s_cbranch_execz .LBB157_7
; %bb.6:                                ;   in Loop: Header=BB157_3 Depth=1
	v_lshlrev_b64_e32 v[2:3], 2, v[2:3]
	s_delay_alu instid0(VALU_DEP_1) | instskip(SKIP_1) | instid1(VALU_DEP_2)
	v_add_co_u32 v2, vcc_lo, s12, v2
	s_wait_alu 0xfffd
	v_add_co_ci_u32_e64 v3, null, s13, v3, vcc_lo
	global_load_b32 v58, v[2:3], off
.LBB157_7:                              ;   in Loop: Header=BB157_3 Depth=1
	s_wait_alu 0xfffe
	s_or_b32 exec_lo, exec_lo, s16
.LBB157_8:                              ;   in Loop: Header=BB157_3 Depth=1
	s_wait_alu 0xfffe
	s_or_b32 exec_lo, exec_lo, s3
	v_add_co_u32 v9, vcc_lo, 0xffffffc1, v56
	s_wait_alu 0xfffd
	v_add_co_ci_u32_e64 v10, null, -1, v57, vcc_lo
	v_mov_b32_e32 v8, v1
	v_dual_mov_b32 v2, v1 :: v_dual_mov_b32 v3, v1
	v_dual_mov_b32 v4, v1 :: v_dual_mov_b32 v5, v1
	;; [unrolled: 1-line block ×3, first 2 shown]
	v_cmp_gt_i64_e32 vcc_lo, s[4:5], v[9:10]
	s_delay_alu instid0(VALU_DEP_3) | instskip(NEXT) | instid1(VALU_DEP_3)
	v_dual_mov_b32 v17, v8 :: v_dual_mov_b32 v14, v5
	v_dual_mov_b32 v15, v6 :: v_dual_mov_b32 v16, v7
	;; [unrolled: 1-line block ×4, first 2 shown]
	v_mov_b32_e32 v9, v8
	v_mov_b32_e32 v8, v7
	;; [unrolled: 1-line block ×8, first 2 shown]
	s_and_b32 s16, s2, vcc_lo
	s_wait_alu 0xfffe
	s_and_saveexec_b32 s3, s16
	s_cbranch_execz .LBB157_10
; %bb.9:                                ;   in Loop: Header=BB157_3 Depth=1
	v_add_co_u32 v2, vcc_lo, v23, v18
	s_wait_alu 0xfffd
	v_add_co_ci_u32_e64 v3, null, v24, v19, vcc_lo
	v_add_co_u32 v4, vcc_lo, v25, v18
	s_wait_alu 0xfffd
	v_add_co_ci_u32_e64 v5, null, v26, v19, vcc_lo
	global_load_b32 v2, v[2:3], off
	global_load_b32 v10, v[4:5], off
	v_dual_mov_b32 v3, v1 :: v_dual_mov_b32 v4, v1
	v_dual_mov_b32 v5, v1 :: v_dual_mov_b32 v6, v1
	;; [unrolled: 1-line block ×6, first 2 shown]
	v_mov_b32_e32 v15, v1
	v_mov_b32_e32 v17, v1
.LBB157_10:                             ;   in Loop: Header=BB157_3 Depth=1
	s_wait_alu 0xfffe
	s_or_b32 exec_lo, exec_lo, s3
	v_add_co_u32 v59, vcc_lo, 0xffffffc2, v56
	s_wait_alu 0xfffd
	v_add_co_ci_u32_e64 v60, null, -1, v57, vcc_lo
	s_delay_alu instid0(VALU_DEP_1)
	v_cmp_gt_i64_e32 vcc_lo, s[4:5], v[59:60]
	s_and_b32 s16, s2, vcc_lo
	s_wait_alu 0xfffe
	s_and_saveexec_b32 s3, s16
	s_cbranch_execz .LBB157_12
; %bb.11:                               ;   in Loop: Header=BB157_3 Depth=1
	v_add_co_u32 v59, vcc_lo, v51, v18
	s_wait_alu 0xfffd
	v_add_co_ci_u32_e64 v60, null, v52, v19, vcc_lo
	v_add_co_u32 v61, vcc_lo, v53, v18
	s_wait_alu 0xfffd
	v_add_co_ci_u32_e64 v62, null, v54, v19, vcc_lo
	global_load_b32 v3, v[59:60], off
	global_load_b32 v11, v[61:62], off
.LBB157_12:                             ;   in Loop: Header=BB157_3 Depth=1
	s_wait_alu 0xfffe
	s_or_b32 exec_lo, exec_lo, s3
	v_add_co_u32 v59, vcc_lo, 0xffffffc3, v56
	s_wait_alu 0xfffd
	v_add_co_ci_u32_e64 v60, null, -1, v57, vcc_lo
	s_delay_alu instid0(VALU_DEP_1)
	v_cmp_gt_i64_e32 vcc_lo, s[4:5], v[59:60]
	s_and_b32 s16, s2, vcc_lo
	s_wait_alu 0xfffe
	s_and_saveexec_b32 s3, s16
	s_cbranch_execz .LBB157_14
; %bb.13:                               ;   in Loop: Header=BB157_3 Depth=1
	v_add_co_u32 v59, vcc_lo, v47, v18
	s_wait_alu 0xfffd
	v_add_co_ci_u32_e64 v60, null, v48, v19, vcc_lo
	v_add_co_u32 v61, vcc_lo, v49, v18
	s_wait_alu 0xfffd
	v_add_co_ci_u32_e64 v62, null, v50, v19, vcc_lo
	global_load_b32 v4, v[59:60], off
	global_load_b32 v12, v[61:62], off
.LBB157_14:                             ;   in Loop: Header=BB157_3 Depth=1
	;; [unrolled: 21-line block ×7, first 2 shown]
	s_wait_alu 0xfffe
	s_or_b32 exec_lo, exec_lo, s3
	s_wait_loadcnt 0x0
	ds_bpermute_b32 v59, v1, v58
	ds_bpermute_b32 v60, v1, v58 offset:4
	ds_bpermute_b32 v61, v1, v58 offset:8
	v_dual_mul_f32 v2, v10, v2 :: v_dual_mul_f32 v3, v11, v3
	ds_bpermute_b32 v10, v1, v58 offset:12
	ds_bpermute_b32 v11, v1, v58 offset:16
	v_mul_f32_e32 v6, v14, v6
	s_mov_b32 s3, 0
	s_wait_dscnt 0x4
	v_fma_f32 v86, v2, v59, v55
	v_mul_f32_e32 v2, v12, v4
	ds_bpermute_b32 v4, v1, v58 offset:20
	s_wait_dscnt 0x4
	v_dual_fmac_f32 v86, v3, v60 :: v_dual_mul_f32 v3, v13, v5
	ds_bpermute_b32 v5, v1, v58 offset:24
	s_wait_dscnt 0x4
	v_fmac_f32_e32 v86, v2, v61
	ds_bpermute_b32 v2, v1, v58 offset:28
	s_wait_dscnt 0x4
	v_fmac_f32_e32 v86, v3, v10
	v_mul_f32_e32 v3, v15, v7
	s_wait_dscnt 0x3
	s_delay_alu instid0(VALU_DEP_2) | instskip(SKIP_1) | instid1(VALU_DEP_1)
	v_fmac_f32_e32 v86, v6, v11
	s_wait_dscnt 0x2
	v_fmac_f32_e32 v86, v3, v4
	v_mul_f32_e32 v3, v16, v8
	s_wait_dscnt 0x1
	s_delay_alu instid0(VALU_DEP_1)
	v_fmac_f32_e32 v86, v3, v5
.LBB157_25:                             ;   in Loop: Header=BB157_3 Depth=1
	s_wait_alu 0xfffe
	s_and_b32 vcc_lo, exec_lo, s3
	s_wait_alu 0xfffe
	s_cbranch_vccz .LBB157_40
; %bb.26:                               ;   in Loop: Header=BB157_3 Depth=1
	s_load_b32 s3, s[18:19], 0x0
	v_mov_b32_e32 v58, 0
	s_wait_kmcnt 0x0
	s_cmp_lt_u32 ttmp9, s3
	s_cselect_b32 s16, 12, 18
	s_wait_alu 0xfffe
	s_add_nc_u64 s[30:31], s[18:19], s[16:17]
	s_load_u16 s3, s[30:31], 0x0
	s_wait_dscnt 0x0
	s_wait_kmcnt 0x0
	v_mad_u32_u24 v2, v20, s3, v22
	s_mov_b32 s3, exec_lo
	s_delay_alu instid0(VALU_DEP_1) | instskip(NEXT) | instid1(VALU_DEP_1)
	v_and_b32_e32 v2, 31, v2
	v_cmpx_gt_u32_e32 8, v2
	s_cbranch_execz .LBB157_30
; %bb.27:                               ;   in Loop: Header=BB157_3 Depth=1
	v_add_co_u32 v2, vcc_lo, v56, v2
	s_wait_alu 0xfffd
	v_add_co_ci_u32_e64 v3, null, 0, v57, vcc_lo
	v_mov_b32_e32 v58, 0
	s_delay_alu instid0(VALU_DEP_3) | instskip(SKIP_1) | instid1(VALU_DEP_3)
	v_add_co_u32 v2, vcc_lo, 0xffffffc1, v2
	s_wait_alu 0xfffd
	v_add_co_ci_u32_e64 v3, null, -1, v3, vcc_lo
	s_mov_b32 s16, exec_lo
	v_cmpx_gt_i64_e64 s[4:5], v[2:3]
	s_cbranch_execz .LBB157_29
; %bb.28:                               ;   in Loop: Header=BB157_3 Depth=1
	v_lshlrev_b64_e32 v[2:3], 2, v[2:3]
	s_delay_alu instid0(VALU_DEP_1) | instskip(SKIP_1) | instid1(VALU_DEP_2)
	v_add_co_u32 v2, vcc_lo, s12, v2
	s_wait_alu 0xfffd
	v_add_co_ci_u32_e64 v3, null, s13, v3, vcc_lo
	global_load_b32 v58, v[2:3], off
.LBB157_29:                             ;   in Loop: Header=BB157_3 Depth=1
	s_wait_alu 0xfffe
	s_or_b32 exec_lo, exec_lo, s16
.LBB157_30:                             ;   in Loop: Header=BB157_3 Depth=1
	s_wait_alu 0xfffe
	s_or_b32 exec_lo, exec_lo, s3
	v_mov_b32_e32 v8, v1
	v_dual_mov_b32 v2, v1 :: v_dual_mov_b32 v3, v1
	v_dual_mov_b32 v4, v1 :: v_dual_mov_b32 v5, v1
	;; [unrolled: 1-line block ×3, first 2 shown]
	s_delay_alu instid0(VALU_DEP_4) | instskip(NEXT) | instid1(VALU_DEP_3)
	v_mov_b32_e32 v17, v8
	v_dual_mov_b32 v13, v4 :: v_dual_mov_b32 v12, v3
	s_delay_alu instid0(VALU_DEP_3) | instskip(NEXT) | instid1(VALU_DEP_4)
	v_dual_mov_b32 v15, v6 :: v_dual_mov_b32 v14, v5
	v_dual_mov_b32 v16, v7 :: v_dual_mov_b32 v11, v2
	;; [unrolled: 1-line block ×3, first 2 shown]
	v_mov_b32_e32 v8, v7
	v_mov_b32_e32 v7, v6
	;; [unrolled: 1-line block ×7, first 2 shown]
	s_and_saveexec_b32 s3, s2
	s_cbranch_execnz .LBB157_42
; %bb.31:                               ;   in Loop: Header=BB157_3 Depth=1
	s_wait_alu 0xfffe
	s_or_b32 exec_lo, exec_lo, s3
	s_and_saveexec_b32 s3, s2
	s_cbranch_execnz .LBB157_43
.LBB157_32:                             ;   in Loop: Header=BB157_3 Depth=1
	s_wait_alu 0xfffe
	s_or_b32 exec_lo, exec_lo, s3
	s_and_saveexec_b32 s3, s2
	s_cbranch_execnz .LBB157_44
.LBB157_33:                             ;   in Loop: Header=BB157_3 Depth=1
	s_wait_alu 0xfffe
	s_or_b32 exec_lo, exec_lo, s3
	s_and_saveexec_b32 s3, s2
	s_cbranch_execnz .LBB157_45
.LBB157_34:                             ;   in Loop: Header=BB157_3 Depth=1
	s_wait_alu 0xfffe
	s_or_b32 exec_lo, exec_lo, s3
	s_and_saveexec_b32 s3, s2
	s_cbranch_execnz .LBB157_46
.LBB157_35:                             ;   in Loop: Header=BB157_3 Depth=1
	s_wait_alu 0xfffe
	s_or_b32 exec_lo, exec_lo, s3
	s_and_saveexec_b32 s3, s2
	s_cbranch_execnz .LBB157_47
.LBB157_36:                             ;   in Loop: Header=BB157_3 Depth=1
	s_wait_alu 0xfffe
	s_or_b32 exec_lo, exec_lo, s3
	s_and_saveexec_b32 s3, s2
	s_cbranch_execnz .LBB157_48
.LBB157_37:                             ;   in Loop: Header=BB157_3 Depth=1
	s_wait_alu 0xfffe
	s_or_b32 exec_lo, exec_lo, s3
	s_and_saveexec_b32 s3, s2
	s_cbranch_execz .LBB157_39
.LBB157_38:                             ;   in Loop: Header=BB157_3 Depth=1
	v_add_co_u32 v56, vcc_lo, v27, v18
	s_wait_alu 0xfffd
	v_add_co_ci_u32_e64 v57, null, v28, v19, vcc_lo
	v_add_co_u32 v59, vcc_lo, v29, v18
	s_wait_alu 0xfffd
	v_add_co_ci_u32_e64 v60, null, v30, v19, vcc_lo
	global_load_b32 v9, v[56:57], off
	global_load_b32 v17, v[59:60], off
.LBB157_39:                             ;   in Loop: Header=BB157_3 Depth=1
	s_wait_alu 0xfffe
	s_or_b32 exec_lo, exec_lo, s3
	s_wait_loadcnt 0x0
	ds_bpermute_b32 v56, v1, v58
	ds_bpermute_b32 v57, v1, v58 offset:4
	ds_bpermute_b32 v59, v1, v58 offset:8
	v_dual_mul_f32 v2, v10, v2 :: v_dual_mul_f32 v3, v11, v3
	ds_bpermute_b32 v10, v1, v58 offset:12
	ds_bpermute_b32 v11, v1, v58 offset:16
	s_wait_dscnt 0x4
	v_fmac_f32_e32 v55, v2, v56
	v_mul_f32_e32 v2, v12, v4
	ds_bpermute_b32 v4, v1, v58 offset:20
	s_wait_dscnt 0x4
	v_fmac_f32_e32 v55, v3, v57
	v_mul_f32_e32 v3, v13, v5
	ds_bpermute_b32 v5, v1, v58 offset:24
	s_wait_dscnt 0x4
	v_fmac_f32_e32 v55, v2, v59
	v_mul_f32_e32 v2, v14, v6
	s_wait_dscnt 0x3
	s_delay_alu instid0(VALU_DEP_2) | instskip(SKIP_2) | instid1(VALU_DEP_2)
	v_fmac_f32_e32 v55, v3, v10
	v_mul_f32_e32 v3, v15, v7
	s_wait_dscnt 0x2
	v_fmac_f32_e32 v55, v2, v11
	ds_bpermute_b32 v2, v1, v58 offset:28
	s_wait_dscnt 0x2
	v_fmac_f32_e32 v55, v3, v4
	v_mul_f32_e32 v3, v16, v8
	s_wait_dscnt 0x1
	s_delay_alu instid0(VALU_DEP_1) | instskip(NEXT) | instid1(VALU_DEP_1)
	v_fmac_f32_e32 v55, v3, v5
	v_mov_b32_e32 v86, v55
.LBB157_40:                             ;   in Loop: Header=BB157_3 Depth=1
	v_add_co_u32 v23, vcc_lo, v23, s22
	s_wait_alu 0xfffd
	v_add_co_ci_u32_e64 v24, null, s23, v24, vcc_lo
	v_add_co_u32 v25, vcc_lo, v25, s22
	s_wait_alu 0xfffd
	v_add_co_ci_u32_e64 v26, null, s23, v26, vcc_lo
	;; [unrolled: 3-line block ×13, first 2 shown]
	v_add_co_u32 v49, vcc_lo, v49, s22
	v_mul_f32_e32 v3, v9, v17
	s_add_nc_u64 s[26:27], s[26:27], s[20:21]
	s_wait_alu 0xfffd
	v_add_co_ci_u32_e64 v50, null, s23, v50, vcc_lo
	v_add_co_u32 v51, vcc_lo, v51, s22
	s_wait_alu 0xfffe
	v_cmp_lt_i64_e64 s3, s[26:27], s[4:5]
	s_wait_alu 0xfffd
	v_add_co_ci_u32_e64 v52, null, s23, v52, vcc_lo
	v_add_co_u32 v53, vcc_lo, v53, s22
	s_wait_dscnt 0x0
	v_fmac_f32_e32 v86, v3, v2
	s_wait_alu 0xfffd
	v_add_co_ci_u32_e64 v54, null, s23, v54, vcc_lo
	s_and_b32 vcc_lo, exec_lo, s3
	s_add_nc_u64 s[24:25], s[24:25], s[20:21]
	s_wait_alu 0xfffe
	s_cbranch_vccz .LBB157_50
; %bb.41:                               ;   in Loop: Header=BB157_3 Depth=1
	v_mov_b32_e32 v55, v86
	s_branch .LBB157_3
.LBB157_42:                             ;   in Loop: Header=BB157_3 Depth=1
	v_add_co_u32 v2, vcc_lo, v23, v18
	s_wait_alu 0xfffd
	v_add_co_ci_u32_e64 v3, null, v24, v19, vcc_lo
	v_add_co_u32 v4, vcc_lo, v25, v18
	s_wait_alu 0xfffd
	v_add_co_ci_u32_e64 v5, null, v26, v19, vcc_lo
	global_load_b32 v2, v[2:3], off
	global_load_b32 v10, v[4:5], off
	v_dual_mov_b32 v3, v1 :: v_dual_mov_b32 v4, v1
	v_dual_mov_b32 v5, v1 :: v_dual_mov_b32 v6, v1
	;; [unrolled: 1-line block ×6, first 2 shown]
	v_mov_b32_e32 v15, v1
	v_mov_b32_e32 v17, v1
	s_wait_alu 0xfffe
	s_or_b32 exec_lo, exec_lo, s3
	s_and_saveexec_b32 s3, s2
	s_cbranch_execz .LBB157_32
.LBB157_43:                             ;   in Loop: Header=BB157_3 Depth=1
	v_add_co_u32 v56, vcc_lo, v51, v18
	s_wait_alu 0xfffd
	v_add_co_ci_u32_e64 v57, null, v52, v19, vcc_lo
	v_add_co_u32 v59, vcc_lo, v53, v18
	s_wait_alu 0xfffd
	v_add_co_ci_u32_e64 v60, null, v54, v19, vcc_lo
	global_load_b32 v3, v[56:57], off
	global_load_b32 v11, v[59:60], off
	s_wait_alu 0xfffe
	s_or_b32 exec_lo, exec_lo, s3
	s_and_saveexec_b32 s3, s2
	s_cbranch_execz .LBB157_33
.LBB157_44:                             ;   in Loop: Header=BB157_3 Depth=1
	v_add_co_u32 v56, vcc_lo, v47, v18
	s_wait_alu 0xfffd
	v_add_co_ci_u32_e64 v57, null, v48, v19, vcc_lo
	v_add_co_u32 v59, vcc_lo, v49, v18
	s_wait_alu 0xfffd
	v_add_co_ci_u32_e64 v60, null, v50, v19, vcc_lo
	global_load_b32 v4, v[56:57], off
	global_load_b32 v12, v[59:60], off
	s_wait_alu 0xfffe
	s_or_b32 exec_lo, exec_lo, s3
	s_and_saveexec_b32 s3, s2
	s_cbranch_execz .LBB157_34
.LBB157_45:                             ;   in Loop: Header=BB157_3 Depth=1
	v_add_co_u32 v56, vcc_lo, v43, v18
	s_wait_alu 0xfffd
	v_add_co_ci_u32_e64 v57, null, v44, v19, vcc_lo
	v_add_co_u32 v59, vcc_lo, v45, v18
	s_wait_alu 0xfffd
	v_add_co_ci_u32_e64 v60, null, v46, v19, vcc_lo
	global_load_b32 v5, v[56:57], off
	global_load_b32 v13, v[59:60], off
	s_wait_alu 0xfffe
	s_or_b32 exec_lo, exec_lo, s3
	s_and_saveexec_b32 s3, s2
	s_cbranch_execz .LBB157_35
.LBB157_46:                             ;   in Loop: Header=BB157_3 Depth=1
	v_add_co_u32 v56, vcc_lo, v39, v18
	s_wait_alu 0xfffd
	v_add_co_ci_u32_e64 v57, null, v40, v19, vcc_lo
	v_add_co_u32 v59, vcc_lo, v41, v18
	s_wait_alu 0xfffd
	v_add_co_ci_u32_e64 v60, null, v42, v19, vcc_lo
	global_load_b32 v6, v[56:57], off
	global_load_b32 v14, v[59:60], off
	s_wait_alu 0xfffe
	s_or_b32 exec_lo, exec_lo, s3
	s_and_saveexec_b32 s3, s2
	s_cbranch_execz .LBB157_36
.LBB157_47:                             ;   in Loop: Header=BB157_3 Depth=1
	v_add_co_u32 v56, vcc_lo, v35, v18
	s_wait_alu 0xfffd
	v_add_co_ci_u32_e64 v57, null, v36, v19, vcc_lo
	v_add_co_u32 v59, vcc_lo, v37, v18
	s_wait_alu 0xfffd
	v_add_co_ci_u32_e64 v60, null, v38, v19, vcc_lo
	global_load_b32 v7, v[56:57], off
	global_load_b32 v15, v[59:60], off
	s_wait_alu 0xfffe
	s_or_b32 exec_lo, exec_lo, s3
	s_and_saveexec_b32 s3, s2
	s_cbranch_execz .LBB157_37
.LBB157_48:                             ;   in Loop: Header=BB157_3 Depth=1
	v_add_co_u32 v56, vcc_lo, v31, v18
	s_wait_alu 0xfffd
	v_add_co_ci_u32_e64 v57, null, v32, v19, vcc_lo
	v_add_co_u32 v59, vcc_lo, v33, v18
	s_wait_alu 0xfffd
	v_add_co_ci_u32_e64 v60, null, v34, v19, vcc_lo
	global_load_b32 v8, v[56:57], off
	global_load_b32 v16, v[59:60], off
	s_wait_alu 0xfffe
	s_or_b32 exec_lo, exec_lo, s3
	s_and_saveexec_b32 s3, s2
	s_cbranch_execnz .LBB157_38
	s_branch .LBB157_39
.LBB157_49:
                                        ; implicit-def: $vgpr86
	s_branch .LBB157_51
.LBB157_50:
	s_cbranch_execnz .LBB157_83
.LBB157_51:
	v_mov_b32_e32 v86, 0
	s_and_not1_b32 vcc_lo, exec_lo, s29
	s_wait_alu 0xfffe
	s_cbranch_vccnz .LBB157_83
; %bb.52:
	v_bfe_u32 v48, v0, 10, 10
	v_dual_mov_b32 v1, 0 :: v_dual_and_b32 v50, 0x3ff, v0
	s_lshl_b64 s[18:19], s[14:15], 2
	s_mov_b32 s3, 0
	s_delay_alu instid0(VALU_DEP_2) | instskip(SKIP_2) | instid1(VALU_DEP_3)
	v_lshlrev_b32_e32 v49, 3, v48
	v_dual_mov_b32 v83, 0 :: v_dual_lshlrev_b32 v8, 5, v48
	v_dual_mov_b32 v5, v1 :: v_dual_add_nc_u32 v4, s28, v50
	v_add_co_u32 v10, s2, v49, s14
	s_wait_alu 0xf1ff
	v_add_co_ci_u32_e64 v11, null, 0, 0, s2
	s_delay_alu instid0(VALU_DEP_3) | instskip(NEXT) | instid1(VALU_DEP_3)
	v_lshlrev_b64_e32 v[18:19], 2, v[4:5]
	v_mul_lo_u32 v6, s7, v10
	v_mad_co_u64_u32 v[2:3], null, s6, v10, 0
	s_delay_alu instid0(VALU_DEP_4) | instskip(SKIP_2) | instid1(VALU_DEP_1)
	v_mul_lo_u32 v7, s6, v11
	s_load_b32 s2, s[0:1], 0x44
	s_mov_b32 s17, s3
	v_add3_u32 v3, v3, v7, v6
	v_add_co_u32 v6, s16, v8, s18
	s_wait_alu 0xf1ff
	v_add_co_ci_u32_e64 v7, null, 0, s19, s16
	s_delay_alu instid0(VALU_DEP_3) | instskip(NEXT) | instid1(VALU_DEP_3)
	v_lshlrev_b64_e32 v[4:5], 2, v[2:3]
	v_add_co_u32 v8, vcc_lo, v6, 4
	s_wait_alu 0xfffd
	s_delay_alu instid0(VALU_DEP_3) | instskip(NEXT) | instid1(VALU_DEP_3)
	v_add_co_ci_u32_e64 v9, null, 0, v7, vcc_lo
	v_add_co_u32 v51, vcc_lo, s8, v4
	s_wait_alu 0xfffd
	v_add_co_ci_u32_e64 v52, null, s9, v5, vcc_lo
	v_add_co_u32 v53, vcc_lo, s10, v4
	s_wait_alu 0xfffd
	;; [unrolled: 3-line block ×5, first 2 shown]
	v_add_co_ci_u32_e64 v28, null, 0, v7, vcc_lo
	v_add_co_u32 v42, vcc_lo, v6, 20
	v_mad_co_u64_u32 v[22:23], null, s6, v4, s[8:9]
	v_mul_lo_u32 v5, s6, v5
	v_mul_lo_u32 v15, s7, v4
	v_mad_co_u64_u32 v[36:37], null, s6, v4, s[10:11]
	s_wait_alu 0xfffd
	v_add_co_ci_u32_e64 v30, null, 0, v7, vcc_lo
	v_add_co_u32 v44, vcc_lo, v6, 24
	s_wait_alu 0xfffd
	v_add_co_ci_u32_e64 v32, null, 0, v7, vcc_lo
	v_add_co_u32 v6, vcc_lo, v6, 28
	v_mad_co_u64_u32 v[20:21], null, s6, v8, s[8:9]
	v_mul_lo_u32 v9, s6, v9
	v_mul_lo_u32 v12, s7, v8
	v_mad_co_u64_u32 v[34:35], null, s6, v8, s[10:11]
	s_wait_alu 0xfffd
	v_add_co_ci_u32_e64 v7, null, 0, v7, vcc_lo
	v_add_co_u32 v4, vcc_lo, v10, 7
	v_add3_u32 v23, v15, v23, v5
	v_add3_u32 v37, v15, v37, v5
	s_wait_alu 0xfffd
	v_add_co_ci_u32_e64 v5, null, 0, v11, vcc_lo
	v_mul_lo_u32 v61, s6, v7
	v_add_co_u32 v7, vcc_lo, v10, 6
	v_add3_u32 v21, v12, v21, v9
	v_add3_u32 v35, v12, v35, v9
	s_wait_alu 0xfffd
	v_add_co_ci_u32_e64 v12, null, 0, v11, vcc_lo
	v_mul_lo_u32 v8, s7, v4
	v_mul_lo_u32 v9, s6, v5
	v_mad_co_u64_u32 v[4:5], null, s6, v4, 0
	v_mad_co_u64_u32 v[24:25], null, s6, v13, s[8:9]
	v_mul_lo_u32 v17, s7, v13
	v_mul_lo_u32 v59, s6, v32
	v_mad_co_u64_u32 v[32:33], null, s6, v6, s[8:9]
	v_mul_lo_u32 v62, s7, v6
	v_mad_co_u64_u32 v[38:39], null, s6, v13, s[10:11]
	v_mad_co_u64_u32 v[46:47], null, s6, v6, s[10:11]
	v_mul_lo_u32 v13, s7, v7
	v_mul_lo_u32 v12, s6, v12
	v_mad_co_u64_u32 v[6:7], null, s6, v7, 0
	v_add3_u32 v5, v5, v9, v8
	v_add_co_u32 v8, vcc_lo, v10, 5
	v_mad_co_u64_u32 v[26:27], null, s6, v16, s[8:9]
	v_mul_lo_u32 v55, s6, v28
	v_mul_lo_u32 v56, s7, v16
	v_mad_co_u64_u32 v[40:41], null, s6, v16, s[10:11]
	s_wait_alu 0xfffd
	v_add_co_ci_u32_e64 v9, null, 0, v11, vcc_lo
	v_add3_u32 v7, v7, v12, v13
	v_mad_co_u64_u32 v[28:29], null, s6, v42, s[8:9]
	v_mul_lo_u32 v57, s6, v30
	v_mul_lo_u32 v58, s7, v42
	v_mad_co_u64_u32 v[42:43], null, s6, v42, s[10:11]
	v_lshlrev_b64_e32 v[4:5], 2, v[4:5]
	v_mad_co_u64_u32 v[30:31], null, s6, v44, s[8:9]
	v_mul_lo_u32 v60, s7, v44
	v_mad_co_u64_u32 v[44:45], null, s6, v44, s[10:11]
	v_mul_lo_u32 v12, s7, v8
	v_mul_lo_u32 v13, s6, v9
	v_mad_co_u64_u32 v[8:9], null, s6, v8, 0
	v_lshlrev_b64_e32 v[6:7], 2, v[6:7]
	v_add3_u32 v27, v56, v27, v55
	v_add3_u32 v41, v56, v41, v55
	v_add_co_u32 v55, vcc_lo, s8, v4
	v_add3_u32 v29, v58, v29, v57
	v_add3_u32 v43, v58, v43, v57
	s_wait_alu 0xfffd
	v_add_co_ci_u32_e64 v56, null, s9, v5, vcc_lo
	v_add_co_u32 v57, vcc_lo, s10, v4
	v_add3_u32 v31, v60, v31, v59
	v_add3_u32 v45, v60, v45, v59
	s_wait_alu 0xfffd
	v_add_co_ci_u32_e64 v58, null, s11, v5, vcc_lo
	v_add_co_u32 v59, vcc_lo, s8, v6
	v_mul_lo_u32 v14, s6, v14
	v_add3_u32 v9, v9, v13, v12
	s_wait_alu 0xfffd
	v_add_co_ci_u32_e64 v60, null, s9, v7, vcc_lo
	v_add_co_u32 v12, vcc_lo, v10, 4
	s_wait_kmcnt 0x0
	s_lshl_b32 s16, s2, 6
	v_add3_u32 v33, v62, v33, v61
	v_add3_u32 v47, v62, v47, v61
	v_add_co_u32 v61, s2, s10, v6
	s_wait_alu 0xfffd
	v_add_co_ci_u32_e64 v6, null, 0, v11, vcc_lo
	v_lshlrev_b64_e32 v[4:5], 2, v[8:9]
	v_add_co_u32 v8, vcc_lo, v10, 3
	s_wait_alu 0xfffd
	v_add_co_ci_u32_e64 v9, null, 0, v11, vcc_lo
	v_add3_u32 v25, v17, v25, v14
	v_add3_u32 v39, v17, v39, v14
	s_wait_alu 0xf1ff
	v_add_co_ci_u32_e64 v62, null, s11, v7, s2
	v_mul_lo_u32 v13, s7, v12
	v_mul_lo_u32 v14, s6, v6
	v_mad_co_u64_u32 v[6:7], null, s6, v12, 0
	v_mul_lo_u32 v12, s7, v8
	v_mul_lo_u32 v15, s6, v9
	v_mad_co_u64_u32 v[8:9], null, s6, v8, 0
	v_add_co_u32 v63, vcc_lo, s8, v4
	s_wait_alu 0xfffd
	v_add_co_ci_u32_e64 v64, null, s9, v5, vcc_lo
	v_add3_u32 v7, v7, v14, v13
	v_add_co_u32 v65, vcc_lo, s10, v4
	s_wait_alu 0xfffd
	v_add_co_ci_u32_e64 v66, null, s11, v5, vcc_lo
	v_add_co_u32 v10, vcc_lo, v10, 2
	v_add3_u32 v9, v9, v15, v12
	s_wait_alu 0xfffd
	v_add_co_ci_u32_e64 v11, null, 0, v11, vcc_lo
	v_lshlrev_b64_e32 v[4:5], 2, v[6:7]
	v_mul_lo_u32 v12, s7, v10
	v_lshlrev_b64_e32 v[6:7], 2, v[8:9]
	s_delay_alu instid0(VALU_DEP_4)
	v_mul_lo_u32 v11, s6, v11
	v_mad_co_u64_u32 v[8:9], null, s6, v10, 0
	v_add_co_u32 v67, vcc_lo, s8, v4
	s_wait_alu 0xfffd
	v_add_co_ci_u32_e64 v68, null, s9, v5, vcc_lo
	v_add_co_u32 v69, vcc_lo, s10, v4
	s_wait_alu 0xfffd
	v_add_co_ci_u32_e64 v70, null, s11, v5, vcc_lo
	;; [unrolled: 3-line block ×3, first 2 shown]
	v_add3_u32 v9, v9, v11, v12
	v_add_co_u32 v73, vcc_lo, s10, v6
	s_wait_alu 0xfffd
	v_add_co_ci_u32_e64 v74, null, s11, v7, vcc_lo
	v_add_co_u32 v2, vcc_lo, v2, s6
	s_wait_alu 0xfffd
	v_add_co_ci_u32_e64 v3, null, s7, v3, vcc_lo
	v_lshlrev_b64_e32 v[4:5], 2, v[8:9]
	s_wait_alu 0xfffe
	s_mul_u64 s[18:19], s[6:7], s[16:17]
	s_delay_alu instid0(VALU_DEP_2) | instskip(NEXT) | instid1(VALU_DEP_2)
	v_lshlrev_b64_e32 v[2:3], 2, v[2:3]
	v_add_co_u32 v75, vcc_lo, s8, v4
	s_wait_alu 0xfffd
	v_add_co_ci_u32_e64 v76, null, s9, v5, vcc_lo
	v_add_co_u32 v77, vcc_lo, s10, v4
	s_wait_alu 0xfffd
	v_add_co_ci_u32_e64 v78, null, s11, v5, vcc_lo
	;; [unrolled: 3-line block ×4, first 2 shown]
	s_add_nc_u64 s[8:9], s[0:1], 64
	s_wait_alu 0xfffe
	s_lshl_b64 s[10:11], s[18:19], 2
	s_add_nc_u64 s[18:19], s[14:15], 63
.LBB157_53:                             ; =>This Inner Loop Header: Depth=1
	s_wait_alu 0xfffe
	v_cmp_ge_i64_e64 s2, s[18:19], s[4:5]
	v_add_co_u32 v84, s20, v49, s18
	s_wait_alu 0xf1ff
	v_add_co_ci_u32_e64 v85, null, 0, s19, s20
                                        ; implicit-def: $vgpr86
	s_and_b32 vcc_lo, exec_lo, s2
	s_mov_b32 s2, -1
	s_wait_alu 0xfffe
	s_cbranch_vccz .LBB157_75
; %bb.54:                               ;   in Loop: Header=BB157_53 Depth=1
	s_load_b32 s2, s[8:9], 0xc
	v_mov_b32_e32 v87, 0
	s_wait_kmcnt 0x0
	s_and_b32 s2, s2, 0xffff
	s_wait_alu 0xfffe
	v_mad_u32_u24 v2, v48, s2, v50
	s_mov_b32 s2, exec_lo
	s_delay_alu instid0(VALU_DEP_1) | instskip(NEXT) | instid1(VALU_DEP_1)
	v_and_b32_e32 v2, 31, v2
	v_cmpx_gt_u32_e32 8, v2
	s_cbranch_execz .LBB157_58
; %bb.55:                               ;   in Loop: Header=BB157_53 Depth=1
	v_add_co_u32 v2, vcc_lo, v84, v2
	s_wait_alu 0xfffd
	v_add_co_ci_u32_e64 v3, null, 0, v85, vcc_lo
	v_mov_b32_e32 v87, 0
	s_delay_alu instid0(VALU_DEP_3) | instskip(SKIP_1) | instid1(VALU_DEP_3)
	v_add_co_u32 v2, vcc_lo, 0xffffffc1, v2
	s_wait_alu 0xfffd
	v_add_co_ci_u32_e64 v3, null, -1, v3, vcc_lo
	s_mov_b32 s20, exec_lo
	v_cmpx_gt_i64_e64 s[4:5], v[2:3]
	s_cbranch_execz .LBB157_57
; %bb.56:                               ;   in Loop: Header=BB157_53 Depth=1
	v_lshlrev_b64_e32 v[2:3], 2, v[2:3]
	s_delay_alu instid0(VALU_DEP_1) | instskip(SKIP_1) | instid1(VALU_DEP_2)
	v_add_co_u32 v2, vcc_lo, s12, v2
	s_wait_alu 0xfffd
	v_add_co_ci_u32_e64 v3, null, s13, v3, vcc_lo
	global_load_b32 v87, v[2:3], off
.LBB157_57:                             ;   in Loop: Header=BB157_53 Depth=1
	s_wait_alu 0xfffe
	s_or_b32 exec_lo, exec_lo, s20
.LBB157_58:                             ;   in Loop: Header=BB157_53 Depth=1
	s_wait_alu 0xfffe
	s_or_b32 exec_lo, exec_lo, s2
	v_add_co_u32 v9, vcc_lo, 0xffffffc1, v84
	s_wait_alu 0xfffd
	v_add_co_ci_u32_e64 v10, null, -1, v85, vcc_lo
	v_mov_b32_e32 v8, v1
	v_dual_mov_b32 v2, v1 :: v_dual_mov_b32 v3, v1
	v_dual_mov_b32 v4, v1 :: v_dual_mov_b32 v5, v1
	;; [unrolled: 1-line block ×3, first 2 shown]
	v_cmp_gt_i64_e32 vcc_lo, s[4:5], v[9:10]
	s_delay_alu instid0(VALU_DEP_3) | instskip(NEXT) | instid1(VALU_DEP_3)
	v_dual_mov_b32 v17, v8 :: v_dual_mov_b32 v14, v5
	v_dual_mov_b32 v15, v6 :: v_dual_mov_b32 v16, v7
	;; [unrolled: 1-line block ×4, first 2 shown]
	v_mov_b32_e32 v9, v8
	v_mov_b32_e32 v8, v7
	;; [unrolled: 1-line block ×8, first 2 shown]
	s_and_saveexec_b32 s2, vcc_lo
	s_cbranch_execz .LBB157_60
; %bb.59:                               ;   in Loop: Header=BB157_53 Depth=1
	v_add_co_u32 v2, vcc_lo, v51, v18
	s_wait_alu 0xfffd
	v_add_co_ci_u32_e64 v3, null, v52, v19, vcc_lo
	v_add_co_u32 v4, vcc_lo, v53, v18
	s_wait_alu 0xfffd
	v_add_co_ci_u32_e64 v5, null, v54, v19, vcc_lo
	global_load_b32 v2, v[2:3], off
	global_load_b32 v10, v[4:5], off
	v_dual_mov_b32 v3, v1 :: v_dual_mov_b32 v4, v1
	v_dual_mov_b32 v5, v1 :: v_dual_mov_b32 v6, v1
	;; [unrolled: 1-line block ×6, first 2 shown]
	v_mov_b32_e32 v15, v1
	v_mov_b32_e32 v17, v1
.LBB157_60:                             ;   in Loop: Header=BB157_53 Depth=1
	s_wait_alu 0xfffe
	s_or_b32 exec_lo, exec_lo, s2
	v_add_co_u32 v88, vcc_lo, 0xffffffc2, v84
	s_wait_alu 0xfffd
	v_add_co_ci_u32_e64 v89, null, -1, v85, vcc_lo
	s_mov_b32 s2, exec_lo
	v_cmpx_gt_i64_e64 s[4:5], v[88:89]
	s_cbranch_execz .LBB157_62
; %bb.61:                               ;   in Loop: Header=BB157_53 Depth=1
	v_add_co_u32 v88, vcc_lo, v79, v18
	s_wait_alu 0xfffd
	v_add_co_ci_u32_e64 v89, null, v80, v19, vcc_lo
	v_add_co_u32 v90, vcc_lo, v81, v18
	s_wait_alu 0xfffd
	v_add_co_ci_u32_e64 v91, null, v82, v19, vcc_lo
	global_load_b32 v3, v[88:89], off
	global_load_b32 v11, v[90:91], off
.LBB157_62:                             ;   in Loop: Header=BB157_53 Depth=1
	s_wait_alu 0xfffe
	s_or_b32 exec_lo, exec_lo, s2
	v_add_co_u32 v88, vcc_lo, 0xffffffc3, v84
	s_wait_alu 0xfffd
	v_add_co_ci_u32_e64 v89, null, -1, v85, vcc_lo
	s_mov_b32 s2, exec_lo
	v_cmpx_gt_i64_e64 s[4:5], v[88:89]
	s_cbranch_execz .LBB157_64
; %bb.63:                               ;   in Loop: Header=BB157_53 Depth=1
	v_add_co_u32 v88, vcc_lo, v75, v18
	s_wait_alu 0xfffd
	v_add_co_ci_u32_e64 v89, null, v76, v19, vcc_lo
	v_add_co_u32 v90, vcc_lo, v77, v18
	s_wait_alu 0xfffd
	v_add_co_ci_u32_e64 v91, null, v78, v19, vcc_lo
	global_load_b32 v4, v[88:89], off
	global_load_b32 v12, v[90:91], off
.LBB157_64:                             ;   in Loop: Header=BB157_53 Depth=1
	;; [unrolled: 18-line block ×7, first 2 shown]
	s_wait_alu 0xfffe
	s_or_b32 exec_lo, exec_lo, s2
	s_wait_loadcnt 0x0
	ds_bpermute_b32 v86, v1, v87
	ds_bpermute_b32 v88, v1, v87 offset:4
	ds_bpermute_b32 v89, v1, v87 offset:8
	v_dual_mul_f32 v2, v10, v2 :: v_dual_mul_f32 v3, v11, v3
	ds_bpermute_b32 v10, v1, v87 offset:12
	ds_bpermute_b32 v11, v1, v87 offset:16
	s_mov_b32 s2, 0
	s_wait_dscnt 0x4
	v_fma_f32 v86, v2, v86, v83
	v_mul_f32_e32 v2, v12, v4
	ds_bpermute_b32 v4, v1, v87 offset:20
	s_wait_dscnt 0x4
	v_dual_fmac_f32 v86, v3, v88 :: v_dual_mul_f32 v3, v13, v5
	ds_bpermute_b32 v5, v1, v87 offset:24
	s_wait_dscnt 0x4
	v_fmac_f32_e32 v86, v2, v89
	v_mul_f32_e32 v2, v14, v6
	v_mul_f32_e32 v6, v15, v7
	s_wait_dscnt 0x3
	s_delay_alu instid0(VALU_DEP_3)
	v_fmac_f32_e32 v86, v3, v10
	ds_bpermute_b32 v3, v1, v87 offset:28
	s_wait_dscnt 0x3
	v_fmac_f32_e32 v86, v2, v11
	v_mul_f32_e32 v2, v16, v8
	s_wait_dscnt 0x2
	s_delay_alu instid0(VALU_DEP_2) | instskip(SKIP_1) | instid1(VALU_DEP_1)
	v_fmac_f32_e32 v86, v6, v4
	s_wait_dscnt 0x1
	v_fmac_f32_e32 v86, v2, v5
	v_mul_f32_e32 v2, v17, v9
	s_wait_dscnt 0x0
	s_delay_alu instid0(VALU_DEP_1)
	v_fmac_f32_e32 v86, v2, v3
.LBB157_75:                             ;   in Loop: Header=BB157_53 Depth=1
	s_wait_alu 0xfffe
	s_and_b32 vcc_lo, exec_lo, s2
	s_wait_alu 0xfffe
	s_cbranch_vccz .LBB157_81
; %bb.76:                               ;   in Loop: Header=BB157_53 Depth=1
	s_load_b32 s2, s[8:9], 0x0
	v_mov_b32_e32 v4, 0
	s_wait_kmcnt 0x0
	s_cmp_lt_u32 ttmp9, s2
	s_cselect_b32 s2, 12, 18
	s_wait_alu 0xfffe
	s_add_nc_u64 s[20:21], s[8:9], s[2:3]
	s_load_u16 s2, s[20:21], 0x0
	s_wait_kmcnt 0x0
	v_mad_u32_u24 v2, v48, s2, v50
	s_mov_b32 s2, exec_lo
	s_delay_alu instid0(VALU_DEP_1) | instskip(NEXT) | instid1(VALU_DEP_1)
	v_and_b32_e32 v2, 31, v2
	v_cmpx_gt_u32_e32 8, v2
	s_cbranch_execz .LBB157_80
; %bb.77:                               ;   in Loop: Header=BB157_53 Depth=1
	v_add_co_u32 v2, vcc_lo, v84, v2
	s_wait_alu 0xfffd
	v_add_co_ci_u32_e64 v3, null, 0, v85, vcc_lo
	v_mov_b32_e32 v4, 0
	s_delay_alu instid0(VALU_DEP_3) | instskip(SKIP_1) | instid1(VALU_DEP_3)
	v_add_co_u32 v2, vcc_lo, 0xffffffc1, v2
	s_wait_alu 0xfffd
	v_add_co_ci_u32_e64 v3, null, -1, v3, vcc_lo
	s_mov_b32 s20, exec_lo
	v_cmpx_gt_i64_e64 s[4:5], v[2:3]
	s_cbranch_execz .LBB157_79
; %bb.78:                               ;   in Loop: Header=BB157_53 Depth=1
	v_lshlrev_b64_e32 v[2:3], 2, v[2:3]
	s_delay_alu instid0(VALU_DEP_1) | instskip(SKIP_1) | instid1(VALU_DEP_2)
	v_add_co_u32 v2, vcc_lo, s12, v2
	s_wait_alu 0xfffd
	v_add_co_ci_u32_e64 v3, null, s13, v3, vcc_lo
	global_load_b32 v4, v[2:3], off
.LBB157_79:                             ;   in Loop: Header=BB157_53 Depth=1
	s_wait_alu 0xfffe
	s_or_b32 exec_lo, exec_lo, s20
.LBB157_80:                             ;   in Loop: Header=BB157_53 Depth=1
	s_wait_alu 0xfffe
	s_or_b32 exec_lo, exec_lo, s2
	v_add_co_u32 v2, vcc_lo, v51, v18
	s_wait_alu 0xfffd
	v_add_co_ci_u32_e64 v3, null, v52, v19, vcc_lo
	v_add_co_u32 v5, vcc_lo, v53, v18
	s_wait_alu 0xfffd
	v_add_co_ci_u32_e64 v6, null, v54, v19, vcc_lo
	;; [unrolled: 3-line block ×4, first 2 shown]
	global_load_b32 v13, v[2:3], off
	global_load_b32 v14, v[5:6], off
	;; [unrolled: 1-line block ×4, first 2 shown]
	v_add_co_u32 v2, vcc_lo, v22, v18
	s_wait_alu 0xfffd
	v_add_co_ci_u32_e64 v3, null, v23, v19, vcc_lo
	v_add_co_u32 v5, vcc_lo, v36, v18
	s_wait_alu 0xfffd
	v_add_co_ci_u32_e64 v6, null, v37, v19, vcc_lo
	;; [unrolled: 3-line block ×5, first 2 shown]
	global_load_b32 v17, v[2:3], off
	global_load_b32 v84, v[5:6], off
	;; [unrolled: 1-line block ×5, first 2 shown]
	v_add_co_u32 v2, vcc_lo, v40, v18
	s_wait_alu 0xfffd
	v_add_co_ci_u32_e64 v3, null, v41, v19, vcc_lo
	v_add_co_u32 v5, vcc_lo, v28, v18
	s_wait_alu 0xfffd
	v_add_co_ci_u32_e64 v6, null, v29, v19, vcc_lo
	;; [unrolled: 3-line block ×5, first 2 shown]
	global_load_b32 v88, v[2:3], off
	global_load_b32 v89, v[5:6], off
	global_load_b32 v7, v[7:8], off
	global_load_b32 v8, v[9:10], off
	global_load_b32 v9, v[11:12], off
	v_add_co_u32 v2, vcc_lo, v32, v18
	s_wait_alu 0xfffd
	v_add_co_ci_u32_e64 v3, null, v33, v19, vcc_lo
	v_add_co_u32 v5, vcc_lo, v46, v18
	s_wait_alu 0xfffd
	v_add_co_ci_u32_e64 v6, null, v47, v19, vcc_lo
	global_load_b32 v2, v[2:3], off
	global_load_b32 v3, v[5:6], off
	s_wait_loadcnt 0x10
	ds_bpermute_b32 v5, v1, v4
	ds_bpermute_b32 v6, v1, v4 offset:4
	ds_bpermute_b32 v10, v1, v4 offset:8
	;; [unrolled: 1-line block ×3, first 2 shown]
	s_wait_loadcnt 0xe
	v_mul_f32_e32 v12, v13, v14
	ds_bpermute_b32 v13, v1, v4 offset:16
	s_wait_loadcnt_dscnt 0xc04
	v_dual_mul_f32 v14, v15, v16 :: v_dual_fmac_f32 v83, v12, v5
	ds_bpermute_b32 v5, v1, v4 offset:20
	s_wait_dscnt 0x4
	v_fmac_f32_e32 v83, v14, v6
	ds_bpermute_b32 v6, v1, v4 offset:24
	ds_bpermute_b32 v4, v1, v4 offset:28
	s_wait_loadcnt 0xa
	v_mul_f32_e32 v12, v17, v84
	s_wait_loadcnt_dscnt 0x605
	s_delay_alu instid0(VALU_DEP_1) | instskip(SKIP_4) | instid1(VALU_DEP_2)
	v_dual_fmac_f32 v83, v12, v10 :: v_dual_mul_f32 v10, v87, v88
	v_mul_f32_e32 v14, v85, v86
	s_wait_loadcnt 0x2
	v_dual_mul_f32 v7, v89, v7 :: v_dual_mul_f32 v8, v8, v9
	s_wait_dscnt 0x4
	v_fmac_f32_e32 v83, v14, v11
	s_wait_dscnt 0x3
	s_delay_alu instid0(VALU_DEP_1) | instskip(SKIP_1) | instid1(VALU_DEP_1)
	v_fmac_f32_e32 v83, v10, v13
	s_wait_loadcnt_dscnt 0x2
	v_dual_mul_f32 v2, v2, v3 :: v_dual_fmac_f32 v83, v7, v5
	s_wait_dscnt 0x1
	s_delay_alu instid0(VALU_DEP_1) | instskip(SKIP_1) | instid1(VALU_DEP_1)
	v_fmac_f32_e32 v83, v8, v6
	s_wait_dscnt 0x0
	v_fmac_f32_e32 v83, v2, v4
	s_delay_alu instid0(VALU_DEP_1)
	v_mov_b32_e32 v86, v83
.LBB157_81:                             ;   in Loop: Header=BB157_53 Depth=1
	v_add_co_u32 v51, vcc_lo, v51, s10
	s_wait_alu 0xfffd
	v_add_co_ci_u32_e64 v52, null, s11, v52, vcc_lo
	v_add_co_u32 v53, vcc_lo, v53, s10
	s_wait_alu 0xfffd
	v_add_co_ci_u32_e64 v54, null, s11, v54, vcc_lo
	;; [unrolled: 3-line block ×27, first 2 shown]
	v_add_co_u32 v77, vcc_lo, v77, s10
	s_add_nc_u64 s[14:15], s[14:15], s[16:17]
	s_wait_alu 0xfffd
	v_add_co_ci_u32_e64 v78, null, s11, v78, vcc_lo
	v_add_co_u32 v79, vcc_lo, v79, s10
	s_wait_alu 0xfffe
	v_cmp_ge_i64_e64 s2, s[14:15], s[4:5]
	s_wait_alu 0xfffd
	v_add_co_ci_u32_e64 v80, null, s11, v80, vcc_lo
	v_add_co_u32 v81, vcc_lo, v81, s10
	s_wait_alu 0xfffd
	v_add_co_ci_u32_e64 v82, null, s11, v82, vcc_lo
	s_and_b32 vcc_lo, exec_lo, s2
	s_add_nc_u64 s[18:19], s[18:19], s[16:17]
	s_wait_alu 0xfffe
	s_cbranch_vccnz .LBB157_83
; %bb.82:                               ;   in Loop: Header=BB157_53 Depth=1
	v_mov_b32_e32 v83, v86
	s_branch .LBB157_53
.LBB157_83:
	v_and_b32_e32 v7, 0x3ff, v0
	v_bfe_u32 v1, v0, 10, 10
	v_bfe_u32 v0, v0, 5, 5
	s_mov_b32 s2, exec_lo
	s_delay_alu instid0(VALU_DEP_2) | instskip(NEXT) | instid1(VALU_DEP_2)
	v_mad_u32_u24 v3, v1, 33, v7
	v_dual_mov_b32 v1, 0 :: v_dual_add_nc_u32 v2, v0, v1
	s_delay_alu instid0(VALU_DEP_2)
	v_lshl_add_u32 v0, v3, 2, 0
	ds_store_b32 v0, v86
	ds_store_b32 v0, v1 offset:1056
	s_wait_dscnt 0x0
	s_barrier_signal -1
	s_barrier_wait -1
	global_inv scope:SCOPE_SE
	v_cmpx_gt_u32_e32 32, v2
	s_cbranch_execz .LBB157_103
; %bb.84:
	s_load_b64 s[2:3], s[0:1], 0x30
	v_and_b32_e32 v0, 31, v7
	s_delay_alu instid0(VALU_DEP_1)
	v_cmp_gt_u32_e32 vcc_lo, 8, v0
	v_mul_u32_u24_e32 v3, 33, v0
                                        ; implicit-def: $vgpr0
	s_and_saveexec_b32 s0, vcc_lo
	s_cbranch_execz .LBB157_86
; %bb.85:
	v_lshlrev_b32_e32 v0, 2, v2
	s_delay_alu instid0(VALU_DEP_2) | instskip(NEXT) | instid1(VALU_DEP_1)
	v_lshlrev_b32_e32 v1, 2, v3
	v_add3_u32 v0, 0, v0, v1
	ds_load_b32 v0, v0
.LBB157_86:
	s_or_b32 exec_lo, exec_lo, s0
	v_mbcnt_lo_u32_b32 v1, -1, 0
	s_mov_b32 s4, ttmp9
	s_mov_b32 s5, 0
	s_wait_alu 0xfffe
	s_lshl_b64 s[4:5], s[4:5], 5
	v_xor_b32_e32 v4, 4, v1
	v_xor_b32_e32 v5, 2, v1
	;; [unrolled: 1-line block ×3, first 2 shown]
	s_wait_kmcnt 0x0
	s_cmp_eq_u64 s[2:3], 0
	s_cselect_b32 s8, -1, 0
	v_cmp_gt_i32_e64 s0, 32, v4
	s_delay_alu instid0(VALU_DEP_1) | instskip(SKIP_1) | instid1(VALU_DEP_2)
	v_cndmask_b32_e64 v4, v1, v4, s0
	v_cmp_gt_i32_e64 s0, 32, v5
	v_lshlrev_b32_e32 v4, 2, v4
	s_wait_alu 0xf1ff
	s_delay_alu instid0(VALU_DEP_2)
	v_cndmask_b32_e64 v5, v1, v5, s0
	v_cmp_gt_i32_e64 s0, 32, v8
	s_wait_dscnt 0x0
	ds_bpermute_b32 v6, v4, v0
	v_lshlrev_b32_e32 v5, 2, v5
	s_wait_alu 0xf1ff
	v_cndmask_b32_e64 v1, v1, v8, s0
	v_cmp_ne_u32_e64 s0, 0, v7
	s_wait_dscnt 0x0
	v_add_f32_e32 v0, v0, v6
	ds_bpermute_b32 v6, v5, v0
	s_wait_dscnt 0x0
	v_add_f32_e32 v8, v0, v6
	v_lshlrev_b32_e32 v6, 2, v1
	s_wait_alu 0xfffe
	v_or_b32_e32 v0, s4, v2
	v_mov_b32_e32 v1, s5
	ds_bpermute_b32 v9, v6, v8
	v_cmp_le_i64_e64 s1, s[6:7], v[0:1]
	s_or_b32 s1, s0, s1
	s_wait_alu 0xfffe
	s_nor_b32 s1, s8, s1
	s_wait_dscnt 0x0
	v_add_f32_e32 v7, v8, v9
	s_wait_alu 0xfffe
	s_and_saveexec_b32 s9, s1
	s_cbranch_execz .LBB157_88
; %bb.87:
	v_lshlrev_b64_e32 v[0:1], 2, v[0:1]
	s_delay_alu instid0(VALU_DEP_1) | instskip(SKIP_1) | instid1(VALU_DEP_2)
	v_add_co_u32 v0, s1, s2, v0
	s_wait_alu 0xf1ff
	v_add_co_ci_u32_e64 v1, null, s3, v1, s1
	global_store_b32 v[0:1], v7, off
.LBB157_88:
	s_wait_alu 0xfffe
	s_or_b32 exec_lo, exec_lo, s9
	v_cmp_gt_u32_e64 s1, 24, v2
	s_and_b32 exec_lo, exec_lo, s1
	s_cbranch_execz .LBB157_103
; %bb.89:
	s_and_saveexec_b32 s1, vcc_lo
	s_cbranch_execz .LBB157_91
; %bb.90:
	v_lshlrev_b32_e32 v0, 2, v2
	v_lshlrev_b32_e32 v1, 2, v3
	s_delay_alu instid0(VALU_DEP_1)
	v_add3_u32 v0, 0, v0, v1
	ds_load_b32 v7, v0 offset:32
.LBB157_91:
	s_wait_alu 0xfffe
	s_or_b32 exec_lo, exec_lo, s1
	s_wait_dscnt 0x0
	ds_bpermute_b32 v0, v4, v7
	s_wait_dscnt 0x0
	v_add_f32_e32 v0, v7, v0
	ds_bpermute_b32 v1, v5, v0
	s_wait_dscnt 0x0
	v_dual_add_f32 v7, v0, v1 :: v_dual_add_nc_u32 v0, 8, v2
	ds_bpermute_b32 v8, v6, v7
	v_add_co_u32 v0, s1, s4, v0
	s_wait_alu 0xf1ff
	v_add_co_ci_u32_e64 v1, null, s5, 0, s1
	s_delay_alu instid0(VALU_DEP_1)
	v_cmp_le_i64_e64 s1, s[6:7], v[0:1]
	s_or_b32 s1, s0, s1
	s_wait_alu 0xfffe
	s_nor_b32 s1, s8, s1
	s_wait_dscnt 0x0
	v_add_f32_e32 v0, v7, v8
	s_wait_alu 0xfffe
	s_and_saveexec_b32 s9, s1
	s_cbranch_execz .LBB157_93
; %bb.92:
	v_add_co_u32 v7, s1, s4, v2
	s_wait_alu 0xf1ff
	v_add_co_ci_u32_e64 v8, null, s5, 0, s1
	s_delay_alu instid0(VALU_DEP_1) | instskip(NEXT) | instid1(VALU_DEP_1)
	v_lshlrev_b64_e32 v[7:8], 2, v[7:8]
	v_add_co_u32 v7, s1, s2, v7
	s_wait_alu 0xf1ff
	s_delay_alu instid0(VALU_DEP_2)
	v_add_co_ci_u32_e64 v8, null, s3, v8, s1
	global_store_b32 v[7:8], v0, off offset:32
.LBB157_93:
	s_wait_alu 0xfffe
	s_or_b32 exec_lo, exec_lo, s9
	v_cmp_gt_u32_e64 s1, 16, v2
	s_and_b32 exec_lo, exec_lo, s1
	s_cbranch_execz .LBB157_103
; %bb.94:
	s_and_saveexec_b32 s1, vcc_lo
	s_cbranch_execz .LBB157_96
; %bb.95:
	v_lshlrev_b32_e32 v0, 2, v2
	v_lshlrev_b32_e32 v1, 2, v3
	s_delay_alu instid0(VALU_DEP_1)
	v_add3_u32 v0, 0, v0, v1
	ds_load_b32 v0, v0 offset:64
.LBB157_96:
	s_wait_alu 0xfffe
	s_or_b32 exec_lo, exec_lo, s1
	s_wait_dscnt 0x0
	ds_bpermute_b32 v1, v4, v0
	s_wait_dscnt 0x0
	v_add_f32_e32 v0, v0, v1
	ds_bpermute_b32 v1, v5, v0
	s_wait_dscnt 0x0
	v_dual_add_f32 v7, v0, v1 :: v_dual_add_nc_u32 v0, 16, v2
	v_mov_b32_e32 v1, s5
	ds_bpermute_b32 v8, v6, v7
	v_or_b32_e32 v0, s4, v0
	s_delay_alu instid0(VALU_DEP_1)
	v_cmp_le_i64_e64 s1, s[6:7], v[0:1]
	s_or_b32 s1, s0, s1
	s_wait_alu 0xfffe
	s_nor_b32 s1, s8, s1
	s_wait_dscnt 0x0
	v_add_f32_e32 v0, v7, v8
	s_wait_alu 0xfffe
	s_and_saveexec_b32 s9, s1
	s_cbranch_execz .LBB157_98
; %bb.97:
	v_add_co_u32 v7, s1, s4, v2
	s_wait_alu 0xf1ff
	v_add_co_ci_u32_e64 v8, null, s5, 0, s1
	s_delay_alu instid0(VALU_DEP_1) | instskip(NEXT) | instid1(VALU_DEP_1)
	v_lshlrev_b64_e32 v[7:8], 2, v[7:8]
	v_add_co_u32 v7, s1, s2, v7
	s_wait_alu 0xf1ff
	s_delay_alu instid0(VALU_DEP_2)
	v_add_co_ci_u32_e64 v8, null, s3, v8, s1
	global_store_b32 v[7:8], v0, off offset:64
.LBB157_98:
	s_wait_alu 0xfffe
	s_or_b32 exec_lo, exec_lo, s9
	v_cmp_gt_u32_e64 s1, 8, v2
	s_and_b32 exec_lo, exec_lo, s1
	s_cbranch_execz .LBB157_103
; %bb.99:
	s_and_saveexec_b32 s1, vcc_lo
	s_cbranch_execz .LBB157_101
; %bb.100:
	v_lshlrev_b32_e32 v0, 2, v2
	v_lshlrev_b32_e32 v1, 2, v3
	s_delay_alu instid0(VALU_DEP_1)
	v_add3_u32 v0, 0, v0, v1
	ds_load_b32 v0, v0 offset:96
.LBB157_101:
	s_wait_alu 0xfffe
	s_or_b32 exec_lo, exec_lo, s1
	s_wait_dscnt 0x0
	ds_bpermute_b32 v1, v4, v0
	v_dual_mov_b32 v4, s5 :: v_dual_add_nc_u32 v3, 24, v2
	s_delay_alu instid0(VALU_DEP_1) | instskip(NEXT) | instid1(VALU_DEP_1)
	v_or_b32_e32 v3, s4, v3
	v_cmp_le_i64_e32 vcc_lo, s[6:7], v[3:4]
	s_or_b32 s0, s0, vcc_lo
	s_wait_dscnt 0x0
	v_add_f32_e32 v0, v0, v1
	s_wait_alu 0xfffe
	s_nor_b32 s0, s8, s0
	ds_bpermute_b32 v1, v5, v0
	s_wait_dscnt 0x0
	v_add_f32_e32 v0, v0, v1
	ds_bpermute_b32 v1, v6, v0
	s_wait_alu 0xfffe
	s_and_saveexec_b32 s1, s0
	s_wait_alu 0xfffe
	s_xor_b32 s1, exec_lo, s1
	s_cbranch_execz .LBB157_103
; %bb.102:
	v_add_co_u32 v2, s0, s4, v2
	s_wait_alu 0xf1ff
	v_add_co_ci_u32_e64 v3, null, s5, 0, s0
	s_wait_dscnt 0x0
	v_add_f32_e32 v4, v0, v1
	s_delay_alu instid0(VALU_DEP_2) | instskip(NEXT) | instid1(VALU_DEP_1)
	v_lshlrev_b64_e32 v[2:3], 2, v[2:3]
	v_add_co_u32 v0, vcc_lo, s2, v2
	s_wait_alu 0xfffd
	s_delay_alu instid0(VALU_DEP_2)
	v_add_co_ci_u32_e64 v1, null, s3, v3, vcc_lo
	global_store_b32 v[0:1], v4, off offset:96
.LBB157_103:
	s_endpgm
	.section	.rodata,"a",@progbits
	.p2align	6, 0x0
	.amdhsa_kernel _ZN2at6native12_GLOBAL__N_135GammaBetaBackwardCUDAKernelTemplateIffLj32ELj8ELj64ELb0ELb0ELb1EEEvllPKT_S5_PKT0_S8_PS3_S9_
		.amdhsa_group_segment_fixed_size 0
		.amdhsa_private_segment_fixed_size 0
		.amdhsa_kernarg_size 320
		.amdhsa_user_sgpr_count 2
		.amdhsa_user_sgpr_dispatch_ptr 0
		.amdhsa_user_sgpr_queue_ptr 0
		.amdhsa_user_sgpr_kernarg_segment_ptr 1
		.amdhsa_user_sgpr_dispatch_id 0
		.amdhsa_user_sgpr_private_segment_size 0
		.amdhsa_wavefront_size32 1
		.amdhsa_uses_dynamic_stack 0
		.amdhsa_enable_private_segment 0
		.amdhsa_system_sgpr_workgroup_id_x 1
		.amdhsa_system_sgpr_workgroup_id_y 1
		.amdhsa_system_sgpr_workgroup_id_z 0
		.amdhsa_system_sgpr_workgroup_info 0
		.amdhsa_system_vgpr_workitem_id 1
		.amdhsa_next_free_vgpr 92
		.amdhsa_next_free_sgpr 32
		.amdhsa_reserve_vcc 1
		.amdhsa_float_round_mode_32 0
		.amdhsa_float_round_mode_16_64 0
		.amdhsa_float_denorm_mode_32 3
		.amdhsa_float_denorm_mode_16_64 3
		.amdhsa_fp16_overflow 0
		.amdhsa_workgroup_processor_mode 1
		.amdhsa_memory_ordered 1
		.amdhsa_forward_progress 1
		.amdhsa_inst_pref_size 76
		.amdhsa_round_robin_scheduling 0
		.amdhsa_exception_fp_ieee_invalid_op 0
		.amdhsa_exception_fp_denorm_src 0
		.amdhsa_exception_fp_ieee_div_zero 0
		.amdhsa_exception_fp_ieee_overflow 0
		.amdhsa_exception_fp_ieee_underflow 0
		.amdhsa_exception_fp_ieee_inexact 0
		.amdhsa_exception_int_div_zero 0
	.end_amdhsa_kernel
	.section	.text._ZN2at6native12_GLOBAL__N_135GammaBetaBackwardCUDAKernelTemplateIffLj32ELj8ELj64ELb0ELb0ELb1EEEvllPKT_S5_PKT0_S8_PS3_S9_,"axG",@progbits,_ZN2at6native12_GLOBAL__N_135GammaBetaBackwardCUDAKernelTemplateIffLj32ELj8ELj64ELb0ELb0ELb1EEEvllPKT_S5_PKT0_S8_PS3_S9_,comdat
.Lfunc_end157:
	.size	_ZN2at6native12_GLOBAL__N_135GammaBetaBackwardCUDAKernelTemplateIffLj32ELj8ELj64ELb0ELb0ELb1EEEvllPKT_S5_PKT0_S8_PS3_S9_, .Lfunc_end157-_ZN2at6native12_GLOBAL__N_135GammaBetaBackwardCUDAKernelTemplateIffLj32ELj8ELj64ELb0ELb0ELb1EEEvllPKT_S5_PKT0_S8_PS3_S9_
                                        ; -- End function
	.set _ZN2at6native12_GLOBAL__N_135GammaBetaBackwardCUDAKernelTemplateIffLj32ELj8ELj64ELb0ELb0ELb1EEEvllPKT_S5_PKT0_S8_PS3_S9_.num_vgpr, 92
	.set _ZN2at6native12_GLOBAL__N_135GammaBetaBackwardCUDAKernelTemplateIffLj32ELj8ELj64ELb0ELb0ELb1EEEvllPKT_S5_PKT0_S8_PS3_S9_.num_agpr, 0
	.set _ZN2at6native12_GLOBAL__N_135GammaBetaBackwardCUDAKernelTemplateIffLj32ELj8ELj64ELb0ELb0ELb1EEEvllPKT_S5_PKT0_S8_PS3_S9_.numbered_sgpr, 32
	.set _ZN2at6native12_GLOBAL__N_135GammaBetaBackwardCUDAKernelTemplateIffLj32ELj8ELj64ELb0ELb0ELb1EEEvllPKT_S5_PKT0_S8_PS3_S9_.num_named_barrier, 0
	.set _ZN2at6native12_GLOBAL__N_135GammaBetaBackwardCUDAKernelTemplateIffLj32ELj8ELj64ELb0ELb0ELb1EEEvllPKT_S5_PKT0_S8_PS3_S9_.private_seg_size, 0
	.set _ZN2at6native12_GLOBAL__N_135GammaBetaBackwardCUDAKernelTemplateIffLj32ELj8ELj64ELb0ELb0ELb1EEEvllPKT_S5_PKT0_S8_PS3_S9_.uses_vcc, 1
	.set _ZN2at6native12_GLOBAL__N_135GammaBetaBackwardCUDAKernelTemplateIffLj32ELj8ELj64ELb0ELb0ELb1EEEvllPKT_S5_PKT0_S8_PS3_S9_.uses_flat_scratch, 0
	.set _ZN2at6native12_GLOBAL__N_135GammaBetaBackwardCUDAKernelTemplateIffLj32ELj8ELj64ELb0ELb0ELb1EEEvllPKT_S5_PKT0_S8_PS3_S9_.has_dyn_sized_stack, 0
	.set _ZN2at6native12_GLOBAL__N_135GammaBetaBackwardCUDAKernelTemplateIffLj32ELj8ELj64ELb0ELb0ELb1EEEvllPKT_S5_PKT0_S8_PS3_S9_.has_recursion, 0
	.set _ZN2at6native12_GLOBAL__N_135GammaBetaBackwardCUDAKernelTemplateIffLj32ELj8ELj64ELb0ELb0ELb1EEEvllPKT_S5_PKT0_S8_PS3_S9_.has_indirect_call, 0
	.section	.AMDGPU.csdata,"",@progbits
; Kernel info:
; codeLenInByte = 9668
; TotalNumSgprs: 34
; NumVgprs: 92
; ScratchSize: 0
; MemoryBound: 0
; FloatMode: 240
; IeeeMode: 1
; LDSByteSize: 0 bytes/workgroup (compile time only)
; SGPRBlocks: 0
; VGPRBlocks: 11
; NumSGPRsForWavesPerEU: 34
; NumVGPRsForWavesPerEU: 92
; Occupancy: 16
; WaveLimiterHint : 0
; COMPUTE_PGM_RSRC2:SCRATCH_EN: 0
; COMPUTE_PGM_RSRC2:USER_SGPR: 2
; COMPUTE_PGM_RSRC2:TRAP_HANDLER: 0
; COMPUTE_PGM_RSRC2:TGID_X_EN: 1
; COMPUTE_PGM_RSRC2:TGID_Y_EN: 1
; COMPUTE_PGM_RSRC2:TGID_Z_EN: 0
; COMPUTE_PGM_RSRC2:TIDIG_COMP_CNT: 1
	.section	.text._ZN2at6native12_GLOBAL__N_135GammaBetaBackwardCUDAKernelTemplateIffLj32ELj16ELj128ELb0ELb1ELb1EEEvllPKT_S5_PKT0_S8_PS3_S9_,"axG",@progbits,_ZN2at6native12_GLOBAL__N_135GammaBetaBackwardCUDAKernelTemplateIffLj32ELj16ELj128ELb0ELb1ELb1EEEvllPKT_S5_PKT0_S8_PS3_S9_,comdat
	.globl	_ZN2at6native12_GLOBAL__N_135GammaBetaBackwardCUDAKernelTemplateIffLj32ELj16ELj128ELb0ELb1ELb1EEEvllPKT_S5_PKT0_S8_PS3_S9_ ; -- Begin function _ZN2at6native12_GLOBAL__N_135GammaBetaBackwardCUDAKernelTemplateIffLj32ELj16ELj128ELb0ELb1ELb1EEEvllPKT_S5_PKT0_S8_PS3_S9_
	.p2align	8
	.type	_ZN2at6native12_GLOBAL__N_135GammaBetaBackwardCUDAKernelTemplateIffLj32ELj16ELj128ELb0ELb1ELb1EEEvllPKT_S5_PKT0_S8_PS3_S9_,@function
_ZN2at6native12_GLOBAL__N_135GammaBetaBackwardCUDAKernelTemplateIffLj32ELj16ELj128ELb0ELb1ELb1EEEvllPKT_S5_PKT0_S8_PS3_S9_: ; @_ZN2at6native12_GLOBAL__N_135GammaBetaBackwardCUDAKernelTemplateIffLj32ELj16ELj128ELb0ELb1ELb1EEEvllPKT_S5_PKT0_S8_PS3_S9_
; %bb.0:
	s_load_b128 s[4:7], s[0:1], 0x0
	s_lshl_b32 s12, ttmp7, 7
	s_mov_b32 s13, 0
	v_bfe_u32 v7, v0, 10, 10
	s_wait_kmcnt 0x0
	v_cmp_gt_i64_e64 s2, s[4:5], s[12:13]
	s_and_b32 vcc_lo, exec_lo, s2
	s_cbranch_vccnz .LBB158_2
; %bb.1:
	v_bfe_u32 v1, v0, 10, 10
	s_mov_b32 s2, s13
	v_and_b32_e32 v6, 0x3ff, v0
	v_mov_b32_e32 v12, 0
	s_and_not1_b32 vcc_lo, exec_lo, s2
	s_cbranch_vccz .LBB158_3
	s_branch .LBB158_10
.LBB158_2:
                                        ; implicit-def: $vgpr1
	v_and_b32_e32 v6, 0x3ff, v0
	v_mov_b32_e32 v12, 0
.LBB158_3:
	s_load_b32 s2, s[0:1], 0x4c
	v_dual_mov_b32 v1, 0 :: v_dual_lshlrev_b32 v0, 3, v7
	s_clause 0x2
	s_load_b32 s3, s[0:1], 0x44
	s_load_b128 s[8:11], s[0:1], 0x10
	s_load_b64 s[16:17], s[0:1], 0x28
	s_mov_b32 s15, 0
	v_dual_mov_b32 v8, 8 :: v_dual_mov_b32 v9, 4
	v_add_co_u32 v2, s14, v0, s12
	s_delay_alu instid0(VALU_DEP_1) | instskip(SKIP_1) | instid1(VALU_DEP_3)
	v_add_co_ci_u32_e64 v3, null, 0, 0, s14
	v_lshl_add_u32 v0, ttmp9, 5, v6
	v_mul_lo_u32 v12, s7, v2
	v_mad_co_u64_u32 v[4:5], null, s6, v2, 0
	s_delay_alu instid0(VALU_DEP_4) | instskip(NEXT) | instid1(VALU_DEP_4)
	v_mul_lo_u32 v14, s6, v3
	v_lshlrev_b64_e32 v[15:16], 2, v[0:1]
	v_dual_mov_b32 v10, 12 :: v_dual_mov_b32 v11, 16
	v_mov_b32_e32 v0, 24
	s_wait_kmcnt 0x0
	s_and_b32 s2, s2, 0xffff
	s_lshl_b32 s14, s3, 7
	v_mad_u32_u24 v13, v7, s2, v6
	v_add3_u32 v5, v5, v14, v12
	v_mov_b32_e32 v14, 28
	v_mov_b32_e32 v12, 0
	s_wait_alu 0xfffe
	s_mul_u64 s[18:19], s[6:7], s[14:15]
	v_and_b32_e32 v19, 31, v13
	v_lshlrev_b64_e32 v[4:5], 2, v[4:5]
	v_mov_b32_e32 v13, 20
	s_lshl_b64 s[18:19], s[18:19], 2
	s_lshl_b64 s[6:7], s[6:7], 2
	v_add_co_u32 v2, vcc_lo, v2, v19
	s_delay_alu instid0(VALU_DEP_1) | instskip(SKIP_3) | instid1(VALU_DEP_3)
	v_add_co_ci_u32_e64 v3, null, 0, v3, vcc_lo
	v_add_co_u32 v15, vcc_lo, v4, v15
	s_wait_alu 0xfffd
	v_add_co_ci_u32_e64 v16, null, v5, v16, vcc_lo
	v_lshlrev_b64_e32 v[17:18], 2, v[2:3]
	v_cmp_gt_u32_e64 s2, 8, v19
	s_delay_alu instid0(VALU_DEP_2) | instskip(SKIP_1) | instid1(VALU_DEP_3)
	v_add_co_u32 v4, vcc_lo, s16, v17
	s_wait_alu 0xfffd
	v_add_co_ci_u32_e64 v5, null, s17, v18, vcc_lo
	s_lshl_b64 s[16:17], s[14:15], 2
	s_branch .LBB158_6
.LBB158_4:                              ;   in Loop: Header=BB158_6 Depth=1
	s_or_b32 exec_lo, exec_lo, s20
.LBB158_5:                              ;   in Loop: Header=BB158_6 Depth=1
	s_wait_alu 0xfffe
	s_or_b32 exec_lo, exec_lo, s3
	v_add_co_u32 v18, vcc_lo, s8, v15
	s_wait_alu 0xfffd
	v_add_co_ci_u32_e64 v19, null, s9, v16, vcc_lo
	v_add_co_u32 v20, vcc_lo, s10, v15
	s_wait_alu 0xfffd
	v_add_co_ci_u32_e64 v21, null, s11, v16, vcc_lo
	;; [unrolled: 3-line block ×5, first 2 shown]
	global_load_b32 v28, v[18:19], off
	global_load_b32 v29, v[20:21], off
	;; [unrolled: 1-line block ×5, first 2 shown]
	v_add_co_u32 v18, vcc_lo, v24, s6
	s_wait_alu 0xfffd
	v_add_co_ci_u32_e64 v19, null, s7, v25, vcc_lo
	v_add_co_u32 v20, vcc_lo, v26, s6
	s_wait_alu 0xfffd
	v_add_co_ci_u32_e64 v21, null, s7, v27, vcc_lo
	;; [unrolled: 3-line block ×5, first 2 shown]
	global_load_b32 v33, v[18:19], off
	global_load_b32 v34, v[20:21], off
	;; [unrolled: 1-line block ×5, first 2 shown]
	v_add_co_u32 v18, vcc_lo, v24, s6
	s_wait_alu 0xfffd
	v_add_co_ci_u32_e64 v19, null, s7, v25, vcc_lo
	v_add_co_u32 v20, vcc_lo, v26, s6
	s_wait_alu 0xfffd
	v_add_co_ci_u32_e64 v21, null, s7, v27, vcc_lo
	;; [unrolled: 3-line block ×4, first 2 shown]
	global_load_b32 v26, v[18:19], off
	global_load_b32 v27, v[20:21], off
	;; [unrolled: 1-line block ×4, first 2 shown]
	v_add_co_u32 v18, vcc_lo, v22, s6
	s_wait_alu 0xfffd
	v_add_co_ci_u32_e64 v19, null, s7, v23, vcc_lo
	v_add_co_u32 v20, vcc_lo, v24, s6
	s_wait_alu 0xfffd
	v_add_co_ci_u32_e64 v21, null, s7, v25, vcc_lo
	global_load_b32 v18, v[18:19], off
	global_load_b32 v19, v[20:21], off
	s_wait_loadcnt 0x10
	ds_bpermute_b32 v20, v1, v17
	ds_bpermute_b32 v21, v9, v17
	;; [unrolled: 1-line block ×4, first 2 shown]
	v_add_co_u32 v4, vcc_lo, v4, s16
	s_add_nc_u64 s[12:13], s[12:13], s[14:15]
	s_wait_alu 0xfffd
	v_add_co_ci_u32_e64 v5, null, s17, v5, vcc_lo
	v_add_co_u32 v2, vcc_lo, v2, s14
	s_wait_alu 0xfffe
	v_cmp_lt_i64_e64 s3, s[12:13], s[4:5]
	s_wait_alu 0xfffd
	v_add_co_ci_u32_e64 v3, null, 0, v3, vcc_lo
	v_add_co_u32 v15, vcc_lo, v15, s18
	s_wait_alu 0xfffd
	v_add_co_ci_u32_e64 v16, null, s19, v16, vcc_lo
	s_and_b32 vcc_lo, exec_lo, s3
	s_wait_loadcnt 0xe
	v_mul_f32_e32 v23, v28, v29
	s_wait_dscnt 0x3
	s_delay_alu instid0(VALU_DEP_1)
	v_fmac_f32_e32 v12, v23, v20
	s_wait_loadcnt 0xc
	v_mul_f32_e32 v20, v30, v31
	ds_bpermute_b32 v23, v11, v17
	s_wait_dscnt 0x3
	v_fmac_f32_e32 v12, v20, v21
	ds_bpermute_b32 v21, v13, v17
	s_wait_loadcnt 0xa
	v_mul_f32_e32 v20, v32, v33
	s_wait_dscnt 0x3
	s_delay_alu instid0(VALU_DEP_1)
	v_fmac_f32_e32 v12, v20, v22
	s_wait_loadcnt 0x8
	v_mul_f32_e32 v20, v34, v35
	ds_bpermute_b32 v22, v0, v17
	ds_bpermute_b32 v17, v14, v17
	s_wait_dscnt 0x4
	v_fmac_f32_e32 v12, v20, v24
	s_wait_loadcnt 0x6
	v_mul_f32_e32 v20, v36, v37
	s_wait_dscnt 0x3
	s_delay_alu instid0(VALU_DEP_1) | instskip(SKIP_3) | instid1(VALU_DEP_1)
	v_fmac_f32_e32 v12, v20, v23
	s_wait_loadcnt 0x4
	v_mul_f32_e32 v20, v26, v27
	s_wait_dscnt 0x2
	v_fmac_f32_e32 v12, v20, v21
	s_wait_loadcnt 0x2
	v_mul_f32_e32 v20, v38, v39
	s_wait_dscnt 0x1
	s_delay_alu instid0(VALU_DEP_1) | instskip(SKIP_3) | instid1(VALU_DEP_1)
	v_fmac_f32_e32 v12, v20, v22
	s_wait_loadcnt 0x0
	v_mul_f32_e32 v18, v18, v19
	s_wait_dscnt 0x0
	v_fmac_f32_e32 v12, v18, v17
	s_wait_alu 0xfffe
	s_cbranch_vccz .LBB158_9
.LBB158_6:                              ; =>This Inner Loop Header: Depth=1
	v_mov_b32_e32 v17, 0
	s_and_saveexec_b32 s3, s2
	s_cbranch_execz .LBB158_5
; %bb.7:                                ;   in Loop: Header=BB158_6 Depth=1
	v_mov_b32_e32 v17, 0
	s_mov_b32 s20, exec_lo
	v_cmpx_gt_i64_e64 s[4:5], v[2:3]
	s_cbranch_execz .LBB158_4
; %bb.8:                                ;   in Loop: Header=BB158_6 Depth=1
	global_load_b32 v17, v[4:5], off
	s_branch .LBB158_4
.LBB158_9:
	v_mov_b32_e32 v1, v7
.LBB158_10:
	s_load_b64 s[2:3], s[0:1], 0x30
	s_delay_alu instid0(VALU_DEP_1) | instskip(SKIP_3) | instid1(VALU_DEP_3)
	v_mad_u32_u24 v0, v1, 33, v6
	v_lshrrev_b32_e32 v2, 5, v6
	v_mov_b32_e32 v4, 0
	s_mov_b32 s0, exec_lo
	v_lshl_add_u32 v3, v0, 2, 0
	s_delay_alu instid0(VALU_DEP_3)
	v_add_nc_u32_e32 v0, v2, v1
	ds_store_b32 v3, v12
	ds_store_b32 v3, v4 offset:2112
	s_wait_dscnt 0x0
	s_barrier_signal -1
	s_barrier_wait -1
	global_inv scope:SCOPE_SE
	v_cmpx_gt_u32_e32 32, v0
	s_cbranch_execz .LBB158_20
; %bb.11:
	v_and_b32_e32 v1, 31, v6
	s_delay_alu instid0(VALU_DEP_1)
	v_cmp_gt_u32_e32 vcc_lo, 16, v1
	v_mul_u32_u24_e32 v2, 33, v1
                                        ; implicit-def: $vgpr1
	s_and_saveexec_b32 s0, vcc_lo
	s_cbranch_execz .LBB158_13
; %bb.12:
	v_lshlrev_b32_e32 v1, 2, v0
	s_delay_alu instid0(VALU_DEP_2) | instskip(NEXT) | instid1(VALU_DEP_1)
	v_lshlrev_b32_e32 v3, 2, v2
	v_add3_u32 v1, 0, v1, v3
	ds_load_b32 v1, v1
.LBB158_13:
	s_wait_alu 0xfffe
	s_or_b32 exec_lo, exec_lo, s0
	v_mbcnt_lo_u32_b32 v7, -1, 0
	s_mov_b32 s4, ttmp9
	s_wait_kmcnt 0x0
	s_cmp_lg_u64 s[2:3], 0
	s_mov_b32 s5, 0
	s_cselect_b32 s1, -1, 0
	v_xor_b32_e32 v3, 8, v7
	v_xor_b32_e32 v4, 4, v7
	;; [unrolled: 1-line block ×3, first 2 shown]
	s_wait_alu 0xfffe
	s_lshl_b64 s[4:5], s[4:5], 7
	s_wait_alu 0xfffe
	s_add_nc_u64 s[2:3], s[2:3], s[4:5]
	v_cmp_gt_i32_e64 s0, 32, v3
	s_wait_alu 0xf1ff
	s_delay_alu instid0(VALU_DEP_1) | instskip(SKIP_1) | instid1(VALU_DEP_2)
	v_cndmask_b32_e64 v3, v7, v3, s0
	v_cmp_gt_i32_e64 s0, 32, v4
	v_lshlrev_b32_e32 v3, 2, v3
	s_wait_alu 0xf1ff
	s_delay_alu instid0(VALU_DEP_2)
	v_cndmask_b32_e64 v4, v7, v4, s0
	s_wait_dscnt 0x0
	ds_bpermute_b32 v5, v3, v1
	s_wait_dscnt 0x0
	v_dual_add_f32 v1, v1, v5 :: v_dual_lshlrev_b32 v4, 2, v4
	v_xor_b32_e32 v5, 2, v7
	ds_bpermute_b32 v8, v4, v1
	v_cmp_gt_i32_e64 s0, 32, v5
	s_wait_alu 0xf1ff
	s_delay_alu instid0(VALU_DEP_1) | instskip(SKIP_1) | instid1(VALU_DEP_2)
	v_cndmask_b32_e64 v5, v7, v5, s0
	v_cmp_gt_i32_e64 s0, 32, v9
	v_lshlrev_b32_e32 v5, 2, v5
	s_wait_alu 0xf1ff
	s_delay_alu instid0(VALU_DEP_2) | instskip(SKIP_1) | instid1(VALU_DEP_2)
	v_cndmask_b32_e64 v7, v7, v9, s0
	v_cmp_eq_u32_e64 s0, 0, v6
	v_lshlrev_b32_e32 v7, 2, v7
	s_and_b32 s1, s0, s1
	s_wait_dscnt 0x0
	v_add_f32_e32 v1, v1, v8
	ds_bpermute_b32 v8, v5, v1
	s_wait_dscnt 0x0
	v_add_f32_e32 v1, v1, v8
	ds_bpermute_b32 v8, v7, v1
	s_wait_dscnt 0x0
	v_add_f32_e32 v6, v1, v8
	s_wait_alu 0xfffe
	s_and_saveexec_b32 s4, s1
	s_cbranch_execz .LBB158_15
; %bb.14:
	v_mov_b32_e32 v1, 0
	s_delay_alu instid0(VALU_DEP_1) | instskip(NEXT) | instid1(VALU_DEP_1)
	v_lshlrev_b64_e32 v[8:9], 2, v[0:1]
	v_add_co_u32 v8, s0, s2, v8
	s_wait_alu 0xf1ff
	s_delay_alu instid0(VALU_DEP_2)
	v_add_co_ci_u32_e64 v9, null, s3, v9, s0
	global_store_b32 v[8:9], v6, off
.LBB158_15:
	s_wait_alu 0xfffe
	s_or_b32 exec_lo, exec_lo, s4
	v_cmp_gt_u32_e64 s0, 16, v0
	s_and_b32 exec_lo, exec_lo, s0
	s_cbranch_execz .LBB158_20
; %bb.16:
	s_and_saveexec_b32 s0, vcc_lo
	s_cbranch_execz .LBB158_18
; %bb.17:
	v_lshlrev_b32_e32 v1, 2, v0
	v_lshlrev_b32_e32 v2, 2, v2
	s_delay_alu instid0(VALU_DEP_1)
	v_add3_u32 v1, 0, v1, v2
	ds_load_b32 v6, v1 offset:64
.LBB158_18:
	s_wait_alu 0xfffe
	s_or_b32 exec_lo, exec_lo, s0
	s_wait_dscnt 0x0
	ds_bpermute_b32 v1, v3, v6
	s_wait_dscnt 0x0
	v_add_f32_e32 v1, v6, v1
	ds_bpermute_b32 v2, v4, v1
	s_wait_dscnt 0x0
	v_add_f32_e32 v1, v1, v2
	;; [unrolled: 3-line block ×3, first 2 shown]
	ds_bpermute_b32 v3, v7, v2
	s_and_saveexec_b32 s0, s1
	s_wait_alu 0xfffe
	s_xor_b32 s0, exec_lo, s0
	s_cbranch_execz .LBB158_20
; %bb.19:
	s_wait_dscnt 0x0
	v_dual_mov_b32 v1, 0 :: v_dual_add_f32 v2, v2, v3
	s_delay_alu instid0(VALU_DEP_1) | instskip(NEXT) | instid1(VALU_DEP_1)
	v_lshlrev_b64_e32 v[0:1], 2, v[0:1]
	v_add_co_u32 v0, vcc_lo, s2, v0
	s_wait_alu 0xfffd
	s_delay_alu instid0(VALU_DEP_2)
	v_add_co_ci_u32_e64 v1, null, s3, v1, vcc_lo
	global_store_b32 v[0:1], v2, off offset:64
.LBB158_20:
	s_endpgm
	.section	.rodata,"a",@progbits
	.p2align	6, 0x0
	.amdhsa_kernel _ZN2at6native12_GLOBAL__N_135GammaBetaBackwardCUDAKernelTemplateIffLj32ELj16ELj128ELb0ELb1ELb1EEEvllPKT_S5_PKT0_S8_PS3_S9_
		.amdhsa_group_segment_fixed_size 0
		.amdhsa_private_segment_fixed_size 0
		.amdhsa_kernarg_size 320
		.amdhsa_user_sgpr_count 2
		.amdhsa_user_sgpr_dispatch_ptr 0
		.amdhsa_user_sgpr_queue_ptr 0
		.amdhsa_user_sgpr_kernarg_segment_ptr 1
		.amdhsa_user_sgpr_dispatch_id 0
		.amdhsa_user_sgpr_private_segment_size 0
		.amdhsa_wavefront_size32 1
		.amdhsa_uses_dynamic_stack 0
		.amdhsa_enable_private_segment 0
		.amdhsa_system_sgpr_workgroup_id_x 1
		.amdhsa_system_sgpr_workgroup_id_y 1
		.amdhsa_system_sgpr_workgroup_id_z 0
		.amdhsa_system_sgpr_workgroup_info 0
		.amdhsa_system_vgpr_workitem_id 1
		.amdhsa_next_free_vgpr 40
		.amdhsa_next_free_sgpr 21
		.amdhsa_reserve_vcc 1
		.amdhsa_float_round_mode_32 0
		.amdhsa_float_round_mode_16_64 0
		.amdhsa_float_denorm_mode_32 3
		.amdhsa_float_denorm_mode_16_64 3
		.amdhsa_fp16_overflow 0
		.amdhsa_workgroup_processor_mode 1
		.amdhsa_memory_ordered 1
		.amdhsa_forward_progress 1
		.amdhsa_inst_pref_size 15
		.amdhsa_round_robin_scheduling 0
		.amdhsa_exception_fp_ieee_invalid_op 0
		.amdhsa_exception_fp_denorm_src 0
		.amdhsa_exception_fp_ieee_div_zero 0
		.amdhsa_exception_fp_ieee_overflow 0
		.amdhsa_exception_fp_ieee_underflow 0
		.amdhsa_exception_fp_ieee_inexact 0
		.amdhsa_exception_int_div_zero 0
	.end_amdhsa_kernel
	.section	.text._ZN2at6native12_GLOBAL__N_135GammaBetaBackwardCUDAKernelTemplateIffLj32ELj16ELj128ELb0ELb1ELb1EEEvllPKT_S5_PKT0_S8_PS3_S9_,"axG",@progbits,_ZN2at6native12_GLOBAL__N_135GammaBetaBackwardCUDAKernelTemplateIffLj32ELj16ELj128ELb0ELb1ELb1EEEvllPKT_S5_PKT0_S8_PS3_S9_,comdat
.Lfunc_end158:
	.size	_ZN2at6native12_GLOBAL__N_135GammaBetaBackwardCUDAKernelTemplateIffLj32ELj16ELj128ELb0ELb1ELb1EEEvllPKT_S5_PKT0_S8_PS3_S9_, .Lfunc_end158-_ZN2at6native12_GLOBAL__N_135GammaBetaBackwardCUDAKernelTemplateIffLj32ELj16ELj128ELb0ELb1ELb1EEEvllPKT_S5_PKT0_S8_PS3_S9_
                                        ; -- End function
	.set _ZN2at6native12_GLOBAL__N_135GammaBetaBackwardCUDAKernelTemplateIffLj32ELj16ELj128ELb0ELb1ELb1EEEvllPKT_S5_PKT0_S8_PS3_S9_.num_vgpr, 40
	.set _ZN2at6native12_GLOBAL__N_135GammaBetaBackwardCUDAKernelTemplateIffLj32ELj16ELj128ELb0ELb1ELb1EEEvllPKT_S5_PKT0_S8_PS3_S9_.num_agpr, 0
	.set _ZN2at6native12_GLOBAL__N_135GammaBetaBackwardCUDAKernelTemplateIffLj32ELj16ELj128ELb0ELb1ELb1EEEvllPKT_S5_PKT0_S8_PS3_S9_.numbered_sgpr, 21
	.set _ZN2at6native12_GLOBAL__N_135GammaBetaBackwardCUDAKernelTemplateIffLj32ELj16ELj128ELb0ELb1ELb1EEEvllPKT_S5_PKT0_S8_PS3_S9_.num_named_barrier, 0
	.set _ZN2at6native12_GLOBAL__N_135GammaBetaBackwardCUDAKernelTemplateIffLj32ELj16ELj128ELb0ELb1ELb1EEEvllPKT_S5_PKT0_S8_PS3_S9_.private_seg_size, 0
	.set _ZN2at6native12_GLOBAL__N_135GammaBetaBackwardCUDAKernelTemplateIffLj32ELj16ELj128ELb0ELb1ELb1EEEvllPKT_S5_PKT0_S8_PS3_S9_.uses_vcc, 1
	.set _ZN2at6native12_GLOBAL__N_135GammaBetaBackwardCUDAKernelTemplateIffLj32ELj16ELj128ELb0ELb1ELb1EEEvllPKT_S5_PKT0_S8_PS3_S9_.uses_flat_scratch, 0
	.set _ZN2at6native12_GLOBAL__N_135GammaBetaBackwardCUDAKernelTemplateIffLj32ELj16ELj128ELb0ELb1ELb1EEEvllPKT_S5_PKT0_S8_PS3_S9_.has_dyn_sized_stack, 0
	.set _ZN2at6native12_GLOBAL__N_135GammaBetaBackwardCUDAKernelTemplateIffLj32ELj16ELj128ELb0ELb1ELb1EEEvllPKT_S5_PKT0_S8_PS3_S9_.has_recursion, 0
	.set _ZN2at6native12_GLOBAL__N_135GammaBetaBackwardCUDAKernelTemplateIffLj32ELj16ELj128ELb0ELb1ELb1EEEvllPKT_S5_PKT0_S8_PS3_S9_.has_indirect_call, 0
	.section	.AMDGPU.csdata,"",@progbits
; Kernel info:
; codeLenInByte = 1920
; TotalNumSgprs: 23
; NumVgprs: 40
; ScratchSize: 0
; MemoryBound: 0
; FloatMode: 240
; IeeeMode: 1
; LDSByteSize: 0 bytes/workgroup (compile time only)
; SGPRBlocks: 0
; VGPRBlocks: 4
; NumSGPRsForWavesPerEU: 23
; NumVGPRsForWavesPerEU: 40
; Occupancy: 16
; WaveLimiterHint : 0
; COMPUTE_PGM_RSRC2:SCRATCH_EN: 0
; COMPUTE_PGM_RSRC2:USER_SGPR: 2
; COMPUTE_PGM_RSRC2:TRAP_HANDLER: 0
; COMPUTE_PGM_RSRC2:TGID_X_EN: 1
; COMPUTE_PGM_RSRC2:TGID_Y_EN: 1
; COMPUTE_PGM_RSRC2:TGID_Z_EN: 0
; COMPUTE_PGM_RSRC2:TIDIG_COMP_CNT: 1
	.section	.text._ZN2at6native12_GLOBAL__N_135GammaBetaBackwardCUDAKernelTemplateIffLj32ELj16ELj128ELb0ELb0ELb1EEEvllPKT_S5_PKT0_S8_PS3_S9_,"axG",@progbits,_ZN2at6native12_GLOBAL__N_135GammaBetaBackwardCUDAKernelTemplateIffLj32ELj16ELj128ELb0ELb0ELb1EEEvllPKT_S5_PKT0_S8_PS3_S9_,comdat
	.globl	_ZN2at6native12_GLOBAL__N_135GammaBetaBackwardCUDAKernelTemplateIffLj32ELj16ELj128ELb0ELb0ELb1EEEvllPKT_S5_PKT0_S8_PS3_S9_ ; -- Begin function _ZN2at6native12_GLOBAL__N_135GammaBetaBackwardCUDAKernelTemplateIffLj32ELj16ELj128ELb0ELb0ELb1EEEvllPKT_S5_PKT0_S8_PS3_S9_
	.p2align	8
	.type	_ZN2at6native12_GLOBAL__N_135GammaBetaBackwardCUDAKernelTemplateIffLj32ELj16ELj128ELb0ELb0ELb1EEEvllPKT_S5_PKT0_S8_PS3_S9_,@function
_ZN2at6native12_GLOBAL__N_135GammaBetaBackwardCUDAKernelTemplateIffLj32ELj16ELj128ELb0ELb0ELb1EEEvllPKT_S5_PKT0_S8_PS3_S9_: ; @_ZN2at6native12_GLOBAL__N_135GammaBetaBackwardCUDAKernelTemplateIffLj32ELj16ELj128ELb0ELb0ELb1EEEvllPKT_S5_PKT0_S8_PS3_S9_
; %bb.0:
	s_clause 0x1
	s_load_b256 s[4:11], s[0:1], 0x0
	s_load_b64 s[12:13], s[0:1], 0x28
	s_lshl_b32 s28, ttmp9, 5
	s_mov_b32 s15, 0
	s_or_b32 s14, s28, 31
	s_wait_kmcnt 0x0
	v_cmp_le_i64_e64 s2, s[6:7], s[14:15]
	s_lshl_b32 s14, ttmp7, 7
	s_wait_alu 0xfffe
	v_cmp_gt_i64_e64 s29, s[4:5], s[14:15]
	s_and_b32 vcc_lo, exec_lo, s2
	v_cndmask_b32_e64 v1, 0, 1, s29
	s_delay_alu instid0(VALU_DEP_1)
	v_cmp_ne_u32_e64 s2, 1, v1
	s_cbranch_vccz .LBB159_49
; %bb.1:
	v_mov_b32_e32 v86, 0
	s_and_b32 vcc_lo, exec_lo, s2
	s_cbranch_vccnz .LBB159_50
; %bb.2:
	v_bfe_u32 v20, v0, 10, 10
	v_dual_mov_b32 v1, 0 :: v_dual_and_b32 v22, 0x3ff, v0
	s_load_b32 s3, s[0:1], 0x44
	s_mov_b32 s17, 0
	s_delay_alu instid0(VALU_DEP_2) | instskip(NEXT) | instid1(VALU_DEP_2)
	v_lshlrev_b32_e32 v21, 3, v20
	v_dual_mov_b32 v3, v1 :: v_dual_add_nc_u32 v2, s28, v22
	s_mov_b32 s21, s17
	v_mov_b32_e32 v55, 0
	s_delay_alu instid0(VALU_DEP_3) | instskip(NEXT) | instid1(VALU_DEP_1)
	v_add_co_u32 v10, s2, v21, s14
	v_add_co_ci_u32_e64 v11, null, 0, 0, s2
	v_cmp_gt_i64_e64 s2, s[6:7], v[2:3]
	s_delay_alu instid0(VALU_DEP_3) | instskip(SKIP_1) | instid1(VALU_DEP_4)
	v_mul_lo_u32 v6, s7, v10
	v_mad_co_u64_u32 v[4:5], null, s6, v10, 0
	v_mul_lo_u32 v7, s6, v11
	v_add_co_u32 v8, vcc_lo, v10, 7
	s_delay_alu instid0(VALU_DEP_1) | instskip(SKIP_1) | instid1(VALU_DEP_3)
	v_add_co_ci_u32_e64 v9, null, 0, v11, vcc_lo
	v_lshlrev_b64_e32 v[18:19], 2, v[2:3]
	v_mul_lo_u32 v12, s7, v8
	s_wait_kmcnt 0x0
	s_lshl_b32 s20, s3, 7
	v_add3_u32 v5, v5, v7, v6
	v_mad_co_u64_u32 v[6:7], null, s6, v8, 0
	v_add_co_u32 v8, vcc_lo, v10, 6
	v_mul_lo_u32 v13, s6, v9
	s_wait_alu 0xfffd
	v_add_co_ci_u32_e64 v9, null, 0, v11, vcc_lo
	v_lshlrev_b64_e32 v[2:3], 2, v[4:5]
	v_mul_lo_u32 v14, s7, v8
	s_mul_u64 s[22:23], s[6:7], s[20:21]
	s_delay_alu instid0(VALU_DEP_3) | instskip(SKIP_1) | instid1(VALU_DEP_4)
	v_mul_lo_u32 v15, s6, v9
	v_mad_co_u64_u32 v[8:9], null, s6, v8, 0
	v_add_co_u32 v23, vcc_lo, s8, v2
	s_wait_alu 0xfffd
	v_add_co_ci_u32_e64 v24, null, s9, v3, vcc_lo
	v_add_co_u32 v25, vcc_lo, s10, v2
	v_add3_u32 v7, v7, v13, v12
	s_wait_alu 0xfffd
	v_add_co_ci_u32_e64 v26, null, s11, v3, vcc_lo
	v_add_co_u32 v12, vcc_lo, v10, 5
	v_add3_u32 v9, v9, v15, v14
	s_wait_alu 0xfffd
	v_add_co_ci_u32_e64 v13, null, 0, v11, vcc_lo
	v_lshlrev_b64_e32 v[2:3], 2, v[6:7]
	v_mul_lo_u32 v14, s7, v12
	v_lshlrev_b64_e32 v[6:7], 2, v[8:9]
	s_delay_alu instid0(VALU_DEP_4)
	v_mul_lo_u32 v13, s6, v13
	v_mad_co_u64_u32 v[8:9], null, s6, v12, 0
	v_add_co_u32 v27, vcc_lo, s8, v2
	s_wait_alu 0xfffd
	v_add_co_ci_u32_e64 v28, null, s9, v3, vcc_lo
	v_add_co_u32 v29, vcc_lo, s10, v2
	s_wait_alu 0xfffd
	v_add_co_ci_u32_e64 v30, null, s11, v3, vcc_lo
	v_add_co_u32 v31, vcc_lo, s8, v6
	v_add3_u32 v9, v9, v13, v14
	s_wait_alu 0xfffd
	v_add_co_ci_u32_e64 v32, null, s9, v7, vcc_lo
	v_add_co_u32 v12, vcc_lo, v10, 4
	v_add_co_u32 v33, s3, s10, v6
	s_wait_alu 0xfffd
	v_add_co_ci_u32_e64 v6, null, 0, v11, vcc_lo
	v_lshlrev_b64_e32 v[2:3], 2, v[8:9]
	v_add_co_u32 v8, vcc_lo, v10, 3
	s_wait_alu 0xfffd
	v_add_co_ci_u32_e64 v9, null, 0, v11, vcc_lo
	s_wait_alu 0xf1ff
	v_add_co_ci_u32_e64 v34, null, s11, v7, s3
	v_mul_lo_u32 v13, s7, v12
	v_mul_lo_u32 v14, s6, v6
	v_mad_co_u64_u32 v[6:7], null, s6, v12, 0
	v_mul_lo_u32 v12, s7, v8
	v_mul_lo_u32 v15, s6, v9
	v_mad_co_u64_u32 v[8:9], null, s6, v8, 0
	v_add_co_u32 v35, vcc_lo, s8, v2
	s_wait_alu 0xfffd
	v_add_co_ci_u32_e64 v36, null, s9, v3, vcc_lo
	v_add3_u32 v7, v7, v14, v13
	v_add_co_u32 v37, vcc_lo, s10, v2
	s_wait_alu 0xfffd
	v_add_co_ci_u32_e64 v38, null, s11, v3, vcc_lo
	v_add_co_u32 v10, vcc_lo, v10, 2
	v_add3_u32 v9, v9, v15, v12
	s_wait_alu 0xfffd
	v_add_co_ci_u32_e64 v11, null, 0, v11, vcc_lo
	v_lshlrev_b64_e32 v[2:3], 2, v[6:7]
	v_mul_lo_u32 v12, s7, v10
	v_lshlrev_b64_e32 v[6:7], 2, v[8:9]
	s_delay_alu instid0(VALU_DEP_4)
	v_mul_lo_u32 v11, s6, v11
	v_mad_co_u64_u32 v[8:9], null, s6, v10, 0
	v_add_co_u32 v39, vcc_lo, s8, v2
	s_wait_alu 0xfffd
	v_add_co_ci_u32_e64 v40, null, s9, v3, vcc_lo
	v_add_co_u32 v41, vcc_lo, s10, v2
	s_wait_alu 0xfffd
	v_add_co_ci_u32_e64 v42, null, s11, v3, vcc_lo
	;; [unrolled: 3-line block ×3, first 2 shown]
	v_add3_u32 v9, v9, v11, v12
	v_add_co_u32 v45, vcc_lo, s10, v6
	s_wait_alu 0xfffd
	v_add_co_ci_u32_e64 v46, null, s11, v7, vcc_lo
	v_add_co_u32 v4, vcc_lo, v4, s6
	s_wait_alu 0xfffd
	v_add_co_ci_u32_e64 v5, null, s7, v5, vcc_lo
	v_lshlrev_b64_e32 v[2:3], 2, v[8:9]
	s_add_nc_u64 s[18:19], s[0:1], 64
	s_lshl_b64 s[22:23], s[22:23], 2
	s_delay_alu instid0(VALU_DEP_2)
	v_lshlrev_b64_e32 v[4:5], 2, v[4:5]
	s_add_nc_u64 s[24:25], s[14:15], 0x7f
	s_mov_b64 s[26:27], s[14:15]
	v_add_co_u32 v47, vcc_lo, s8, v2
	s_wait_alu 0xfffd
	v_add_co_ci_u32_e64 v48, null, s9, v3, vcc_lo
	v_add_co_u32 v49, vcc_lo, s10, v2
	s_wait_alu 0xfffd
	v_add_co_ci_u32_e64 v50, null, s11, v3, vcc_lo
	v_add_co_u32 v51, vcc_lo, s8, v4
	s_wait_alu 0xfffd
	v_add_co_ci_u32_e64 v52, null, s9, v5, vcc_lo
	v_add_co_u32 v53, vcc_lo, s10, v4
	s_wait_alu 0xfffd
	v_add_co_ci_u32_e64 v54, null, s11, v5, vcc_lo
.LBB159_3:                              ; =>This Inner Loop Header: Depth=1
	v_cmp_ge_i64_e64 s3, s[24:25], s[4:5]
	v_add_co_u32 v56, s16, v21, s24
	s_wait_alu 0xf1ff
	v_add_co_ci_u32_e64 v57, null, 0, s25, s16
                                        ; implicit-def: $vgpr2_vgpr3_vgpr4_vgpr5_vgpr6_vgpr7_vgpr8_vgpr9
                                        ; implicit-def: $vgpr86
                                        ; implicit-def: $vgpr10_vgpr11_vgpr12_vgpr13_vgpr14_vgpr15_vgpr16_vgpr17
                                        ; implicit-def: $vgpr2
	s_and_b32 vcc_lo, exec_lo, s3
	s_mov_b32 s3, -1
	s_wait_alu 0xfffe
	s_cbranch_vccz .LBB159_25
; %bb.4:                                ;   in Loop: Header=BB159_3 Depth=1
	s_load_b32 s3, s[18:19], 0xc
	v_mov_b32_e32 v58, 0
	s_wait_kmcnt 0x0
	s_and_b32 s3, s3, 0xffff
	s_wait_alu 0xfffe
	v_mad_u32_u24 v2, v20, s3, v22
	s_mov_b32 s3, exec_lo
	s_delay_alu instid0(VALU_DEP_1) | instskip(NEXT) | instid1(VALU_DEP_1)
	v_and_b32_e32 v2, 31, v2
	v_cmpx_gt_u32_e32 8, v2
	s_cbranch_execz .LBB159_8
; %bb.5:                                ;   in Loop: Header=BB159_3 Depth=1
	v_add_co_u32 v2, vcc_lo, v56, v2
	s_wait_alu 0xfffd
	v_add_co_ci_u32_e64 v3, null, 0, v57, vcc_lo
	v_mov_b32_e32 v58, 0
	s_delay_alu instid0(VALU_DEP_3) | instskip(SKIP_1) | instid1(VALU_DEP_3)
	v_add_co_u32 v2, vcc_lo, 0xffffff81, v2
	s_wait_alu 0xfffd
	v_add_co_ci_u32_e64 v3, null, -1, v3, vcc_lo
	s_mov_b32 s16, exec_lo
	v_cmpx_gt_i64_e64 s[4:5], v[2:3]
	s_cbranch_execz .LBB159_7
; %bb.6:                                ;   in Loop: Header=BB159_3 Depth=1
	v_lshlrev_b64_e32 v[2:3], 2, v[2:3]
	s_delay_alu instid0(VALU_DEP_1) | instskip(SKIP_1) | instid1(VALU_DEP_2)
	v_add_co_u32 v2, vcc_lo, s12, v2
	s_wait_alu 0xfffd
	v_add_co_ci_u32_e64 v3, null, s13, v3, vcc_lo
	global_load_b32 v58, v[2:3], off
.LBB159_7:                              ;   in Loop: Header=BB159_3 Depth=1
	s_wait_alu 0xfffe
	s_or_b32 exec_lo, exec_lo, s16
.LBB159_8:                              ;   in Loop: Header=BB159_3 Depth=1
	s_wait_alu 0xfffe
	s_or_b32 exec_lo, exec_lo, s3
	v_add_co_u32 v9, vcc_lo, 0xffffff81, v56
	s_wait_alu 0xfffd
	v_add_co_ci_u32_e64 v10, null, -1, v57, vcc_lo
	v_mov_b32_e32 v8, v1
	v_dual_mov_b32 v2, v1 :: v_dual_mov_b32 v3, v1
	v_dual_mov_b32 v4, v1 :: v_dual_mov_b32 v5, v1
	;; [unrolled: 1-line block ×3, first 2 shown]
	v_cmp_gt_i64_e32 vcc_lo, s[4:5], v[9:10]
	s_delay_alu instid0(VALU_DEP_3) | instskip(NEXT) | instid1(VALU_DEP_3)
	v_dual_mov_b32 v17, v8 :: v_dual_mov_b32 v14, v5
	v_dual_mov_b32 v15, v6 :: v_dual_mov_b32 v16, v7
	v_dual_mov_b32 v13, v4 :: v_dual_mov_b32 v12, v3
	v_dual_mov_b32 v11, v2 :: v_dual_mov_b32 v10, v1
	v_mov_b32_e32 v9, v8
	v_mov_b32_e32 v8, v7
	;; [unrolled: 1-line block ×8, first 2 shown]
	s_and_b32 s16, s2, vcc_lo
	s_wait_alu 0xfffe
	s_and_saveexec_b32 s3, s16
	s_cbranch_execz .LBB159_10
; %bb.9:                                ;   in Loop: Header=BB159_3 Depth=1
	v_add_co_u32 v2, vcc_lo, v23, v18
	s_wait_alu 0xfffd
	v_add_co_ci_u32_e64 v3, null, v24, v19, vcc_lo
	v_add_co_u32 v4, vcc_lo, v25, v18
	s_wait_alu 0xfffd
	v_add_co_ci_u32_e64 v5, null, v26, v19, vcc_lo
	global_load_b32 v2, v[2:3], off
	global_load_b32 v10, v[4:5], off
	v_dual_mov_b32 v3, v1 :: v_dual_mov_b32 v4, v1
	v_dual_mov_b32 v5, v1 :: v_dual_mov_b32 v6, v1
	;; [unrolled: 1-line block ×6, first 2 shown]
	v_mov_b32_e32 v15, v1
	v_mov_b32_e32 v17, v1
.LBB159_10:                             ;   in Loop: Header=BB159_3 Depth=1
	s_wait_alu 0xfffe
	s_or_b32 exec_lo, exec_lo, s3
	v_add_co_u32 v59, vcc_lo, 0xffffff82, v56
	s_wait_alu 0xfffd
	v_add_co_ci_u32_e64 v60, null, -1, v57, vcc_lo
	s_delay_alu instid0(VALU_DEP_1)
	v_cmp_gt_i64_e32 vcc_lo, s[4:5], v[59:60]
	s_and_b32 s16, s2, vcc_lo
	s_wait_alu 0xfffe
	s_and_saveexec_b32 s3, s16
	s_cbranch_execz .LBB159_12
; %bb.11:                               ;   in Loop: Header=BB159_3 Depth=1
	v_add_co_u32 v59, vcc_lo, v51, v18
	s_wait_alu 0xfffd
	v_add_co_ci_u32_e64 v60, null, v52, v19, vcc_lo
	v_add_co_u32 v61, vcc_lo, v53, v18
	s_wait_alu 0xfffd
	v_add_co_ci_u32_e64 v62, null, v54, v19, vcc_lo
	global_load_b32 v3, v[59:60], off
	global_load_b32 v11, v[61:62], off
.LBB159_12:                             ;   in Loop: Header=BB159_3 Depth=1
	s_wait_alu 0xfffe
	s_or_b32 exec_lo, exec_lo, s3
	v_add_co_u32 v59, vcc_lo, 0xffffff83, v56
	s_wait_alu 0xfffd
	v_add_co_ci_u32_e64 v60, null, -1, v57, vcc_lo
	s_delay_alu instid0(VALU_DEP_1)
	v_cmp_gt_i64_e32 vcc_lo, s[4:5], v[59:60]
	s_and_b32 s16, s2, vcc_lo
	s_wait_alu 0xfffe
	s_and_saveexec_b32 s3, s16
	s_cbranch_execz .LBB159_14
; %bb.13:                               ;   in Loop: Header=BB159_3 Depth=1
	v_add_co_u32 v59, vcc_lo, v47, v18
	s_wait_alu 0xfffd
	v_add_co_ci_u32_e64 v60, null, v48, v19, vcc_lo
	v_add_co_u32 v61, vcc_lo, v49, v18
	s_wait_alu 0xfffd
	v_add_co_ci_u32_e64 v62, null, v50, v19, vcc_lo
	global_load_b32 v4, v[59:60], off
	global_load_b32 v12, v[61:62], off
.LBB159_14:                             ;   in Loop: Header=BB159_3 Depth=1
	;; [unrolled: 21-line block ×7, first 2 shown]
	s_wait_alu 0xfffe
	s_or_b32 exec_lo, exec_lo, s3
	s_wait_loadcnt 0x0
	ds_bpermute_b32 v59, v1, v58
	ds_bpermute_b32 v60, v1, v58 offset:4
	ds_bpermute_b32 v61, v1, v58 offset:8
	v_dual_mul_f32 v2, v10, v2 :: v_dual_mul_f32 v3, v11, v3
	ds_bpermute_b32 v10, v1, v58 offset:12
	ds_bpermute_b32 v11, v1, v58 offset:16
	v_mul_f32_e32 v6, v14, v6
	s_mov_b32 s3, 0
	s_wait_dscnt 0x4
	v_fma_f32 v86, v2, v59, v55
	v_mul_f32_e32 v2, v12, v4
	ds_bpermute_b32 v4, v1, v58 offset:20
	s_wait_dscnt 0x4
	v_dual_fmac_f32 v86, v3, v60 :: v_dual_mul_f32 v3, v13, v5
	ds_bpermute_b32 v5, v1, v58 offset:24
	s_wait_dscnt 0x4
	v_fmac_f32_e32 v86, v2, v61
	ds_bpermute_b32 v2, v1, v58 offset:28
	s_wait_dscnt 0x4
	v_fmac_f32_e32 v86, v3, v10
	v_mul_f32_e32 v3, v15, v7
	s_wait_dscnt 0x3
	s_delay_alu instid0(VALU_DEP_2) | instskip(SKIP_1) | instid1(VALU_DEP_1)
	v_fmac_f32_e32 v86, v6, v11
	s_wait_dscnt 0x2
	v_fmac_f32_e32 v86, v3, v4
	v_mul_f32_e32 v3, v16, v8
	s_wait_dscnt 0x1
	s_delay_alu instid0(VALU_DEP_1)
	v_fmac_f32_e32 v86, v3, v5
.LBB159_25:                             ;   in Loop: Header=BB159_3 Depth=1
	s_wait_alu 0xfffe
	s_and_b32 vcc_lo, exec_lo, s3
	s_wait_alu 0xfffe
	s_cbranch_vccz .LBB159_40
; %bb.26:                               ;   in Loop: Header=BB159_3 Depth=1
	s_load_b32 s3, s[18:19], 0x0
	v_mov_b32_e32 v58, 0
	s_wait_kmcnt 0x0
	s_cmp_lt_u32 ttmp9, s3
	s_cselect_b32 s16, 12, 18
	s_wait_alu 0xfffe
	s_add_nc_u64 s[30:31], s[18:19], s[16:17]
	s_load_u16 s3, s[30:31], 0x0
	s_wait_dscnt 0x0
	s_wait_kmcnt 0x0
	v_mad_u32_u24 v2, v20, s3, v22
	s_mov_b32 s3, exec_lo
	s_delay_alu instid0(VALU_DEP_1) | instskip(NEXT) | instid1(VALU_DEP_1)
	v_and_b32_e32 v2, 31, v2
	v_cmpx_gt_u32_e32 8, v2
	s_cbranch_execz .LBB159_30
; %bb.27:                               ;   in Loop: Header=BB159_3 Depth=1
	v_add_co_u32 v2, vcc_lo, v56, v2
	s_wait_alu 0xfffd
	v_add_co_ci_u32_e64 v3, null, 0, v57, vcc_lo
	v_mov_b32_e32 v58, 0
	s_delay_alu instid0(VALU_DEP_3) | instskip(SKIP_1) | instid1(VALU_DEP_3)
	v_add_co_u32 v2, vcc_lo, 0xffffff81, v2
	s_wait_alu 0xfffd
	v_add_co_ci_u32_e64 v3, null, -1, v3, vcc_lo
	s_mov_b32 s16, exec_lo
	v_cmpx_gt_i64_e64 s[4:5], v[2:3]
	s_cbranch_execz .LBB159_29
; %bb.28:                               ;   in Loop: Header=BB159_3 Depth=1
	v_lshlrev_b64_e32 v[2:3], 2, v[2:3]
	s_delay_alu instid0(VALU_DEP_1) | instskip(SKIP_1) | instid1(VALU_DEP_2)
	v_add_co_u32 v2, vcc_lo, s12, v2
	s_wait_alu 0xfffd
	v_add_co_ci_u32_e64 v3, null, s13, v3, vcc_lo
	global_load_b32 v58, v[2:3], off
.LBB159_29:                             ;   in Loop: Header=BB159_3 Depth=1
	s_wait_alu 0xfffe
	s_or_b32 exec_lo, exec_lo, s16
.LBB159_30:                             ;   in Loop: Header=BB159_3 Depth=1
	s_wait_alu 0xfffe
	s_or_b32 exec_lo, exec_lo, s3
	v_mov_b32_e32 v8, v1
	v_dual_mov_b32 v2, v1 :: v_dual_mov_b32 v3, v1
	v_dual_mov_b32 v4, v1 :: v_dual_mov_b32 v5, v1
	;; [unrolled: 1-line block ×3, first 2 shown]
	s_delay_alu instid0(VALU_DEP_4) | instskip(NEXT) | instid1(VALU_DEP_3)
	v_mov_b32_e32 v17, v8
	v_dual_mov_b32 v13, v4 :: v_dual_mov_b32 v12, v3
	s_delay_alu instid0(VALU_DEP_3) | instskip(NEXT) | instid1(VALU_DEP_4)
	v_dual_mov_b32 v15, v6 :: v_dual_mov_b32 v14, v5
	v_dual_mov_b32 v16, v7 :: v_dual_mov_b32 v11, v2
	;; [unrolled: 1-line block ×3, first 2 shown]
	v_mov_b32_e32 v8, v7
	v_mov_b32_e32 v7, v6
	;; [unrolled: 1-line block ×7, first 2 shown]
	s_and_saveexec_b32 s3, s2
	s_cbranch_execnz .LBB159_42
; %bb.31:                               ;   in Loop: Header=BB159_3 Depth=1
	s_wait_alu 0xfffe
	s_or_b32 exec_lo, exec_lo, s3
	s_and_saveexec_b32 s3, s2
	s_cbranch_execnz .LBB159_43
.LBB159_32:                             ;   in Loop: Header=BB159_3 Depth=1
	s_wait_alu 0xfffe
	s_or_b32 exec_lo, exec_lo, s3
	s_and_saveexec_b32 s3, s2
	s_cbranch_execnz .LBB159_44
.LBB159_33:                             ;   in Loop: Header=BB159_3 Depth=1
	s_wait_alu 0xfffe
	s_or_b32 exec_lo, exec_lo, s3
	s_and_saveexec_b32 s3, s2
	s_cbranch_execnz .LBB159_45
.LBB159_34:                             ;   in Loop: Header=BB159_3 Depth=1
	s_wait_alu 0xfffe
	s_or_b32 exec_lo, exec_lo, s3
	s_and_saveexec_b32 s3, s2
	s_cbranch_execnz .LBB159_46
.LBB159_35:                             ;   in Loop: Header=BB159_3 Depth=1
	s_wait_alu 0xfffe
	s_or_b32 exec_lo, exec_lo, s3
	s_and_saveexec_b32 s3, s2
	s_cbranch_execnz .LBB159_47
.LBB159_36:                             ;   in Loop: Header=BB159_3 Depth=1
	s_wait_alu 0xfffe
	s_or_b32 exec_lo, exec_lo, s3
	s_and_saveexec_b32 s3, s2
	s_cbranch_execnz .LBB159_48
.LBB159_37:                             ;   in Loop: Header=BB159_3 Depth=1
	s_wait_alu 0xfffe
	s_or_b32 exec_lo, exec_lo, s3
	s_and_saveexec_b32 s3, s2
	s_cbranch_execz .LBB159_39
.LBB159_38:                             ;   in Loop: Header=BB159_3 Depth=1
	v_add_co_u32 v56, vcc_lo, v27, v18
	s_wait_alu 0xfffd
	v_add_co_ci_u32_e64 v57, null, v28, v19, vcc_lo
	v_add_co_u32 v59, vcc_lo, v29, v18
	s_wait_alu 0xfffd
	v_add_co_ci_u32_e64 v60, null, v30, v19, vcc_lo
	global_load_b32 v9, v[56:57], off
	global_load_b32 v17, v[59:60], off
.LBB159_39:                             ;   in Loop: Header=BB159_3 Depth=1
	s_wait_alu 0xfffe
	s_or_b32 exec_lo, exec_lo, s3
	s_wait_loadcnt 0x0
	ds_bpermute_b32 v56, v1, v58
	ds_bpermute_b32 v57, v1, v58 offset:4
	ds_bpermute_b32 v59, v1, v58 offset:8
	v_dual_mul_f32 v2, v10, v2 :: v_dual_mul_f32 v3, v11, v3
	ds_bpermute_b32 v10, v1, v58 offset:12
	ds_bpermute_b32 v11, v1, v58 offset:16
	s_wait_dscnt 0x4
	v_fmac_f32_e32 v55, v2, v56
	v_mul_f32_e32 v2, v12, v4
	ds_bpermute_b32 v4, v1, v58 offset:20
	s_wait_dscnt 0x4
	v_fmac_f32_e32 v55, v3, v57
	v_mul_f32_e32 v3, v13, v5
	;; [unrolled: 4-line block ×3, first 2 shown]
	s_wait_dscnt 0x3
	s_delay_alu instid0(VALU_DEP_2) | instskip(SKIP_2) | instid1(VALU_DEP_2)
	v_fmac_f32_e32 v55, v3, v10
	v_mul_f32_e32 v3, v15, v7
	s_wait_dscnt 0x2
	v_fmac_f32_e32 v55, v2, v11
	ds_bpermute_b32 v2, v1, v58 offset:28
	s_wait_dscnt 0x2
	v_fmac_f32_e32 v55, v3, v4
	v_mul_f32_e32 v3, v16, v8
	s_wait_dscnt 0x1
	s_delay_alu instid0(VALU_DEP_1) | instskip(NEXT) | instid1(VALU_DEP_1)
	v_fmac_f32_e32 v55, v3, v5
	v_mov_b32_e32 v86, v55
.LBB159_40:                             ;   in Loop: Header=BB159_3 Depth=1
	v_add_co_u32 v23, vcc_lo, v23, s22
	s_wait_alu 0xfffd
	v_add_co_ci_u32_e64 v24, null, s23, v24, vcc_lo
	v_add_co_u32 v25, vcc_lo, v25, s22
	s_wait_alu 0xfffd
	v_add_co_ci_u32_e64 v26, null, s23, v26, vcc_lo
	;; [unrolled: 3-line block ×13, first 2 shown]
	v_add_co_u32 v49, vcc_lo, v49, s22
	v_mul_f32_e32 v3, v9, v17
	s_add_nc_u64 s[26:27], s[26:27], s[20:21]
	s_wait_alu 0xfffd
	v_add_co_ci_u32_e64 v50, null, s23, v50, vcc_lo
	v_add_co_u32 v51, vcc_lo, v51, s22
	s_wait_alu 0xfffe
	v_cmp_lt_i64_e64 s3, s[26:27], s[4:5]
	s_wait_alu 0xfffd
	v_add_co_ci_u32_e64 v52, null, s23, v52, vcc_lo
	v_add_co_u32 v53, vcc_lo, v53, s22
	s_wait_dscnt 0x0
	v_fmac_f32_e32 v86, v3, v2
	s_wait_alu 0xfffd
	v_add_co_ci_u32_e64 v54, null, s23, v54, vcc_lo
	s_and_b32 vcc_lo, exec_lo, s3
	s_add_nc_u64 s[24:25], s[24:25], s[20:21]
	s_wait_alu 0xfffe
	s_cbranch_vccz .LBB159_50
; %bb.41:                               ;   in Loop: Header=BB159_3 Depth=1
	v_mov_b32_e32 v55, v86
	s_branch .LBB159_3
.LBB159_42:                             ;   in Loop: Header=BB159_3 Depth=1
	v_add_co_u32 v2, vcc_lo, v23, v18
	s_wait_alu 0xfffd
	v_add_co_ci_u32_e64 v3, null, v24, v19, vcc_lo
	v_add_co_u32 v4, vcc_lo, v25, v18
	s_wait_alu 0xfffd
	v_add_co_ci_u32_e64 v5, null, v26, v19, vcc_lo
	global_load_b32 v2, v[2:3], off
	global_load_b32 v10, v[4:5], off
	v_dual_mov_b32 v3, v1 :: v_dual_mov_b32 v4, v1
	v_dual_mov_b32 v5, v1 :: v_dual_mov_b32 v6, v1
	;; [unrolled: 1-line block ×6, first 2 shown]
	v_mov_b32_e32 v15, v1
	v_mov_b32_e32 v17, v1
	s_wait_alu 0xfffe
	s_or_b32 exec_lo, exec_lo, s3
	s_and_saveexec_b32 s3, s2
	s_cbranch_execz .LBB159_32
.LBB159_43:                             ;   in Loop: Header=BB159_3 Depth=1
	v_add_co_u32 v56, vcc_lo, v51, v18
	s_wait_alu 0xfffd
	v_add_co_ci_u32_e64 v57, null, v52, v19, vcc_lo
	v_add_co_u32 v59, vcc_lo, v53, v18
	s_wait_alu 0xfffd
	v_add_co_ci_u32_e64 v60, null, v54, v19, vcc_lo
	global_load_b32 v3, v[56:57], off
	global_load_b32 v11, v[59:60], off
	s_wait_alu 0xfffe
	s_or_b32 exec_lo, exec_lo, s3
	s_and_saveexec_b32 s3, s2
	s_cbranch_execz .LBB159_33
.LBB159_44:                             ;   in Loop: Header=BB159_3 Depth=1
	v_add_co_u32 v56, vcc_lo, v47, v18
	s_wait_alu 0xfffd
	v_add_co_ci_u32_e64 v57, null, v48, v19, vcc_lo
	v_add_co_u32 v59, vcc_lo, v49, v18
	s_wait_alu 0xfffd
	v_add_co_ci_u32_e64 v60, null, v50, v19, vcc_lo
	global_load_b32 v4, v[56:57], off
	global_load_b32 v12, v[59:60], off
	s_wait_alu 0xfffe
	s_or_b32 exec_lo, exec_lo, s3
	s_and_saveexec_b32 s3, s2
	s_cbranch_execz .LBB159_34
.LBB159_45:                             ;   in Loop: Header=BB159_3 Depth=1
	v_add_co_u32 v56, vcc_lo, v43, v18
	s_wait_alu 0xfffd
	v_add_co_ci_u32_e64 v57, null, v44, v19, vcc_lo
	v_add_co_u32 v59, vcc_lo, v45, v18
	s_wait_alu 0xfffd
	v_add_co_ci_u32_e64 v60, null, v46, v19, vcc_lo
	global_load_b32 v5, v[56:57], off
	global_load_b32 v13, v[59:60], off
	s_wait_alu 0xfffe
	s_or_b32 exec_lo, exec_lo, s3
	s_and_saveexec_b32 s3, s2
	s_cbranch_execz .LBB159_35
.LBB159_46:                             ;   in Loop: Header=BB159_3 Depth=1
	v_add_co_u32 v56, vcc_lo, v39, v18
	s_wait_alu 0xfffd
	v_add_co_ci_u32_e64 v57, null, v40, v19, vcc_lo
	v_add_co_u32 v59, vcc_lo, v41, v18
	s_wait_alu 0xfffd
	v_add_co_ci_u32_e64 v60, null, v42, v19, vcc_lo
	global_load_b32 v6, v[56:57], off
	global_load_b32 v14, v[59:60], off
	s_wait_alu 0xfffe
	s_or_b32 exec_lo, exec_lo, s3
	s_and_saveexec_b32 s3, s2
	s_cbranch_execz .LBB159_36
.LBB159_47:                             ;   in Loop: Header=BB159_3 Depth=1
	v_add_co_u32 v56, vcc_lo, v35, v18
	s_wait_alu 0xfffd
	v_add_co_ci_u32_e64 v57, null, v36, v19, vcc_lo
	v_add_co_u32 v59, vcc_lo, v37, v18
	s_wait_alu 0xfffd
	v_add_co_ci_u32_e64 v60, null, v38, v19, vcc_lo
	global_load_b32 v7, v[56:57], off
	global_load_b32 v15, v[59:60], off
	s_wait_alu 0xfffe
	s_or_b32 exec_lo, exec_lo, s3
	s_and_saveexec_b32 s3, s2
	s_cbranch_execz .LBB159_37
.LBB159_48:                             ;   in Loop: Header=BB159_3 Depth=1
	v_add_co_u32 v56, vcc_lo, v31, v18
	s_wait_alu 0xfffd
	v_add_co_ci_u32_e64 v57, null, v32, v19, vcc_lo
	v_add_co_u32 v59, vcc_lo, v33, v18
	s_wait_alu 0xfffd
	v_add_co_ci_u32_e64 v60, null, v34, v19, vcc_lo
	global_load_b32 v8, v[56:57], off
	global_load_b32 v16, v[59:60], off
	s_wait_alu 0xfffe
	s_or_b32 exec_lo, exec_lo, s3
	s_and_saveexec_b32 s3, s2
	s_cbranch_execnz .LBB159_38
	s_branch .LBB159_39
.LBB159_49:
                                        ; implicit-def: $vgpr86
	s_branch .LBB159_51
.LBB159_50:
	s_cbranch_execnz .LBB159_83
.LBB159_51:
	v_mov_b32_e32 v86, 0
	s_and_not1_b32 vcc_lo, exec_lo, s29
	s_wait_alu 0xfffe
	s_cbranch_vccnz .LBB159_83
; %bb.52:
	v_bfe_u32 v48, v0, 10, 10
	v_dual_mov_b32 v1, 0 :: v_dual_and_b32 v50, 0x3ff, v0
	s_lshl_b64 s[18:19], s[14:15], 2
	s_mov_b32 s3, 0
	s_delay_alu instid0(VALU_DEP_2) | instskip(SKIP_2) | instid1(VALU_DEP_3)
	v_lshlrev_b32_e32 v49, 3, v48
	v_dual_mov_b32 v83, 0 :: v_dual_lshlrev_b32 v8, 5, v48
	v_dual_mov_b32 v5, v1 :: v_dual_add_nc_u32 v4, s28, v50
	v_add_co_u32 v10, s2, v49, s14
	s_wait_alu 0xf1ff
	v_add_co_ci_u32_e64 v11, null, 0, 0, s2
	s_delay_alu instid0(VALU_DEP_3) | instskip(NEXT) | instid1(VALU_DEP_3)
	v_lshlrev_b64_e32 v[18:19], 2, v[4:5]
	v_mul_lo_u32 v6, s7, v10
	v_mad_co_u64_u32 v[2:3], null, s6, v10, 0
	s_delay_alu instid0(VALU_DEP_4) | instskip(SKIP_2) | instid1(VALU_DEP_1)
	v_mul_lo_u32 v7, s6, v11
	s_load_b32 s2, s[0:1], 0x44
	s_mov_b32 s17, s3
	v_add3_u32 v3, v3, v7, v6
	v_add_co_u32 v6, s16, v8, s18
	s_wait_alu 0xf1ff
	v_add_co_ci_u32_e64 v7, null, 0, s19, s16
	s_delay_alu instid0(VALU_DEP_3) | instskip(NEXT) | instid1(VALU_DEP_3)
	v_lshlrev_b64_e32 v[4:5], 2, v[2:3]
	v_add_co_u32 v8, vcc_lo, v6, 4
	s_wait_alu 0xfffd
	s_delay_alu instid0(VALU_DEP_3) | instskip(NEXT) | instid1(VALU_DEP_3)
	v_add_co_ci_u32_e64 v9, null, 0, v7, vcc_lo
	v_add_co_u32 v51, vcc_lo, s8, v4
	s_wait_alu 0xfffd
	v_add_co_ci_u32_e64 v52, null, s9, v5, vcc_lo
	v_add_co_u32 v53, vcc_lo, s10, v4
	s_wait_alu 0xfffd
	;; [unrolled: 3-line block ×5, first 2 shown]
	v_add_co_ci_u32_e64 v28, null, 0, v7, vcc_lo
	v_add_co_u32 v42, vcc_lo, v6, 20
	v_mad_co_u64_u32 v[22:23], null, s6, v4, s[8:9]
	v_mul_lo_u32 v5, s6, v5
	v_mul_lo_u32 v15, s7, v4
	v_mad_co_u64_u32 v[36:37], null, s6, v4, s[10:11]
	s_wait_alu 0xfffd
	v_add_co_ci_u32_e64 v30, null, 0, v7, vcc_lo
	v_add_co_u32 v44, vcc_lo, v6, 24
	s_wait_alu 0xfffd
	v_add_co_ci_u32_e64 v32, null, 0, v7, vcc_lo
	v_add_co_u32 v6, vcc_lo, v6, 28
	v_mad_co_u64_u32 v[20:21], null, s6, v8, s[8:9]
	v_mul_lo_u32 v9, s6, v9
	v_mul_lo_u32 v12, s7, v8
	v_mad_co_u64_u32 v[34:35], null, s6, v8, s[10:11]
	s_wait_alu 0xfffd
	v_add_co_ci_u32_e64 v7, null, 0, v7, vcc_lo
	v_add_co_u32 v4, vcc_lo, v10, 7
	v_add3_u32 v23, v15, v23, v5
	v_add3_u32 v37, v15, v37, v5
	s_wait_alu 0xfffd
	v_add_co_ci_u32_e64 v5, null, 0, v11, vcc_lo
	v_mul_lo_u32 v61, s6, v7
	v_add_co_u32 v7, vcc_lo, v10, 6
	v_add3_u32 v21, v12, v21, v9
	v_add3_u32 v35, v12, v35, v9
	s_wait_alu 0xfffd
	v_add_co_ci_u32_e64 v12, null, 0, v11, vcc_lo
	v_mul_lo_u32 v8, s7, v4
	v_mul_lo_u32 v9, s6, v5
	v_mad_co_u64_u32 v[4:5], null, s6, v4, 0
	v_mad_co_u64_u32 v[24:25], null, s6, v13, s[8:9]
	v_mul_lo_u32 v17, s7, v13
	v_mul_lo_u32 v59, s6, v32
	v_mad_co_u64_u32 v[32:33], null, s6, v6, s[8:9]
	v_mul_lo_u32 v62, s7, v6
	v_mad_co_u64_u32 v[38:39], null, s6, v13, s[10:11]
	v_mad_co_u64_u32 v[46:47], null, s6, v6, s[10:11]
	v_mul_lo_u32 v13, s7, v7
	v_mul_lo_u32 v12, s6, v12
	v_mad_co_u64_u32 v[6:7], null, s6, v7, 0
	v_add3_u32 v5, v5, v9, v8
	v_add_co_u32 v8, vcc_lo, v10, 5
	v_mad_co_u64_u32 v[26:27], null, s6, v16, s[8:9]
	v_mul_lo_u32 v55, s6, v28
	v_mul_lo_u32 v56, s7, v16
	v_mad_co_u64_u32 v[40:41], null, s6, v16, s[10:11]
	s_wait_alu 0xfffd
	v_add_co_ci_u32_e64 v9, null, 0, v11, vcc_lo
	v_add3_u32 v7, v7, v12, v13
	v_mad_co_u64_u32 v[28:29], null, s6, v42, s[8:9]
	v_mul_lo_u32 v57, s6, v30
	v_mul_lo_u32 v58, s7, v42
	v_mad_co_u64_u32 v[42:43], null, s6, v42, s[10:11]
	v_lshlrev_b64_e32 v[4:5], 2, v[4:5]
	v_mad_co_u64_u32 v[30:31], null, s6, v44, s[8:9]
	v_mul_lo_u32 v60, s7, v44
	v_mad_co_u64_u32 v[44:45], null, s6, v44, s[10:11]
	v_mul_lo_u32 v12, s7, v8
	v_mul_lo_u32 v13, s6, v9
	v_mad_co_u64_u32 v[8:9], null, s6, v8, 0
	v_lshlrev_b64_e32 v[6:7], 2, v[6:7]
	v_add3_u32 v27, v56, v27, v55
	v_add3_u32 v41, v56, v41, v55
	v_add_co_u32 v55, vcc_lo, s8, v4
	v_add3_u32 v29, v58, v29, v57
	v_add3_u32 v43, v58, v43, v57
	s_wait_alu 0xfffd
	v_add_co_ci_u32_e64 v56, null, s9, v5, vcc_lo
	v_add_co_u32 v57, vcc_lo, s10, v4
	v_add3_u32 v31, v60, v31, v59
	v_add3_u32 v45, v60, v45, v59
	s_wait_alu 0xfffd
	v_add_co_ci_u32_e64 v58, null, s11, v5, vcc_lo
	v_add_co_u32 v59, vcc_lo, s8, v6
	v_mul_lo_u32 v14, s6, v14
	v_add3_u32 v9, v9, v13, v12
	s_wait_alu 0xfffd
	v_add_co_ci_u32_e64 v60, null, s9, v7, vcc_lo
	v_add_co_u32 v12, vcc_lo, v10, 4
	s_wait_kmcnt 0x0
	s_lshl_b32 s16, s2, 7
	v_add3_u32 v33, v62, v33, v61
	v_add3_u32 v47, v62, v47, v61
	v_add_co_u32 v61, s2, s10, v6
	s_wait_alu 0xfffd
	v_add_co_ci_u32_e64 v6, null, 0, v11, vcc_lo
	v_lshlrev_b64_e32 v[4:5], 2, v[8:9]
	v_add_co_u32 v8, vcc_lo, v10, 3
	s_wait_alu 0xfffd
	v_add_co_ci_u32_e64 v9, null, 0, v11, vcc_lo
	v_add3_u32 v25, v17, v25, v14
	v_add3_u32 v39, v17, v39, v14
	s_wait_alu 0xf1ff
	v_add_co_ci_u32_e64 v62, null, s11, v7, s2
	v_mul_lo_u32 v13, s7, v12
	v_mul_lo_u32 v14, s6, v6
	v_mad_co_u64_u32 v[6:7], null, s6, v12, 0
	v_mul_lo_u32 v12, s7, v8
	v_mul_lo_u32 v15, s6, v9
	v_mad_co_u64_u32 v[8:9], null, s6, v8, 0
	v_add_co_u32 v63, vcc_lo, s8, v4
	s_wait_alu 0xfffd
	v_add_co_ci_u32_e64 v64, null, s9, v5, vcc_lo
	v_add3_u32 v7, v7, v14, v13
	v_add_co_u32 v65, vcc_lo, s10, v4
	s_wait_alu 0xfffd
	v_add_co_ci_u32_e64 v66, null, s11, v5, vcc_lo
	v_add_co_u32 v10, vcc_lo, v10, 2
	v_add3_u32 v9, v9, v15, v12
	s_wait_alu 0xfffd
	v_add_co_ci_u32_e64 v11, null, 0, v11, vcc_lo
	v_lshlrev_b64_e32 v[4:5], 2, v[6:7]
	v_mul_lo_u32 v12, s7, v10
	v_lshlrev_b64_e32 v[6:7], 2, v[8:9]
	s_delay_alu instid0(VALU_DEP_4)
	v_mul_lo_u32 v11, s6, v11
	v_mad_co_u64_u32 v[8:9], null, s6, v10, 0
	v_add_co_u32 v67, vcc_lo, s8, v4
	s_wait_alu 0xfffd
	v_add_co_ci_u32_e64 v68, null, s9, v5, vcc_lo
	v_add_co_u32 v69, vcc_lo, s10, v4
	s_wait_alu 0xfffd
	v_add_co_ci_u32_e64 v70, null, s11, v5, vcc_lo
	;; [unrolled: 3-line block ×3, first 2 shown]
	v_add3_u32 v9, v9, v11, v12
	v_add_co_u32 v73, vcc_lo, s10, v6
	s_wait_alu 0xfffd
	v_add_co_ci_u32_e64 v74, null, s11, v7, vcc_lo
	v_add_co_u32 v2, vcc_lo, v2, s6
	s_wait_alu 0xfffd
	v_add_co_ci_u32_e64 v3, null, s7, v3, vcc_lo
	v_lshlrev_b64_e32 v[4:5], 2, v[8:9]
	s_wait_alu 0xfffe
	s_mul_u64 s[18:19], s[6:7], s[16:17]
	s_delay_alu instid0(VALU_DEP_2) | instskip(NEXT) | instid1(VALU_DEP_2)
	v_lshlrev_b64_e32 v[2:3], 2, v[2:3]
	v_add_co_u32 v75, vcc_lo, s8, v4
	s_wait_alu 0xfffd
	v_add_co_ci_u32_e64 v76, null, s9, v5, vcc_lo
	v_add_co_u32 v77, vcc_lo, s10, v4
	s_wait_alu 0xfffd
	v_add_co_ci_u32_e64 v78, null, s11, v5, vcc_lo
	;; [unrolled: 3-line block ×4, first 2 shown]
	s_add_nc_u64 s[8:9], s[0:1], 64
	s_wait_alu 0xfffe
	s_lshl_b64 s[10:11], s[18:19], 2
	s_add_nc_u64 s[18:19], s[14:15], 0x7f
.LBB159_53:                             ; =>This Inner Loop Header: Depth=1
	s_wait_alu 0xfffe
	v_cmp_ge_i64_e64 s2, s[18:19], s[4:5]
	v_add_co_u32 v84, s20, v49, s18
	s_wait_alu 0xf1ff
	v_add_co_ci_u32_e64 v85, null, 0, s19, s20
                                        ; implicit-def: $vgpr86
	s_and_b32 vcc_lo, exec_lo, s2
	s_mov_b32 s2, -1
	s_wait_alu 0xfffe
	s_cbranch_vccz .LBB159_75
; %bb.54:                               ;   in Loop: Header=BB159_53 Depth=1
	s_load_b32 s2, s[8:9], 0xc
	v_mov_b32_e32 v87, 0
	s_wait_kmcnt 0x0
	s_and_b32 s2, s2, 0xffff
	s_wait_alu 0xfffe
	v_mad_u32_u24 v2, v48, s2, v50
	s_mov_b32 s2, exec_lo
	s_delay_alu instid0(VALU_DEP_1) | instskip(NEXT) | instid1(VALU_DEP_1)
	v_and_b32_e32 v2, 31, v2
	v_cmpx_gt_u32_e32 8, v2
	s_cbranch_execz .LBB159_58
; %bb.55:                               ;   in Loop: Header=BB159_53 Depth=1
	v_add_co_u32 v2, vcc_lo, v84, v2
	s_wait_alu 0xfffd
	v_add_co_ci_u32_e64 v3, null, 0, v85, vcc_lo
	v_mov_b32_e32 v87, 0
	s_delay_alu instid0(VALU_DEP_3) | instskip(SKIP_1) | instid1(VALU_DEP_3)
	v_add_co_u32 v2, vcc_lo, 0xffffff81, v2
	s_wait_alu 0xfffd
	v_add_co_ci_u32_e64 v3, null, -1, v3, vcc_lo
	s_mov_b32 s20, exec_lo
	v_cmpx_gt_i64_e64 s[4:5], v[2:3]
	s_cbranch_execz .LBB159_57
; %bb.56:                               ;   in Loop: Header=BB159_53 Depth=1
	v_lshlrev_b64_e32 v[2:3], 2, v[2:3]
	s_delay_alu instid0(VALU_DEP_1) | instskip(SKIP_1) | instid1(VALU_DEP_2)
	v_add_co_u32 v2, vcc_lo, s12, v2
	s_wait_alu 0xfffd
	v_add_co_ci_u32_e64 v3, null, s13, v3, vcc_lo
	global_load_b32 v87, v[2:3], off
.LBB159_57:                             ;   in Loop: Header=BB159_53 Depth=1
	s_wait_alu 0xfffe
	s_or_b32 exec_lo, exec_lo, s20
.LBB159_58:                             ;   in Loop: Header=BB159_53 Depth=1
	s_wait_alu 0xfffe
	s_or_b32 exec_lo, exec_lo, s2
	v_add_co_u32 v9, vcc_lo, 0xffffff81, v84
	s_wait_alu 0xfffd
	v_add_co_ci_u32_e64 v10, null, -1, v85, vcc_lo
	v_mov_b32_e32 v8, v1
	v_dual_mov_b32 v2, v1 :: v_dual_mov_b32 v3, v1
	v_dual_mov_b32 v4, v1 :: v_dual_mov_b32 v5, v1
	;; [unrolled: 1-line block ×3, first 2 shown]
	v_cmp_gt_i64_e32 vcc_lo, s[4:5], v[9:10]
	s_delay_alu instid0(VALU_DEP_3) | instskip(NEXT) | instid1(VALU_DEP_3)
	v_dual_mov_b32 v17, v8 :: v_dual_mov_b32 v14, v5
	v_dual_mov_b32 v15, v6 :: v_dual_mov_b32 v16, v7
	;; [unrolled: 1-line block ×4, first 2 shown]
	v_mov_b32_e32 v9, v8
	v_mov_b32_e32 v8, v7
	;; [unrolled: 1-line block ×8, first 2 shown]
	s_and_saveexec_b32 s2, vcc_lo
	s_cbranch_execz .LBB159_60
; %bb.59:                               ;   in Loop: Header=BB159_53 Depth=1
	v_add_co_u32 v2, vcc_lo, v51, v18
	s_wait_alu 0xfffd
	v_add_co_ci_u32_e64 v3, null, v52, v19, vcc_lo
	v_add_co_u32 v4, vcc_lo, v53, v18
	s_wait_alu 0xfffd
	v_add_co_ci_u32_e64 v5, null, v54, v19, vcc_lo
	global_load_b32 v2, v[2:3], off
	global_load_b32 v10, v[4:5], off
	v_dual_mov_b32 v3, v1 :: v_dual_mov_b32 v4, v1
	v_dual_mov_b32 v5, v1 :: v_dual_mov_b32 v6, v1
	;; [unrolled: 1-line block ×6, first 2 shown]
	v_mov_b32_e32 v15, v1
	v_mov_b32_e32 v17, v1
.LBB159_60:                             ;   in Loop: Header=BB159_53 Depth=1
	s_wait_alu 0xfffe
	s_or_b32 exec_lo, exec_lo, s2
	v_add_co_u32 v88, vcc_lo, 0xffffff82, v84
	s_wait_alu 0xfffd
	v_add_co_ci_u32_e64 v89, null, -1, v85, vcc_lo
	s_mov_b32 s2, exec_lo
	v_cmpx_gt_i64_e64 s[4:5], v[88:89]
	s_cbranch_execz .LBB159_62
; %bb.61:                               ;   in Loop: Header=BB159_53 Depth=1
	v_add_co_u32 v88, vcc_lo, v79, v18
	s_wait_alu 0xfffd
	v_add_co_ci_u32_e64 v89, null, v80, v19, vcc_lo
	v_add_co_u32 v90, vcc_lo, v81, v18
	s_wait_alu 0xfffd
	v_add_co_ci_u32_e64 v91, null, v82, v19, vcc_lo
	global_load_b32 v3, v[88:89], off
	global_load_b32 v11, v[90:91], off
.LBB159_62:                             ;   in Loop: Header=BB159_53 Depth=1
	s_wait_alu 0xfffe
	s_or_b32 exec_lo, exec_lo, s2
	v_add_co_u32 v88, vcc_lo, 0xffffff83, v84
	s_wait_alu 0xfffd
	v_add_co_ci_u32_e64 v89, null, -1, v85, vcc_lo
	s_mov_b32 s2, exec_lo
	v_cmpx_gt_i64_e64 s[4:5], v[88:89]
	s_cbranch_execz .LBB159_64
; %bb.63:                               ;   in Loop: Header=BB159_53 Depth=1
	v_add_co_u32 v88, vcc_lo, v75, v18
	s_wait_alu 0xfffd
	v_add_co_ci_u32_e64 v89, null, v76, v19, vcc_lo
	v_add_co_u32 v90, vcc_lo, v77, v18
	s_wait_alu 0xfffd
	v_add_co_ci_u32_e64 v91, null, v78, v19, vcc_lo
	global_load_b32 v4, v[88:89], off
	global_load_b32 v12, v[90:91], off
.LBB159_64:                             ;   in Loop: Header=BB159_53 Depth=1
	;; [unrolled: 18-line block ×7, first 2 shown]
	s_wait_alu 0xfffe
	s_or_b32 exec_lo, exec_lo, s2
	s_wait_loadcnt 0x0
	ds_bpermute_b32 v86, v1, v87
	ds_bpermute_b32 v88, v1, v87 offset:4
	ds_bpermute_b32 v89, v1, v87 offset:8
	v_dual_mul_f32 v2, v10, v2 :: v_dual_mul_f32 v3, v11, v3
	ds_bpermute_b32 v10, v1, v87 offset:12
	ds_bpermute_b32 v11, v1, v87 offset:16
	s_mov_b32 s2, 0
	s_wait_dscnt 0x4
	v_fma_f32 v86, v2, v86, v83
	v_mul_f32_e32 v2, v12, v4
	ds_bpermute_b32 v4, v1, v87 offset:20
	s_wait_dscnt 0x4
	v_dual_fmac_f32 v86, v3, v88 :: v_dual_mul_f32 v3, v13, v5
	ds_bpermute_b32 v5, v1, v87 offset:24
	s_wait_dscnt 0x4
	v_fmac_f32_e32 v86, v2, v89
	v_mul_f32_e32 v2, v14, v6
	v_mul_f32_e32 v6, v15, v7
	s_wait_dscnt 0x3
	s_delay_alu instid0(VALU_DEP_3)
	v_fmac_f32_e32 v86, v3, v10
	ds_bpermute_b32 v3, v1, v87 offset:28
	s_wait_dscnt 0x3
	v_fmac_f32_e32 v86, v2, v11
	v_mul_f32_e32 v2, v16, v8
	s_wait_dscnt 0x2
	s_delay_alu instid0(VALU_DEP_2) | instskip(SKIP_1) | instid1(VALU_DEP_1)
	v_fmac_f32_e32 v86, v6, v4
	s_wait_dscnt 0x1
	v_fmac_f32_e32 v86, v2, v5
	v_mul_f32_e32 v2, v17, v9
	s_wait_dscnt 0x0
	s_delay_alu instid0(VALU_DEP_1)
	v_fmac_f32_e32 v86, v2, v3
.LBB159_75:                             ;   in Loop: Header=BB159_53 Depth=1
	s_wait_alu 0xfffe
	s_and_b32 vcc_lo, exec_lo, s2
	s_wait_alu 0xfffe
	s_cbranch_vccz .LBB159_81
; %bb.76:                               ;   in Loop: Header=BB159_53 Depth=1
	s_load_b32 s2, s[8:9], 0x0
	v_mov_b32_e32 v4, 0
	s_wait_kmcnt 0x0
	s_cmp_lt_u32 ttmp9, s2
	s_cselect_b32 s2, 12, 18
	s_wait_alu 0xfffe
	s_add_nc_u64 s[20:21], s[8:9], s[2:3]
	s_load_u16 s2, s[20:21], 0x0
	s_wait_kmcnt 0x0
	v_mad_u32_u24 v2, v48, s2, v50
	s_mov_b32 s2, exec_lo
	s_delay_alu instid0(VALU_DEP_1) | instskip(NEXT) | instid1(VALU_DEP_1)
	v_and_b32_e32 v2, 31, v2
	v_cmpx_gt_u32_e32 8, v2
	s_cbranch_execz .LBB159_80
; %bb.77:                               ;   in Loop: Header=BB159_53 Depth=1
	v_add_co_u32 v2, vcc_lo, v84, v2
	s_wait_alu 0xfffd
	v_add_co_ci_u32_e64 v3, null, 0, v85, vcc_lo
	v_mov_b32_e32 v4, 0
	s_delay_alu instid0(VALU_DEP_3) | instskip(SKIP_1) | instid1(VALU_DEP_3)
	v_add_co_u32 v2, vcc_lo, 0xffffff81, v2
	s_wait_alu 0xfffd
	v_add_co_ci_u32_e64 v3, null, -1, v3, vcc_lo
	s_mov_b32 s20, exec_lo
	v_cmpx_gt_i64_e64 s[4:5], v[2:3]
	s_cbranch_execz .LBB159_79
; %bb.78:                               ;   in Loop: Header=BB159_53 Depth=1
	v_lshlrev_b64_e32 v[2:3], 2, v[2:3]
	s_delay_alu instid0(VALU_DEP_1) | instskip(SKIP_1) | instid1(VALU_DEP_2)
	v_add_co_u32 v2, vcc_lo, s12, v2
	s_wait_alu 0xfffd
	v_add_co_ci_u32_e64 v3, null, s13, v3, vcc_lo
	global_load_b32 v4, v[2:3], off
.LBB159_79:                             ;   in Loop: Header=BB159_53 Depth=1
	s_wait_alu 0xfffe
	s_or_b32 exec_lo, exec_lo, s20
.LBB159_80:                             ;   in Loop: Header=BB159_53 Depth=1
	s_wait_alu 0xfffe
	s_or_b32 exec_lo, exec_lo, s2
	v_add_co_u32 v2, vcc_lo, v51, v18
	s_wait_alu 0xfffd
	v_add_co_ci_u32_e64 v3, null, v52, v19, vcc_lo
	v_add_co_u32 v5, vcc_lo, v53, v18
	s_wait_alu 0xfffd
	v_add_co_ci_u32_e64 v6, null, v54, v19, vcc_lo
	;; [unrolled: 3-line block ×4, first 2 shown]
	global_load_b32 v13, v[2:3], off
	global_load_b32 v14, v[5:6], off
	;; [unrolled: 1-line block ×4, first 2 shown]
	v_add_co_u32 v2, vcc_lo, v22, v18
	s_wait_alu 0xfffd
	v_add_co_ci_u32_e64 v3, null, v23, v19, vcc_lo
	v_add_co_u32 v5, vcc_lo, v36, v18
	s_wait_alu 0xfffd
	v_add_co_ci_u32_e64 v6, null, v37, v19, vcc_lo
	;; [unrolled: 3-line block ×5, first 2 shown]
	global_load_b32 v17, v[2:3], off
	global_load_b32 v84, v[5:6], off
	;; [unrolled: 1-line block ×5, first 2 shown]
	v_add_co_u32 v2, vcc_lo, v40, v18
	s_wait_alu 0xfffd
	v_add_co_ci_u32_e64 v3, null, v41, v19, vcc_lo
	v_add_co_u32 v5, vcc_lo, v28, v18
	s_wait_alu 0xfffd
	v_add_co_ci_u32_e64 v6, null, v29, v19, vcc_lo
	;; [unrolled: 3-line block ×5, first 2 shown]
	global_load_b32 v88, v[2:3], off
	global_load_b32 v89, v[5:6], off
	;; [unrolled: 1-line block ×5, first 2 shown]
	v_add_co_u32 v2, vcc_lo, v32, v18
	s_wait_alu 0xfffd
	v_add_co_ci_u32_e64 v3, null, v33, v19, vcc_lo
	v_add_co_u32 v5, vcc_lo, v46, v18
	s_wait_alu 0xfffd
	v_add_co_ci_u32_e64 v6, null, v47, v19, vcc_lo
	global_load_b32 v2, v[2:3], off
	global_load_b32 v3, v[5:6], off
	s_wait_loadcnt 0x10
	ds_bpermute_b32 v5, v1, v4
	ds_bpermute_b32 v6, v1, v4 offset:4
	ds_bpermute_b32 v10, v1, v4 offset:8
	;; [unrolled: 1-line block ×3, first 2 shown]
	s_wait_loadcnt 0xe
	v_mul_f32_e32 v12, v13, v14
	ds_bpermute_b32 v13, v1, v4 offset:16
	s_wait_loadcnt_dscnt 0xc04
	v_dual_mul_f32 v14, v15, v16 :: v_dual_fmac_f32 v83, v12, v5
	ds_bpermute_b32 v5, v1, v4 offset:20
	s_wait_dscnt 0x4
	v_fmac_f32_e32 v83, v14, v6
	ds_bpermute_b32 v6, v1, v4 offset:24
	ds_bpermute_b32 v4, v1, v4 offset:28
	s_wait_loadcnt 0xa
	v_mul_f32_e32 v12, v17, v84
	s_wait_loadcnt_dscnt 0x605
	s_delay_alu instid0(VALU_DEP_1) | instskip(SKIP_4) | instid1(VALU_DEP_2)
	v_dual_fmac_f32 v83, v12, v10 :: v_dual_mul_f32 v10, v87, v88
	v_mul_f32_e32 v14, v85, v86
	s_wait_loadcnt 0x2
	v_dual_mul_f32 v7, v89, v7 :: v_dual_mul_f32 v8, v8, v9
	s_wait_dscnt 0x4
	v_fmac_f32_e32 v83, v14, v11
	s_wait_dscnt 0x3
	s_delay_alu instid0(VALU_DEP_1) | instskip(SKIP_1) | instid1(VALU_DEP_1)
	v_fmac_f32_e32 v83, v10, v13
	s_wait_loadcnt_dscnt 0x2
	v_dual_mul_f32 v2, v2, v3 :: v_dual_fmac_f32 v83, v7, v5
	s_wait_dscnt 0x1
	s_delay_alu instid0(VALU_DEP_1) | instskip(SKIP_1) | instid1(VALU_DEP_1)
	v_fmac_f32_e32 v83, v8, v6
	s_wait_dscnt 0x0
	v_fmac_f32_e32 v83, v2, v4
	s_delay_alu instid0(VALU_DEP_1)
	v_mov_b32_e32 v86, v83
.LBB159_81:                             ;   in Loop: Header=BB159_53 Depth=1
	v_add_co_u32 v51, vcc_lo, v51, s10
	s_wait_alu 0xfffd
	v_add_co_ci_u32_e64 v52, null, s11, v52, vcc_lo
	v_add_co_u32 v53, vcc_lo, v53, s10
	s_wait_alu 0xfffd
	v_add_co_ci_u32_e64 v54, null, s11, v54, vcc_lo
	;; [unrolled: 3-line block ×27, first 2 shown]
	v_add_co_u32 v77, vcc_lo, v77, s10
	s_add_nc_u64 s[14:15], s[14:15], s[16:17]
	s_wait_alu 0xfffd
	v_add_co_ci_u32_e64 v78, null, s11, v78, vcc_lo
	v_add_co_u32 v79, vcc_lo, v79, s10
	s_wait_alu 0xfffe
	v_cmp_ge_i64_e64 s2, s[14:15], s[4:5]
	s_wait_alu 0xfffd
	v_add_co_ci_u32_e64 v80, null, s11, v80, vcc_lo
	v_add_co_u32 v81, vcc_lo, v81, s10
	s_wait_alu 0xfffd
	v_add_co_ci_u32_e64 v82, null, s11, v82, vcc_lo
	s_and_b32 vcc_lo, exec_lo, s2
	s_add_nc_u64 s[18:19], s[18:19], s[16:17]
	s_wait_alu 0xfffe
	s_cbranch_vccnz .LBB159_83
; %bb.82:                               ;   in Loop: Header=BB159_53 Depth=1
	v_mov_b32_e32 v83, v86
	s_branch .LBB159_53
.LBB159_83:
	v_and_b32_e32 v4, 0x3ff, v0
	v_bfe_u32 v1, v0, 10, 10
	v_bfe_u32 v0, v0, 5, 5
	s_mov_b32 s2, exec_lo
	s_delay_alu instid0(VALU_DEP_2) | instskip(NEXT) | instid1(VALU_DEP_2)
	v_mad_u32_u24 v3, v1, 33, v4
	v_dual_mov_b32 v1, 0 :: v_dual_add_nc_u32 v2, v0, v1
	s_delay_alu instid0(VALU_DEP_2)
	v_lshl_add_u32 v0, v3, 2, 0
	ds_store_b32 v0, v86
	ds_store_b32 v0, v1 offset:2112
	s_wait_dscnt 0x0
	s_barrier_signal -1
	s_barrier_wait -1
	global_inv scope:SCOPE_SE
	v_cmpx_gt_u32_e32 32, v2
	s_cbranch_execz .LBB159_93
; %bb.84:
	s_load_b64 s[2:3], s[0:1], 0x30
	v_and_b32_e32 v0, 31, v4
	s_delay_alu instid0(VALU_DEP_1)
	v_cmp_gt_u32_e32 vcc_lo, 16, v0
	v_mul_u32_u24_e32 v3, 33, v0
                                        ; implicit-def: $vgpr0
	s_and_saveexec_b32 s0, vcc_lo
	s_cbranch_execz .LBB159_86
; %bb.85:
	v_lshlrev_b32_e32 v0, 2, v2
	s_delay_alu instid0(VALU_DEP_2) | instskip(NEXT) | instid1(VALU_DEP_1)
	v_lshlrev_b32_e32 v1, 2, v3
	v_add3_u32 v0, 0, v0, v1
	ds_load_b32 v0, v0
.LBB159_86:
	s_or_b32 exec_lo, exec_lo, s0
	v_mbcnt_lo_u32_b32 v1, -1, 0
	s_mov_b32 s4, ttmp9
	s_mov_b32 s5, 0
	s_wait_alu 0xfffe
	s_lshl_b64 s[4:5], s[4:5], 5
	v_xor_b32_e32 v5, 8, v1
	v_xor_b32_e32 v6, 4, v1
	;; [unrolled: 1-line block ×3, first 2 shown]
	s_wait_kmcnt 0x0
	s_cmp_eq_u64 s[2:3], 0
	s_cselect_b32 s8, -1, 0
	v_cmp_gt_i32_e64 s0, 32, v5
	s_delay_alu instid0(VALU_DEP_1) | instskip(SKIP_1) | instid1(VALU_DEP_2)
	v_cndmask_b32_e64 v5, v1, v5, s0
	v_cmp_gt_i32_e64 s0, 32, v6
	v_lshlrev_b32_e32 v5, 2, v5
	s_wait_alu 0xf1ff
	s_delay_alu instid0(VALU_DEP_2)
	v_cndmask_b32_e64 v6, v1, v6, s0
	s_wait_dscnt 0x0
	ds_bpermute_b32 v7, v5, v0
	v_lshlrev_b32_e32 v6, 2, v6
	s_wait_dscnt 0x0
	v_add_f32_e32 v0, v0, v7
	v_xor_b32_e32 v7, 2, v1
	ds_bpermute_b32 v8, v6, v0
	v_cmp_gt_i32_e64 s0, 32, v7
	s_wait_alu 0xf1ff
	s_delay_alu instid0(VALU_DEP_1) | instskip(SKIP_1) | instid1(VALU_DEP_2)
	v_cndmask_b32_e64 v7, v1, v7, s0
	v_cmp_gt_i32_e64 s0, 32, v9
	v_lshlrev_b32_e32 v7, 2, v7
	s_wait_alu 0xf1ff
	s_delay_alu instid0(VALU_DEP_2)
	v_cndmask_b32_e64 v1, v1, v9, s0
	v_cmp_ne_u32_e64 s0, 0, v4
	s_wait_dscnt 0x0
	v_add_f32_e32 v0, v0, v8
	ds_bpermute_b32 v8, v7, v0
	s_wait_dscnt 0x0
	v_dual_add_f32 v9, v0, v8 :: v_dual_lshlrev_b32 v8, 2, v1
	s_wait_alu 0xfffe
	v_mov_b32_e32 v1, s5
	v_or_b32_e32 v0, s4, v2
	ds_bpermute_b32 v10, v8, v9
	v_cmp_le_i64_e64 s1, s[6:7], v[0:1]
	s_or_b32 s1, s0, s1
	s_wait_alu 0xfffe
	s_nor_b32 s1, s8, s1
	s_wait_dscnt 0x0
	v_add_f32_e32 v4, v9, v10
	s_wait_alu 0xfffe
	s_and_saveexec_b32 s9, s1
	s_cbranch_execz .LBB159_88
; %bb.87:
	v_lshlrev_b64_e32 v[0:1], 2, v[0:1]
	s_delay_alu instid0(VALU_DEP_1) | instskip(SKIP_1) | instid1(VALU_DEP_2)
	v_add_co_u32 v0, s1, s2, v0
	s_wait_alu 0xf1ff
	v_add_co_ci_u32_e64 v1, null, s3, v1, s1
	global_store_b32 v[0:1], v4, off
.LBB159_88:
	s_wait_alu 0xfffe
	s_or_b32 exec_lo, exec_lo, s9
	v_cmp_gt_u32_e64 s1, 16, v2
	s_and_b32 exec_lo, exec_lo, s1
	s_cbranch_execz .LBB159_93
; %bb.89:
	s_and_saveexec_b32 s1, vcc_lo
	s_cbranch_execz .LBB159_91
; %bb.90:
	v_lshlrev_b32_e32 v0, 2, v2
	v_lshlrev_b32_e32 v1, 2, v3
	s_delay_alu instid0(VALU_DEP_1)
	v_add3_u32 v0, 0, v0, v1
	ds_load_b32 v4, v0 offset:64
.LBB159_91:
	s_wait_alu 0xfffe
	s_or_b32 exec_lo, exec_lo, s1
	s_wait_dscnt 0x0
	ds_bpermute_b32 v0, v5, v4
	v_add_nc_u32_e32 v3, 16, v2
	s_delay_alu instid0(VALU_DEP_1)
	v_or_b32_e32 v3, s4, v3
	s_wait_dscnt 0x0
	v_add_f32_e32 v0, v4, v0
	v_mov_b32_e32 v4, s5
	ds_bpermute_b32 v1, v6, v0
	v_cmp_le_i64_e32 vcc_lo, s[6:7], v[3:4]
	s_or_b32 s0, s0, vcc_lo
	s_wait_alu 0xfffe
	s_nor_b32 s0, s8, s0
	s_wait_dscnt 0x0
	v_add_f32_e32 v0, v0, v1
	ds_bpermute_b32 v1, v7, v0
	s_wait_dscnt 0x0
	v_add_f32_e32 v0, v0, v1
	ds_bpermute_b32 v1, v8, v0
	s_wait_alu 0xfffe
	s_and_saveexec_b32 s1, s0
	s_wait_alu 0xfffe
	s_xor_b32 s1, exec_lo, s1
	s_cbranch_execz .LBB159_93
; %bb.92:
	v_add_co_u32 v2, s0, s4, v2
	s_wait_alu 0xf1ff
	v_add_co_ci_u32_e64 v3, null, s5, 0, s0
	s_wait_dscnt 0x0
	v_add_f32_e32 v4, v0, v1
	s_delay_alu instid0(VALU_DEP_2) | instskip(NEXT) | instid1(VALU_DEP_1)
	v_lshlrev_b64_e32 v[2:3], 2, v[2:3]
	v_add_co_u32 v0, vcc_lo, s2, v2
	s_wait_alu 0xfffd
	s_delay_alu instid0(VALU_DEP_2)
	v_add_co_ci_u32_e64 v1, null, s3, v3, vcc_lo
	global_store_b32 v[0:1], v4, off offset:64
.LBB159_93:
	s_endpgm
	.section	.rodata,"a",@progbits
	.p2align	6, 0x0
	.amdhsa_kernel _ZN2at6native12_GLOBAL__N_135GammaBetaBackwardCUDAKernelTemplateIffLj32ELj16ELj128ELb0ELb0ELb1EEEvllPKT_S5_PKT0_S8_PS3_S9_
		.amdhsa_group_segment_fixed_size 0
		.amdhsa_private_segment_fixed_size 0
		.amdhsa_kernarg_size 320
		.amdhsa_user_sgpr_count 2
		.amdhsa_user_sgpr_dispatch_ptr 0
		.amdhsa_user_sgpr_queue_ptr 0
		.amdhsa_user_sgpr_kernarg_segment_ptr 1
		.amdhsa_user_sgpr_dispatch_id 0
		.amdhsa_user_sgpr_private_segment_size 0
		.amdhsa_wavefront_size32 1
		.amdhsa_uses_dynamic_stack 0
		.amdhsa_enable_private_segment 0
		.amdhsa_system_sgpr_workgroup_id_x 1
		.amdhsa_system_sgpr_workgroup_id_y 1
		.amdhsa_system_sgpr_workgroup_id_z 0
		.amdhsa_system_sgpr_workgroup_info 0
		.amdhsa_system_vgpr_workitem_id 1
		.amdhsa_next_free_vgpr 92
		.amdhsa_next_free_sgpr 32
		.amdhsa_reserve_vcc 1
		.amdhsa_float_round_mode_32 0
		.amdhsa_float_round_mode_16_64 0
		.amdhsa_float_denorm_mode_32 3
		.amdhsa_float_denorm_mode_16_64 3
		.amdhsa_fp16_overflow 0
		.amdhsa_workgroup_processor_mode 1
		.amdhsa_memory_ordered 1
		.amdhsa_forward_progress 1
		.amdhsa_inst_pref_size 73
		.amdhsa_round_robin_scheduling 0
		.amdhsa_exception_fp_ieee_invalid_op 0
		.amdhsa_exception_fp_denorm_src 0
		.amdhsa_exception_fp_ieee_div_zero 0
		.amdhsa_exception_fp_ieee_overflow 0
		.amdhsa_exception_fp_ieee_underflow 0
		.amdhsa_exception_fp_ieee_inexact 0
		.amdhsa_exception_int_div_zero 0
	.end_amdhsa_kernel
	.section	.text._ZN2at6native12_GLOBAL__N_135GammaBetaBackwardCUDAKernelTemplateIffLj32ELj16ELj128ELb0ELb0ELb1EEEvllPKT_S5_PKT0_S8_PS3_S9_,"axG",@progbits,_ZN2at6native12_GLOBAL__N_135GammaBetaBackwardCUDAKernelTemplateIffLj32ELj16ELj128ELb0ELb0ELb1EEEvllPKT_S5_PKT0_S8_PS3_S9_,comdat
.Lfunc_end159:
	.size	_ZN2at6native12_GLOBAL__N_135GammaBetaBackwardCUDAKernelTemplateIffLj32ELj16ELj128ELb0ELb0ELb1EEEvllPKT_S5_PKT0_S8_PS3_S9_, .Lfunc_end159-_ZN2at6native12_GLOBAL__N_135GammaBetaBackwardCUDAKernelTemplateIffLj32ELj16ELj128ELb0ELb0ELb1EEEvllPKT_S5_PKT0_S8_PS3_S9_
                                        ; -- End function
	.set _ZN2at6native12_GLOBAL__N_135GammaBetaBackwardCUDAKernelTemplateIffLj32ELj16ELj128ELb0ELb0ELb1EEEvllPKT_S5_PKT0_S8_PS3_S9_.num_vgpr, 92
	.set _ZN2at6native12_GLOBAL__N_135GammaBetaBackwardCUDAKernelTemplateIffLj32ELj16ELj128ELb0ELb0ELb1EEEvllPKT_S5_PKT0_S8_PS3_S9_.num_agpr, 0
	.set _ZN2at6native12_GLOBAL__N_135GammaBetaBackwardCUDAKernelTemplateIffLj32ELj16ELj128ELb0ELb0ELb1EEEvllPKT_S5_PKT0_S8_PS3_S9_.numbered_sgpr, 32
	.set _ZN2at6native12_GLOBAL__N_135GammaBetaBackwardCUDAKernelTemplateIffLj32ELj16ELj128ELb0ELb0ELb1EEEvllPKT_S5_PKT0_S8_PS3_S9_.num_named_barrier, 0
	.set _ZN2at6native12_GLOBAL__N_135GammaBetaBackwardCUDAKernelTemplateIffLj32ELj16ELj128ELb0ELb0ELb1EEEvllPKT_S5_PKT0_S8_PS3_S9_.private_seg_size, 0
	.set _ZN2at6native12_GLOBAL__N_135GammaBetaBackwardCUDAKernelTemplateIffLj32ELj16ELj128ELb0ELb0ELb1EEEvllPKT_S5_PKT0_S8_PS3_S9_.uses_vcc, 1
	.set _ZN2at6native12_GLOBAL__N_135GammaBetaBackwardCUDAKernelTemplateIffLj32ELj16ELj128ELb0ELb0ELb1EEEvllPKT_S5_PKT0_S8_PS3_S9_.uses_flat_scratch, 0
	.set _ZN2at6native12_GLOBAL__N_135GammaBetaBackwardCUDAKernelTemplateIffLj32ELj16ELj128ELb0ELb0ELb1EEEvllPKT_S5_PKT0_S8_PS3_S9_.has_dyn_sized_stack, 0
	.set _ZN2at6native12_GLOBAL__N_135GammaBetaBackwardCUDAKernelTemplateIffLj32ELj16ELj128ELb0ELb0ELb1EEEvllPKT_S5_PKT0_S8_PS3_S9_.has_recursion, 0
	.set _ZN2at6native12_GLOBAL__N_135GammaBetaBackwardCUDAKernelTemplateIffLj32ELj16ELj128ELb0ELb0ELb1EEEvllPKT_S5_PKT0_S8_PS3_S9_.has_indirect_call, 0
	.section	.AMDGPU.csdata,"",@progbits
; Kernel info:
; codeLenInByte = 9268
; TotalNumSgprs: 34
; NumVgprs: 92
; ScratchSize: 0
; MemoryBound: 0
; FloatMode: 240
; IeeeMode: 1
; LDSByteSize: 0 bytes/workgroup (compile time only)
; SGPRBlocks: 0
; VGPRBlocks: 11
; NumSGPRsForWavesPerEU: 34
; NumVGPRsForWavesPerEU: 92
; Occupancy: 16
; WaveLimiterHint : 0
; COMPUTE_PGM_RSRC2:SCRATCH_EN: 0
; COMPUTE_PGM_RSRC2:USER_SGPR: 2
; COMPUTE_PGM_RSRC2:TRAP_HANDLER: 0
; COMPUTE_PGM_RSRC2:TGID_X_EN: 1
; COMPUTE_PGM_RSRC2:TGID_Y_EN: 1
; COMPUTE_PGM_RSRC2:TGID_Z_EN: 0
; COMPUTE_PGM_RSRC2:TIDIG_COMP_CNT: 1
	.section	.text._ZN2at6native12_GLOBAL__N_135GammaBetaBackwardCUDAKernelTemplateIffLj32ELj32ELj256ELb0ELb1ELb1EEEvllPKT_S5_PKT0_S8_PS3_S9_,"axG",@progbits,_ZN2at6native12_GLOBAL__N_135GammaBetaBackwardCUDAKernelTemplateIffLj32ELj32ELj256ELb0ELb1ELb1EEEvllPKT_S5_PKT0_S8_PS3_S9_,comdat
	.globl	_ZN2at6native12_GLOBAL__N_135GammaBetaBackwardCUDAKernelTemplateIffLj32ELj32ELj256ELb0ELb1ELb1EEEvllPKT_S5_PKT0_S8_PS3_S9_ ; -- Begin function _ZN2at6native12_GLOBAL__N_135GammaBetaBackwardCUDAKernelTemplateIffLj32ELj32ELj256ELb0ELb1ELb1EEEvllPKT_S5_PKT0_S8_PS3_S9_
	.p2align	8
	.type	_ZN2at6native12_GLOBAL__N_135GammaBetaBackwardCUDAKernelTemplateIffLj32ELj32ELj256ELb0ELb1ELb1EEEvllPKT_S5_PKT0_S8_PS3_S9_,@function
_ZN2at6native12_GLOBAL__N_135GammaBetaBackwardCUDAKernelTemplateIffLj32ELj32ELj256ELb0ELb1ELb1EEEvllPKT_S5_PKT0_S8_PS3_S9_: ; @_ZN2at6native12_GLOBAL__N_135GammaBetaBackwardCUDAKernelTemplateIffLj32ELj32ELj256ELb0ELb1ELb1EEEvllPKT_S5_PKT0_S8_PS3_S9_
; %bb.0:
	s_load_b128 s[4:7], s[0:1], 0x0
	s_lshl_b32 s12, ttmp7, 8
	s_mov_b32 s13, 0
	v_bfe_u32 v7, v0, 10, 10
	s_wait_kmcnt 0x0
	v_cmp_gt_i64_e64 s2, s[4:5], s[12:13]
	s_and_b32 vcc_lo, exec_lo, s2
	s_cbranch_vccnz .LBB160_2
; %bb.1:
	v_bfe_u32 v1, v0, 10, 10
	s_mov_b32 s2, s13
	v_and_b32_e32 v6, 0x3ff, v0
	v_mov_b32_e32 v12, 0
	s_and_not1_b32 vcc_lo, exec_lo, s2
	s_cbranch_vccz .LBB160_3
	s_branch .LBB160_10
.LBB160_2:
                                        ; implicit-def: $vgpr1
	v_and_b32_e32 v6, 0x3ff, v0
	v_mov_b32_e32 v12, 0
.LBB160_3:
	s_load_b32 s2, s[0:1], 0x4c
	v_dual_mov_b32 v1, 0 :: v_dual_lshlrev_b32 v0, 3, v7
	s_clause 0x2
	s_load_b32 s3, s[0:1], 0x44
	s_load_b128 s[8:11], s[0:1], 0x10
	s_load_b64 s[16:17], s[0:1], 0x28
	s_mov_b32 s15, 0
	v_dual_mov_b32 v8, 4 :: v_dual_mov_b32 v9, 8
	v_add_co_u32 v2, s14, v0, s12
	s_delay_alu instid0(VALU_DEP_1) | instskip(SKIP_1) | instid1(VALU_DEP_3)
	v_add_co_ci_u32_e64 v3, null, 0, 0, s14
	v_lshl_add_u32 v0, ttmp9, 5, v6
	v_mul_lo_u32 v12, s7, v2
	v_mad_co_u64_u32 v[4:5], null, s6, v2, 0
	s_delay_alu instid0(VALU_DEP_4) | instskip(NEXT) | instid1(VALU_DEP_4)
	v_mul_lo_u32 v14, s6, v3
	v_lshlrev_b64_e32 v[15:16], 2, v[0:1]
	v_dual_mov_b32 v10, 12 :: v_dual_mov_b32 v11, 16
	v_mov_b32_e32 v0, 24
	s_wait_kmcnt 0x0
	s_and_b32 s2, s2, 0xffff
	s_lshl_b32 s14, s3, 8
	v_mad_u32_u24 v13, v7, s2, v6
	v_add3_u32 v5, v5, v14, v12
	v_mov_b32_e32 v14, 28
	v_mov_b32_e32 v12, 0
	s_wait_alu 0xfffe
	s_mul_u64 s[18:19], s[6:7], s[14:15]
	v_and_b32_e32 v19, 31, v13
	v_lshlrev_b64_e32 v[4:5], 2, v[4:5]
	v_mov_b32_e32 v13, 20
	s_lshl_b64 s[18:19], s[18:19], 2
	s_lshl_b64 s[6:7], s[6:7], 2
	v_add_co_u32 v2, vcc_lo, v2, v19
	s_delay_alu instid0(VALU_DEP_1) | instskip(SKIP_3) | instid1(VALU_DEP_3)
	v_add_co_ci_u32_e64 v3, null, 0, v3, vcc_lo
	v_add_co_u32 v15, vcc_lo, v4, v15
	s_wait_alu 0xfffd
	v_add_co_ci_u32_e64 v16, null, v5, v16, vcc_lo
	v_lshlrev_b64_e32 v[17:18], 2, v[2:3]
	v_cmp_gt_u32_e64 s2, 8, v19
	s_delay_alu instid0(VALU_DEP_2) | instskip(SKIP_1) | instid1(VALU_DEP_3)
	v_add_co_u32 v4, vcc_lo, s16, v17
	s_wait_alu 0xfffd
	v_add_co_ci_u32_e64 v5, null, s17, v18, vcc_lo
	s_lshl_b64 s[16:17], s[14:15], 2
	s_branch .LBB160_6
.LBB160_4:                              ;   in Loop: Header=BB160_6 Depth=1
	s_or_b32 exec_lo, exec_lo, s20
.LBB160_5:                              ;   in Loop: Header=BB160_6 Depth=1
	s_wait_alu 0xfffe
	s_or_b32 exec_lo, exec_lo, s3
	v_add_co_u32 v18, vcc_lo, s8, v15
	s_wait_alu 0xfffd
	v_add_co_ci_u32_e64 v19, null, s9, v16, vcc_lo
	v_add_co_u32 v20, vcc_lo, s10, v15
	s_wait_alu 0xfffd
	v_add_co_ci_u32_e64 v21, null, s11, v16, vcc_lo
	v_add_co_u32 v22, vcc_lo, v18, s6
	s_wait_alu 0xfffd
	v_add_co_ci_u32_e64 v23, null, s7, v19, vcc_lo
	v_add_co_u32 v24, vcc_lo, v20, s6
	s_wait_alu 0xfffd
	v_add_co_ci_u32_e64 v25, null, s7, v21, vcc_lo
	v_add_co_u32 v26, vcc_lo, v22, s6
	s_wait_alu 0xfffd
	v_add_co_ci_u32_e64 v27, null, s7, v23, vcc_lo
	global_load_b32 v28, v[18:19], off
	global_load_b32 v29, v[20:21], off
	global_load_b32 v30, v[22:23], off
	global_load_b32 v31, v[24:25], off
	global_load_b32 v32, v[26:27], off
	v_add_co_u32 v18, vcc_lo, v24, s6
	s_wait_alu 0xfffd
	v_add_co_ci_u32_e64 v19, null, s7, v25, vcc_lo
	v_add_co_u32 v20, vcc_lo, v26, s6
	s_wait_alu 0xfffd
	v_add_co_ci_u32_e64 v21, null, s7, v27, vcc_lo
	;; [unrolled: 3-line block ×5, first 2 shown]
	global_load_b32 v33, v[18:19], off
	global_load_b32 v34, v[20:21], off
	;; [unrolled: 1-line block ×5, first 2 shown]
	v_add_co_u32 v18, vcc_lo, v24, s6
	s_wait_alu 0xfffd
	v_add_co_ci_u32_e64 v19, null, s7, v25, vcc_lo
	v_add_co_u32 v20, vcc_lo, v26, s6
	s_wait_alu 0xfffd
	v_add_co_ci_u32_e64 v21, null, s7, v27, vcc_lo
	;; [unrolled: 3-line block ×4, first 2 shown]
	global_load_b32 v26, v[18:19], off
	global_load_b32 v27, v[20:21], off
	;; [unrolled: 1-line block ×4, first 2 shown]
	v_add_co_u32 v18, vcc_lo, v22, s6
	s_wait_alu 0xfffd
	v_add_co_ci_u32_e64 v19, null, s7, v23, vcc_lo
	v_add_co_u32 v20, vcc_lo, v24, s6
	s_wait_alu 0xfffd
	v_add_co_ci_u32_e64 v21, null, s7, v25, vcc_lo
	global_load_b32 v18, v[18:19], off
	global_load_b32 v19, v[20:21], off
	s_wait_loadcnt 0x10
	ds_bpermute_b32 v20, v1, v17
	ds_bpermute_b32 v21, v8, v17
	;; [unrolled: 1-line block ×4, first 2 shown]
	v_add_co_u32 v4, vcc_lo, v4, s16
	s_add_nc_u64 s[12:13], s[12:13], s[14:15]
	s_wait_alu 0xfffd
	v_add_co_ci_u32_e64 v5, null, s17, v5, vcc_lo
	v_add_co_u32 v2, vcc_lo, v2, s14
	s_wait_alu 0xfffe
	v_cmp_lt_i64_e64 s3, s[12:13], s[4:5]
	s_wait_alu 0xfffd
	v_add_co_ci_u32_e64 v3, null, 0, v3, vcc_lo
	v_add_co_u32 v15, vcc_lo, v15, s18
	s_wait_alu 0xfffd
	v_add_co_ci_u32_e64 v16, null, s19, v16, vcc_lo
	s_and_b32 vcc_lo, exec_lo, s3
	s_wait_loadcnt 0xe
	v_mul_f32_e32 v23, v28, v29
	s_wait_dscnt 0x3
	s_delay_alu instid0(VALU_DEP_1)
	v_fmac_f32_e32 v12, v23, v20
	s_wait_loadcnt 0xc
	v_mul_f32_e32 v20, v30, v31
	ds_bpermute_b32 v23, v11, v17
	s_wait_dscnt 0x3
	v_fmac_f32_e32 v12, v20, v21
	ds_bpermute_b32 v21, v13, v17
	s_wait_loadcnt 0xa
	v_mul_f32_e32 v20, v32, v33
	s_wait_dscnt 0x3
	s_delay_alu instid0(VALU_DEP_1)
	v_fmac_f32_e32 v12, v20, v22
	s_wait_loadcnt 0x8
	v_mul_f32_e32 v20, v34, v35
	ds_bpermute_b32 v22, v0, v17
	ds_bpermute_b32 v17, v14, v17
	s_wait_dscnt 0x4
	v_fmac_f32_e32 v12, v20, v24
	s_wait_loadcnt 0x6
	v_mul_f32_e32 v20, v36, v37
	s_wait_dscnt 0x3
	s_delay_alu instid0(VALU_DEP_1) | instskip(SKIP_3) | instid1(VALU_DEP_1)
	v_fmac_f32_e32 v12, v20, v23
	s_wait_loadcnt 0x4
	v_mul_f32_e32 v20, v26, v27
	s_wait_dscnt 0x2
	v_fmac_f32_e32 v12, v20, v21
	s_wait_loadcnt 0x2
	v_mul_f32_e32 v20, v38, v39
	s_wait_dscnt 0x1
	s_delay_alu instid0(VALU_DEP_1) | instskip(SKIP_3) | instid1(VALU_DEP_1)
	v_fmac_f32_e32 v12, v20, v22
	s_wait_loadcnt 0x0
	v_mul_f32_e32 v18, v18, v19
	s_wait_dscnt 0x0
	v_fmac_f32_e32 v12, v18, v17
	s_wait_alu 0xfffe
	s_cbranch_vccz .LBB160_9
.LBB160_6:                              ; =>This Inner Loop Header: Depth=1
	v_mov_b32_e32 v17, 0
	s_and_saveexec_b32 s3, s2
	s_cbranch_execz .LBB160_5
; %bb.7:                                ;   in Loop: Header=BB160_6 Depth=1
	v_mov_b32_e32 v17, 0
	s_mov_b32 s20, exec_lo
	v_cmpx_gt_i64_e64 s[4:5], v[2:3]
	s_cbranch_execz .LBB160_4
; %bb.8:                                ;   in Loop: Header=BB160_6 Depth=1
	global_load_b32 v17, v[4:5], off
	s_branch .LBB160_4
.LBB160_9:
	v_mov_b32_e32 v1, v7
.LBB160_10:
	s_load_b64 s[0:1], s[0:1], 0x30
	s_delay_alu instid0(VALU_DEP_1) | instskip(SKIP_3) | instid1(VALU_DEP_3)
	v_mad_u32_u24 v0, v1, 33, v6
	v_lshrrev_b32_e32 v2, 5, v6
	v_mov_b32_e32 v4, 0
	s_mov_b32 s2, exec_lo
	v_lshl_add_u32 v3, v0, 2, 0
	s_delay_alu instid0(VALU_DEP_3)
	v_add_nc_u32_e32 v0, v2, v1
	ds_store_b32 v3, v12
	ds_store_b32 v3, v4 offset:4224
	s_wait_dscnt 0x0
	s_barrier_signal -1
	s_barrier_wait -1
	global_inv scope:SCOPE_SE
	v_cmpx_gt_u32_e32 32, v0
	s_cbranch_execz .LBB160_13
; %bb.11:
	v_and_b32_e32 v1, 31, v6
	v_lshlrev_b32_e32 v2, 2, v0
	s_wait_kmcnt 0x0
	s_cmp_lg_u64 s[0:1], 0
	s_cselect_b32 s2, -1, 0
	v_mul_u32_u24_e32 v1, 0x84, v1
	s_delay_alu instid0(VALU_DEP_1) | instskip(SKIP_4) | instid1(VALU_DEP_2)
	v_add3_u32 v1, 0, v2, v1
	v_mbcnt_lo_u32_b32 v2, -1, 0
	ds_load_b32 v1, v1
	v_xor_b32_e32 v3, 16, v2
	v_xor_b32_e32 v4, 8, v2
	v_cmp_gt_i32_e32 vcc_lo, 32, v3
	s_wait_alu 0xfffd
	v_cndmask_b32_e32 v3, v2, v3, vcc_lo
	s_delay_alu instid0(VALU_DEP_3) | instskip(SKIP_2) | instid1(VALU_DEP_1)
	v_cmp_gt_i32_e32 vcc_lo, 32, v4
	s_wait_alu 0xfffd
	v_cndmask_b32_e32 v4, v2, v4, vcc_lo
	v_lshlrev_b32_e32 v4, 2, v4
	v_lshlrev_b32_e32 v3, 2, v3
	s_wait_dscnt 0x0
	ds_bpermute_b32 v3, v3, v1
	s_wait_dscnt 0x0
	v_add_f32_e32 v1, v1, v3
	ds_bpermute_b32 v3, v4, v1
	v_xor_b32_e32 v4, 4, v2
	s_delay_alu instid0(VALU_DEP_1) | instskip(SKIP_3) | instid1(VALU_DEP_1)
	v_cmp_gt_i32_e32 vcc_lo, 32, v4
	s_wait_alu 0xfffd
	v_cndmask_b32_e32 v4, v2, v4, vcc_lo
	s_wait_dscnt 0x0
	v_dual_add_f32 v1, v1, v3 :: v_dual_lshlrev_b32 v4, 2, v4
	ds_bpermute_b32 v3, v4, v1
	v_xor_b32_e32 v4, 2, v2
	s_delay_alu instid0(VALU_DEP_1) | instskip(SKIP_3) | instid1(VALU_DEP_1)
	v_cmp_gt_i32_e32 vcc_lo, 32, v4
	s_wait_dscnt 0x0
	s_wait_alu 0xfffd
	v_dual_cndmask_b32 v4, v2, v4 :: v_dual_add_f32 v1, v1, v3
	v_lshlrev_b32_e32 v4, 2, v4
	ds_bpermute_b32 v3, v4, v1
	v_xor_b32_e32 v4, 1, v2
	s_delay_alu instid0(VALU_DEP_1)
	v_cmp_gt_i32_e32 vcc_lo, 32, v4
	s_wait_alu 0xfffd
	v_cndmask_b32_e32 v4, v2, v4, vcc_lo
	v_cmp_eq_u32_e32 vcc_lo, 0, v6
	s_wait_alu 0xfffe
	s_and_b32 s2, vcc_lo, s2
	s_wait_dscnt 0x0
	v_dual_add_f32 v2, v1, v3 :: v_dual_lshlrev_b32 v1, 2, v4
	ds_bpermute_b32 v3, v1, v2
	s_wait_alu 0xfffe
	s_and_b32 exec_lo, exec_lo, s2
	s_cbranch_execz .LBB160_13
; %bb.12:
	s_wait_dscnt 0x0
	v_dual_mov_b32 v1, 0 :: v_dual_add_f32 v2, v2, v3
	s_mov_b32 s2, ttmp9
	s_mov_b32 s3, 0
	s_wait_alu 0xfffe
	s_lshl_b64 s[2:3], s[2:3], 7
	v_lshlrev_b64_e32 v[0:1], 2, v[0:1]
	s_wait_alu 0xfffe
	s_add_nc_u64 s[0:1], s[0:1], s[2:3]
	s_wait_alu 0xfffe
	s_delay_alu instid0(VALU_DEP_1)
	v_add_co_u32 v0, vcc_lo, s0, v0
	s_wait_alu 0xfffd
	v_add_co_ci_u32_e64 v1, null, s1, v1, vcc_lo
	global_store_b32 v[0:1], v2, off
.LBB160_13:
	s_endpgm
	.section	.rodata,"a",@progbits
	.p2align	6, 0x0
	.amdhsa_kernel _ZN2at6native12_GLOBAL__N_135GammaBetaBackwardCUDAKernelTemplateIffLj32ELj32ELj256ELb0ELb1ELb1EEEvllPKT_S5_PKT0_S8_PS3_S9_
		.amdhsa_group_segment_fixed_size 0
		.amdhsa_private_segment_fixed_size 0
		.amdhsa_kernarg_size 320
		.amdhsa_user_sgpr_count 2
		.amdhsa_user_sgpr_dispatch_ptr 0
		.amdhsa_user_sgpr_queue_ptr 0
		.amdhsa_user_sgpr_kernarg_segment_ptr 1
		.amdhsa_user_sgpr_dispatch_id 0
		.amdhsa_user_sgpr_private_segment_size 0
		.amdhsa_wavefront_size32 1
		.amdhsa_uses_dynamic_stack 0
		.amdhsa_enable_private_segment 0
		.amdhsa_system_sgpr_workgroup_id_x 1
		.amdhsa_system_sgpr_workgroup_id_y 1
		.amdhsa_system_sgpr_workgroup_id_z 0
		.amdhsa_system_sgpr_workgroup_info 0
		.amdhsa_system_vgpr_workitem_id 1
		.amdhsa_next_free_vgpr 40
		.amdhsa_next_free_sgpr 21
		.amdhsa_reserve_vcc 1
		.amdhsa_float_round_mode_32 0
		.amdhsa_float_round_mode_16_64 0
		.amdhsa_float_denorm_mode_32 3
		.amdhsa_float_denorm_mode_16_64 3
		.amdhsa_fp16_overflow 0
		.amdhsa_workgroup_processor_mode 1
		.amdhsa_memory_ordered 1
		.amdhsa_forward_progress 1
		.amdhsa_inst_pref_size 14
		.amdhsa_round_robin_scheduling 0
		.amdhsa_exception_fp_ieee_invalid_op 0
		.amdhsa_exception_fp_denorm_src 0
		.amdhsa_exception_fp_ieee_div_zero 0
		.amdhsa_exception_fp_ieee_overflow 0
		.amdhsa_exception_fp_ieee_underflow 0
		.amdhsa_exception_fp_ieee_inexact 0
		.amdhsa_exception_int_div_zero 0
	.end_amdhsa_kernel
	.section	.text._ZN2at6native12_GLOBAL__N_135GammaBetaBackwardCUDAKernelTemplateIffLj32ELj32ELj256ELb0ELb1ELb1EEEvllPKT_S5_PKT0_S8_PS3_S9_,"axG",@progbits,_ZN2at6native12_GLOBAL__N_135GammaBetaBackwardCUDAKernelTemplateIffLj32ELj32ELj256ELb0ELb1ELb1EEEvllPKT_S5_PKT0_S8_PS3_S9_,comdat
.Lfunc_end160:
	.size	_ZN2at6native12_GLOBAL__N_135GammaBetaBackwardCUDAKernelTemplateIffLj32ELj32ELj256ELb0ELb1ELb1EEEvllPKT_S5_PKT0_S8_PS3_S9_, .Lfunc_end160-_ZN2at6native12_GLOBAL__N_135GammaBetaBackwardCUDAKernelTemplateIffLj32ELj32ELj256ELb0ELb1ELb1EEEvllPKT_S5_PKT0_S8_PS3_S9_
                                        ; -- End function
	.set _ZN2at6native12_GLOBAL__N_135GammaBetaBackwardCUDAKernelTemplateIffLj32ELj32ELj256ELb0ELb1ELb1EEEvllPKT_S5_PKT0_S8_PS3_S9_.num_vgpr, 40
	.set _ZN2at6native12_GLOBAL__N_135GammaBetaBackwardCUDAKernelTemplateIffLj32ELj32ELj256ELb0ELb1ELb1EEEvllPKT_S5_PKT0_S8_PS3_S9_.num_agpr, 0
	.set _ZN2at6native12_GLOBAL__N_135GammaBetaBackwardCUDAKernelTemplateIffLj32ELj32ELj256ELb0ELb1ELb1EEEvllPKT_S5_PKT0_S8_PS3_S9_.numbered_sgpr, 21
	.set _ZN2at6native12_GLOBAL__N_135GammaBetaBackwardCUDAKernelTemplateIffLj32ELj32ELj256ELb0ELb1ELb1EEEvllPKT_S5_PKT0_S8_PS3_S9_.num_named_barrier, 0
	.set _ZN2at6native12_GLOBAL__N_135GammaBetaBackwardCUDAKernelTemplateIffLj32ELj32ELj256ELb0ELb1ELb1EEEvllPKT_S5_PKT0_S8_PS3_S9_.private_seg_size, 0
	.set _ZN2at6native12_GLOBAL__N_135GammaBetaBackwardCUDAKernelTemplateIffLj32ELj32ELj256ELb0ELb1ELb1EEEvllPKT_S5_PKT0_S8_PS3_S9_.uses_vcc, 1
	.set _ZN2at6native12_GLOBAL__N_135GammaBetaBackwardCUDAKernelTemplateIffLj32ELj32ELj256ELb0ELb1ELb1EEEvllPKT_S5_PKT0_S8_PS3_S9_.uses_flat_scratch, 0
	.set _ZN2at6native12_GLOBAL__N_135GammaBetaBackwardCUDAKernelTemplateIffLj32ELj32ELj256ELb0ELb1ELb1EEEvllPKT_S5_PKT0_S8_PS3_S9_.has_dyn_sized_stack, 0
	.set _ZN2at6native12_GLOBAL__N_135GammaBetaBackwardCUDAKernelTemplateIffLj32ELj32ELj256ELb0ELb1ELb1EEEvllPKT_S5_PKT0_S8_PS3_S9_.has_recursion, 0
	.set _ZN2at6native12_GLOBAL__N_135GammaBetaBackwardCUDAKernelTemplateIffLj32ELj32ELj256ELb0ELb1ELb1EEEvllPKT_S5_PKT0_S8_PS3_S9_.has_indirect_call, 0
	.section	.AMDGPU.csdata,"",@progbits
; Kernel info:
; codeLenInByte = 1700
; TotalNumSgprs: 23
; NumVgprs: 40
; ScratchSize: 0
; MemoryBound: 0
; FloatMode: 240
; IeeeMode: 1
; LDSByteSize: 0 bytes/workgroup (compile time only)
; SGPRBlocks: 0
; VGPRBlocks: 4
; NumSGPRsForWavesPerEU: 23
; NumVGPRsForWavesPerEU: 40
; Occupancy: 16
; WaveLimiterHint : 0
; COMPUTE_PGM_RSRC2:SCRATCH_EN: 0
; COMPUTE_PGM_RSRC2:USER_SGPR: 2
; COMPUTE_PGM_RSRC2:TRAP_HANDLER: 0
; COMPUTE_PGM_RSRC2:TGID_X_EN: 1
; COMPUTE_PGM_RSRC2:TGID_Y_EN: 1
; COMPUTE_PGM_RSRC2:TGID_Z_EN: 0
; COMPUTE_PGM_RSRC2:TIDIG_COMP_CNT: 1
	.section	.text._ZN2at6native12_GLOBAL__N_135GammaBetaBackwardCUDAKernelTemplateIffLj32ELj32ELj256ELb0ELb0ELb1EEEvllPKT_S5_PKT0_S8_PS3_S9_,"axG",@progbits,_ZN2at6native12_GLOBAL__N_135GammaBetaBackwardCUDAKernelTemplateIffLj32ELj32ELj256ELb0ELb0ELb1EEEvllPKT_S5_PKT0_S8_PS3_S9_,comdat
	.globl	_ZN2at6native12_GLOBAL__N_135GammaBetaBackwardCUDAKernelTemplateIffLj32ELj32ELj256ELb0ELb0ELb1EEEvllPKT_S5_PKT0_S8_PS3_S9_ ; -- Begin function _ZN2at6native12_GLOBAL__N_135GammaBetaBackwardCUDAKernelTemplateIffLj32ELj32ELj256ELb0ELb0ELb1EEEvllPKT_S5_PKT0_S8_PS3_S9_
	.p2align	8
	.type	_ZN2at6native12_GLOBAL__N_135GammaBetaBackwardCUDAKernelTemplateIffLj32ELj32ELj256ELb0ELb0ELb1EEEvllPKT_S5_PKT0_S8_PS3_S9_,@function
_ZN2at6native12_GLOBAL__N_135GammaBetaBackwardCUDAKernelTemplateIffLj32ELj32ELj256ELb0ELb0ELb1EEEvllPKT_S5_PKT0_S8_PS3_S9_: ; @_ZN2at6native12_GLOBAL__N_135GammaBetaBackwardCUDAKernelTemplateIffLj32ELj32ELj256ELb0ELb0ELb1EEEvllPKT_S5_PKT0_S8_PS3_S9_
; %bb.0:
	s_clause 0x1
	s_load_b256 s[4:11], s[0:1], 0x0
	s_load_b64 s[12:13], s[0:1], 0x28
	s_lshl_b32 s28, ttmp9, 5
	s_mov_b32 s15, 0
	s_or_b32 s14, s28, 31
	s_wait_kmcnt 0x0
	v_cmp_le_i64_e64 s2, s[6:7], s[14:15]
	s_lshl_b32 s14, ttmp7, 8
	s_wait_alu 0xfffe
	v_cmp_gt_i64_e64 s29, s[4:5], s[14:15]
	s_and_b32 vcc_lo, exec_lo, s2
	v_cndmask_b32_e64 v1, 0, 1, s29
	s_delay_alu instid0(VALU_DEP_1)
	v_cmp_ne_u32_e64 s2, 1, v1
	s_cbranch_vccz .LBB161_49
; %bb.1:
	v_mov_b32_e32 v84, 0
	s_and_b32 vcc_lo, exec_lo, s2
	s_cbranch_vccnz .LBB161_50
; %bb.2:
	v_bfe_u32 v20, v0, 10, 10
	v_dual_mov_b32 v1, 0 :: v_dual_and_b32 v22, 0x3ff, v0
	s_load_b32 s3, s[0:1], 0x44
	s_mov_b32 s17, 0
	s_delay_alu instid0(VALU_DEP_2) | instskip(NEXT) | instid1(VALU_DEP_2)
	v_lshlrev_b32_e32 v21, 3, v20
	v_dual_mov_b32 v3, v1 :: v_dual_add_nc_u32 v2, s28, v22
	s_mov_b32 s21, s17
	v_mov_b32_e32 v55, 0
	s_delay_alu instid0(VALU_DEP_3) | instskip(NEXT) | instid1(VALU_DEP_1)
	v_add_co_u32 v10, s2, v21, s14
	v_add_co_ci_u32_e64 v11, null, 0, 0, s2
	v_cmp_gt_i64_e64 s2, s[6:7], v[2:3]
	s_delay_alu instid0(VALU_DEP_3) | instskip(SKIP_1) | instid1(VALU_DEP_4)
	v_mul_lo_u32 v6, s7, v10
	v_mad_co_u64_u32 v[4:5], null, s6, v10, 0
	v_mul_lo_u32 v7, s6, v11
	v_add_co_u32 v8, vcc_lo, v10, 7
	s_delay_alu instid0(VALU_DEP_1) | instskip(SKIP_1) | instid1(VALU_DEP_3)
	v_add_co_ci_u32_e64 v9, null, 0, v11, vcc_lo
	v_lshlrev_b64_e32 v[18:19], 2, v[2:3]
	v_mul_lo_u32 v12, s7, v8
	s_wait_kmcnt 0x0
	s_lshl_b32 s20, s3, 8
	v_add3_u32 v5, v5, v7, v6
	v_mad_co_u64_u32 v[6:7], null, s6, v8, 0
	v_add_co_u32 v8, vcc_lo, v10, 6
	v_mul_lo_u32 v13, s6, v9
	s_wait_alu 0xfffd
	v_add_co_ci_u32_e64 v9, null, 0, v11, vcc_lo
	v_lshlrev_b64_e32 v[2:3], 2, v[4:5]
	v_mul_lo_u32 v14, s7, v8
	s_mul_u64 s[22:23], s[6:7], s[20:21]
	s_delay_alu instid0(VALU_DEP_3) | instskip(SKIP_1) | instid1(VALU_DEP_4)
	v_mul_lo_u32 v15, s6, v9
	v_mad_co_u64_u32 v[8:9], null, s6, v8, 0
	v_add_co_u32 v23, vcc_lo, s8, v2
	s_wait_alu 0xfffd
	v_add_co_ci_u32_e64 v24, null, s9, v3, vcc_lo
	v_add_co_u32 v25, vcc_lo, s10, v2
	v_add3_u32 v7, v7, v13, v12
	s_wait_alu 0xfffd
	v_add_co_ci_u32_e64 v26, null, s11, v3, vcc_lo
	v_add_co_u32 v12, vcc_lo, v10, 5
	v_add3_u32 v9, v9, v15, v14
	s_wait_alu 0xfffd
	v_add_co_ci_u32_e64 v13, null, 0, v11, vcc_lo
	v_lshlrev_b64_e32 v[2:3], 2, v[6:7]
	v_mul_lo_u32 v14, s7, v12
	v_lshlrev_b64_e32 v[6:7], 2, v[8:9]
	s_delay_alu instid0(VALU_DEP_4)
	v_mul_lo_u32 v13, s6, v13
	v_mad_co_u64_u32 v[8:9], null, s6, v12, 0
	v_add_co_u32 v27, vcc_lo, s8, v2
	s_wait_alu 0xfffd
	v_add_co_ci_u32_e64 v28, null, s9, v3, vcc_lo
	v_add_co_u32 v29, vcc_lo, s10, v2
	s_wait_alu 0xfffd
	v_add_co_ci_u32_e64 v30, null, s11, v3, vcc_lo
	v_add_co_u32 v31, vcc_lo, s8, v6
	v_add3_u32 v9, v9, v13, v14
	s_wait_alu 0xfffd
	v_add_co_ci_u32_e64 v32, null, s9, v7, vcc_lo
	v_add_co_u32 v12, vcc_lo, v10, 4
	v_add_co_u32 v33, s3, s10, v6
	s_wait_alu 0xfffd
	v_add_co_ci_u32_e64 v6, null, 0, v11, vcc_lo
	v_lshlrev_b64_e32 v[2:3], 2, v[8:9]
	v_add_co_u32 v8, vcc_lo, v10, 3
	s_wait_alu 0xfffd
	v_add_co_ci_u32_e64 v9, null, 0, v11, vcc_lo
	s_wait_alu 0xf1ff
	v_add_co_ci_u32_e64 v34, null, s11, v7, s3
	v_mul_lo_u32 v13, s7, v12
	v_mul_lo_u32 v14, s6, v6
	v_mad_co_u64_u32 v[6:7], null, s6, v12, 0
	v_mul_lo_u32 v12, s7, v8
	v_mul_lo_u32 v15, s6, v9
	v_mad_co_u64_u32 v[8:9], null, s6, v8, 0
	v_add_co_u32 v35, vcc_lo, s8, v2
	s_wait_alu 0xfffd
	v_add_co_ci_u32_e64 v36, null, s9, v3, vcc_lo
	v_add3_u32 v7, v7, v14, v13
	v_add_co_u32 v37, vcc_lo, s10, v2
	s_wait_alu 0xfffd
	v_add_co_ci_u32_e64 v38, null, s11, v3, vcc_lo
	v_add_co_u32 v10, vcc_lo, v10, 2
	v_add3_u32 v9, v9, v15, v12
	s_wait_alu 0xfffd
	v_add_co_ci_u32_e64 v11, null, 0, v11, vcc_lo
	v_lshlrev_b64_e32 v[2:3], 2, v[6:7]
	v_mul_lo_u32 v12, s7, v10
	v_lshlrev_b64_e32 v[6:7], 2, v[8:9]
	s_delay_alu instid0(VALU_DEP_4)
	v_mul_lo_u32 v11, s6, v11
	v_mad_co_u64_u32 v[8:9], null, s6, v10, 0
	v_add_co_u32 v39, vcc_lo, s8, v2
	s_wait_alu 0xfffd
	v_add_co_ci_u32_e64 v40, null, s9, v3, vcc_lo
	v_add_co_u32 v41, vcc_lo, s10, v2
	s_wait_alu 0xfffd
	v_add_co_ci_u32_e64 v42, null, s11, v3, vcc_lo
	;; [unrolled: 3-line block ×3, first 2 shown]
	v_add3_u32 v9, v9, v11, v12
	v_add_co_u32 v45, vcc_lo, s10, v6
	s_wait_alu 0xfffd
	v_add_co_ci_u32_e64 v46, null, s11, v7, vcc_lo
	v_add_co_u32 v4, vcc_lo, v4, s6
	s_wait_alu 0xfffd
	v_add_co_ci_u32_e64 v5, null, s7, v5, vcc_lo
	v_lshlrev_b64_e32 v[2:3], 2, v[8:9]
	s_add_nc_u64 s[18:19], s[0:1], 64
	s_lshl_b64 s[22:23], s[22:23], 2
	s_delay_alu instid0(VALU_DEP_2)
	v_lshlrev_b64_e32 v[4:5], 2, v[4:5]
	s_add_nc_u64 s[24:25], s[14:15], 0xff
	s_mov_b64 s[26:27], s[14:15]
	v_add_co_u32 v47, vcc_lo, s8, v2
	s_wait_alu 0xfffd
	v_add_co_ci_u32_e64 v48, null, s9, v3, vcc_lo
	v_add_co_u32 v49, vcc_lo, s10, v2
	s_wait_alu 0xfffd
	v_add_co_ci_u32_e64 v50, null, s11, v3, vcc_lo
	;; [unrolled: 3-line block ×4, first 2 shown]
.LBB161_3:                              ; =>This Inner Loop Header: Depth=1
	v_cmp_ge_i64_e64 s3, s[24:25], s[4:5]
	v_add_co_u32 v56, s16, v21, s24
	s_wait_alu 0xf1ff
	v_add_co_ci_u32_e64 v57, null, 0, s25, s16
                                        ; implicit-def: $vgpr2_vgpr3_vgpr4_vgpr5_vgpr6_vgpr7_vgpr8_vgpr9
                                        ; implicit-def: $vgpr84
                                        ; implicit-def: $vgpr10_vgpr11_vgpr12_vgpr13_vgpr14_vgpr15_vgpr16_vgpr17
                                        ; implicit-def: $vgpr2
	s_and_b32 vcc_lo, exec_lo, s3
	s_mov_b32 s3, -1
	s_wait_alu 0xfffe
	s_cbranch_vccz .LBB161_25
; %bb.4:                                ;   in Loop: Header=BB161_3 Depth=1
	s_load_b32 s3, s[18:19], 0xc
	v_mov_b32_e32 v58, 0
	s_wait_kmcnt 0x0
	s_and_b32 s3, s3, 0xffff
	s_wait_alu 0xfffe
	v_mad_u32_u24 v2, v20, s3, v22
	s_mov_b32 s3, exec_lo
	s_delay_alu instid0(VALU_DEP_1) | instskip(NEXT) | instid1(VALU_DEP_1)
	v_and_b32_e32 v2, 31, v2
	v_cmpx_gt_u32_e32 8, v2
	s_cbranch_execz .LBB161_8
; %bb.5:                                ;   in Loop: Header=BB161_3 Depth=1
	v_add_co_u32 v2, vcc_lo, v56, v2
	s_wait_alu 0xfffd
	v_add_co_ci_u32_e64 v3, null, 0, v57, vcc_lo
	v_mov_b32_e32 v58, 0
	s_delay_alu instid0(VALU_DEP_3) | instskip(SKIP_1) | instid1(VALU_DEP_3)
	v_add_co_u32 v2, vcc_lo, 0xffffff01, v2
	s_wait_alu 0xfffd
	v_add_co_ci_u32_e64 v3, null, -1, v3, vcc_lo
	s_mov_b32 s16, exec_lo
	v_cmpx_gt_i64_e64 s[4:5], v[2:3]
	s_cbranch_execz .LBB161_7
; %bb.6:                                ;   in Loop: Header=BB161_3 Depth=1
	v_lshlrev_b64_e32 v[2:3], 2, v[2:3]
	s_delay_alu instid0(VALU_DEP_1) | instskip(SKIP_1) | instid1(VALU_DEP_2)
	v_add_co_u32 v2, vcc_lo, s12, v2
	s_wait_alu 0xfffd
	v_add_co_ci_u32_e64 v3, null, s13, v3, vcc_lo
	global_load_b32 v58, v[2:3], off
.LBB161_7:                              ;   in Loop: Header=BB161_3 Depth=1
	s_wait_alu 0xfffe
	s_or_b32 exec_lo, exec_lo, s16
.LBB161_8:                              ;   in Loop: Header=BB161_3 Depth=1
	s_wait_alu 0xfffe
	s_or_b32 exec_lo, exec_lo, s3
	v_add_co_u32 v9, vcc_lo, 0xffffff01, v56
	s_wait_alu 0xfffd
	v_add_co_ci_u32_e64 v10, null, -1, v57, vcc_lo
	v_mov_b32_e32 v8, v1
	v_dual_mov_b32 v2, v1 :: v_dual_mov_b32 v3, v1
	v_dual_mov_b32 v4, v1 :: v_dual_mov_b32 v5, v1
	;; [unrolled: 1-line block ×3, first 2 shown]
	v_cmp_gt_i64_e32 vcc_lo, s[4:5], v[9:10]
	s_delay_alu instid0(VALU_DEP_3) | instskip(NEXT) | instid1(VALU_DEP_3)
	v_dual_mov_b32 v17, v8 :: v_dual_mov_b32 v14, v5
	v_dual_mov_b32 v15, v6 :: v_dual_mov_b32 v16, v7
	;; [unrolled: 1-line block ×4, first 2 shown]
	v_mov_b32_e32 v9, v8
	v_mov_b32_e32 v8, v7
	;; [unrolled: 1-line block ×8, first 2 shown]
	s_and_b32 s16, s2, vcc_lo
	s_wait_alu 0xfffe
	s_and_saveexec_b32 s3, s16
	s_cbranch_execz .LBB161_10
; %bb.9:                                ;   in Loop: Header=BB161_3 Depth=1
	v_add_co_u32 v2, vcc_lo, v23, v18
	s_wait_alu 0xfffd
	v_add_co_ci_u32_e64 v3, null, v24, v19, vcc_lo
	v_add_co_u32 v4, vcc_lo, v25, v18
	s_wait_alu 0xfffd
	v_add_co_ci_u32_e64 v5, null, v26, v19, vcc_lo
	global_load_b32 v2, v[2:3], off
	global_load_b32 v10, v[4:5], off
	v_dual_mov_b32 v3, v1 :: v_dual_mov_b32 v4, v1
	v_dual_mov_b32 v5, v1 :: v_dual_mov_b32 v6, v1
	;; [unrolled: 1-line block ×6, first 2 shown]
	v_mov_b32_e32 v15, v1
	v_mov_b32_e32 v17, v1
.LBB161_10:                             ;   in Loop: Header=BB161_3 Depth=1
	s_wait_alu 0xfffe
	s_or_b32 exec_lo, exec_lo, s3
	v_add_co_u32 v59, vcc_lo, 0xffffff02, v56
	s_wait_alu 0xfffd
	v_add_co_ci_u32_e64 v60, null, -1, v57, vcc_lo
	s_delay_alu instid0(VALU_DEP_1)
	v_cmp_gt_i64_e32 vcc_lo, s[4:5], v[59:60]
	s_and_b32 s16, s2, vcc_lo
	s_wait_alu 0xfffe
	s_and_saveexec_b32 s3, s16
	s_cbranch_execz .LBB161_12
; %bb.11:                               ;   in Loop: Header=BB161_3 Depth=1
	v_add_co_u32 v59, vcc_lo, v51, v18
	s_wait_alu 0xfffd
	v_add_co_ci_u32_e64 v60, null, v52, v19, vcc_lo
	v_add_co_u32 v61, vcc_lo, v53, v18
	s_wait_alu 0xfffd
	v_add_co_ci_u32_e64 v62, null, v54, v19, vcc_lo
	global_load_b32 v3, v[59:60], off
	global_load_b32 v11, v[61:62], off
.LBB161_12:                             ;   in Loop: Header=BB161_3 Depth=1
	s_wait_alu 0xfffe
	s_or_b32 exec_lo, exec_lo, s3
	v_add_co_u32 v59, vcc_lo, 0xffffff03, v56
	s_wait_alu 0xfffd
	v_add_co_ci_u32_e64 v60, null, -1, v57, vcc_lo
	s_delay_alu instid0(VALU_DEP_1)
	v_cmp_gt_i64_e32 vcc_lo, s[4:5], v[59:60]
	s_and_b32 s16, s2, vcc_lo
	s_wait_alu 0xfffe
	s_and_saveexec_b32 s3, s16
	s_cbranch_execz .LBB161_14
; %bb.13:                               ;   in Loop: Header=BB161_3 Depth=1
	v_add_co_u32 v59, vcc_lo, v47, v18
	s_wait_alu 0xfffd
	v_add_co_ci_u32_e64 v60, null, v48, v19, vcc_lo
	v_add_co_u32 v61, vcc_lo, v49, v18
	s_wait_alu 0xfffd
	v_add_co_ci_u32_e64 v62, null, v50, v19, vcc_lo
	global_load_b32 v4, v[59:60], off
	global_load_b32 v12, v[61:62], off
.LBB161_14:                             ;   in Loop: Header=BB161_3 Depth=1
	;; [unrolled: 21-line block ×7, first 2 shown]
	s_wait_alu 0xfffe
	s_or_b32 exec_lo, exec_lo, s3
	s_wait_loadcnt 0x0
	ds_bpermute_b32 v59, v1, v58
	ds_bpermute_b32 v60, v1, v58 offset:4
	ds_bpermute_b32 v61, v1, v58 offset:8
	v_dual_mul_f32 v2, v10, v2 :: v_dual_mul_f32 v3, v11, v3
	ds_bpermute_b32 v10, v1, v58 offset:12
	ds_bpermute_b32 v11, v1, v58 offset:16
	v_mul_f32_e32 v6, v14, v6
	s_mov_b32 s3, 0
	s_wait_dscnt 0x4
	v_fma_f32 v84, v2, v59, v55
	v_mul_f32_e32 v2, v12, v4
	ds_bpermute_b32 v4, v1, v58 offset:20
	s_wait_dscnt 0x4
	v_dual_fmac_f32 v84, v3, v60 :: v_dual_mul_f32 v3, v13, v5
	ds_bpermute_b32 v5, v1, v58 offset:24
	s_wait_dscnt 0x4
	v_fmac_f32_e32 v84, v2, v61
	ds_bpermute_b32 v2, v1, v58 offset:28
	s_wait_dscnt 0x4
	v_fmac_f32_e32 v84, v3, v10
	v_mul_f32_e32 v3, v15, v7
	s_wait_dscnt 0x3
	s_delay_alu instid0(VALU_DEP_2) | instskip(SKIP_1) | instid1(VALU_DEP_1)
	v_fmac_f32_e32 v84, v6, v11
	s_wait_dscnt 0x2
	v_fmac_f32_e32 v84, v3, v4
	v_mul_f32_e32 v3, v16, v8
	s_wait_dscnt 0x1
	s_delay_alu instid0(VALU_DEP_1)
	v_fmac_f32_e32 v84, v3, v5
.LBB161_25:                             ;   in Loop: Header=BB161_3 Depth=1
	s_wait_alu 0xfffe
	s_and_b32 vcc_lo, exec_lo, s3
	s_wait_alu 0xfffe
	s_cbranch_vccz .LBB161_40
; %bb.26:                               ;   in Loop: Header=BB161_3 Depth=1
	s_load_b32 s3, s[18:19], 0x0
	v_mov_b32_e32 v58, 0
	s_wait_kmcnt 0x0
	s_cmp_lt_u32 ttmp9, s3
	s_cselect_b32 s16, 12, 18
	s_wait_alu 0xfffe
	s_add_nc_u64 s[30:31], s[18:19], s[16:17]
	s_load_u16 s3, s[30:31], 0x0
	s_wait_dscnt 0x0
	s_wait_kmcnt 0x0
	v_mad_u32_u24 v2, v20, s3, v22
	s_mov_b32 s3, exec_lo
	s_delay_alu instid0(VALU_DEP_1) | instskip(NEXT) | instid1(VALU_DEP_1)
	v_and_b32_e32 v2, 31, v2
	v_cmpx_gt_u32_e32 8, v2
	s_cbranch_execz .LBB161_30
; %bb.27:                               ;   in Loop: Header=BB161_3 Depth=1
	v_add_co_u32 v2, vcc_lo, v56, v2
	s_wait_alu 0xfffd
	v_add_co_ci_u32_e64 v3, null, 0, v57, vcc_lo
	v_mov_b32_e32 v58, 0
	s_delay_alu instid0(VALU_DEP_3) | instskip(SKIP_1) | instid1(VALU_DEP_3)
	v_add_co_u32 v2, vcc_lo, 0xffffff01, v2
	s_wait_alu 0xfffd
	v_add_co_ci_u32_e64 v3, null, -1, v3, vcc_lo
	s_mov_b32 s16, exec_lo
	v_cmpx_gt_i64_e64 s[4:5], v[2:3]
	s_cbranch_execz .LBB161_29
; %bb.28:                               ;   in Loop: Header=BB161_3 Depth=1
	v_lshlrev_b64_e32 v[2:3], 2, v[2:3]
	s_delay_alu instid0(VALU_DEP_1) | instskip(SKIP_1) | instid1(VALU_DEP_2)
	v_add_co_u32 v2, vcc_lo, s12, v2
	s_wait_alu 0xfffd
	v_add_co_ci_u32_e64 v3, null, s13, v3, vcc_lo
	global_load_b32 v58, v[2:3], off
.LBB161_29:                             ;   in Loop: Header=BB161_3 Depth=1
	s_wait_alu 0xfffe
	s_or_b32 exec_lo, exec_lo, s16
.LBB161_30:                             ;   in Loop: Header=BB161_3 Depth=1
	s_wait_alu 0xfffe
	s_or_b32 exec_lo, exec_lo, s3
	v_mov_b32_e32 v8, v1
	v_dual_mov_b32 v2, v1 :: v_dual_mov_b32 v3, v1
	v_dual_mov_b32 v4, v1 :: v_dual_mov_b32 v5, v1
	;; [unrolled: 1-line block ×3, first 2 shown]
	s_delay_alu instid0(VALU_DEP_4) | instskip(NEXT) | instid1(VALU_DEP_3)
	v_mov_b32_e32 v17, v8
	v_dual_mov_b32 v13, v4 :: v_dual_mov_b32 v12, v3
	s_delay_alu instid0(VALU_DEP_3) | instskip(NEXT) | instid1(VALU_DEP_4)
	v_dual_mov_b32 v15, v6 :: v_dual_mov_b32 v14, v5
	v_dual_mov_b32 v16, v7 :: v_dual_mov_b32 v11, v2
	;; [unrolled: 1-line block ×3, first 2 shown]
	v_mov_b32_e32 v8, v7
	v_mov_b32_e32 v7, v6
	;; [unrolled: 1-line block ×7, first 2 shown]
	s_and_saveexec_b32 s3, s2
	s_cbranch_execnz .LBB161_42
; %bb.31:                               ;   in Loop: Header=BB161_3 Depth=1
	s_wait_alu 0xfffe
	s_or_b32 exec_lo, exec_lo, s3
	s_and_saveexec_b32 s3, s2
	s_cbranch_execnz .LBB161_43
.LBB161_32:                             ;   in Loop: Header=BB161_3 Depth=1
	s_wait_alu 0xfffe
	s_or_b32 exec_lo, exec_lo, s3
	s_and_saveexec_b32 s3, s2
	s_cbranch_execnz .LBB161_44
.LBB161_33:                             ;   in Loop: Header=BB161_3 Depth=1
	s_wait_alu 0xfffe
	s_or_b32 exec_lo, exec_lo, s3
	s_and_saveexec_b32 s3, s2
	s_cbranch_execnz .LBB161_45
.LBB161_34:                             ;   in Loop: Header=BB161_3 Depth=1
	s_wait_alu 0xfffe
	s_or_b32 exec_lo, exec_lo, s3
	s_and_saveexec_b32 s3, s2
	s_cbranch_execnz .LBB161_46
.LBB161_35:                             ;   in Loop: Header=BB161_3 Depth=1
	s_wait_alu 0xfffe
	s_or_b32 exec_lo, exec_lo, s3
	s_and_saveexec_b32 s3, s2
	s_cbranch_execnz .LBB161_47
.LBB161_36:                             ;   in Loop: Header=BB161_3 Depth=1
	s_wait_alu 0xfffe
	s_or_b32 exec_lo, exec_lo, s3
	s_and_saveexec_b32 s3, s2
	s_cbranch_execnz .LBB161_48
.LBB161_37:                             ;   in Loop: Header=BB161_3 Depth=1
	s_wait_alu 0xfffe
	s_or_b32 exec_lo, exec_lo, s3
	s_and_saveexec_b32 s3, s2
	s_cbranch_execz .LBB161_39
.LBB161_38:                             ;   in Loop: Header=BB161_3 Depth=1
	v_add_co_u32 v56, vcc_lo, v27, v18
	s_wait_alu 0xfffd
	v_add_co_ci_u32_e64 v57, null, v28, v19, vcc_lo
	v_add_co_u32 v59, vcc_lo, v29, v18
	s_wait_alu 0xfffd
	v_add_co_ci_u32_e64 v60, null, v30, v19, vcc_lo
	global_load_b32 v9, v[56:57], off
	global_load_b32 v17, v[59:60], off
.LBB161_39:                             ;   in Loop: Header=BB161_3 Depth=1
	s_wait_alu 0xfffe
	s_or_b32 exec_lo, exec_lo, s3
	s_wait_loadcnt 0x0
	ds_bpermute_b32 v56, v1, v58
	ds_bpermute_b32 v57, v1, v58 offset:4
	ds_bpermute_b32 v59, v1, v58 offset:8
	v_dual_mul_f32 v2, v10, v2 :: v_dual_mul_f32 v3, v11, v3
	ds_bpermute_b32 v10, v1, v58 offset:12
	ds_bpermute_b32 v11, v1, v58 offset:16
	s_wait_dscnt 0x4
	v_fmac_f32_e32 v55, v2, v56
	v_mul_f32_e32 v2, v12, v4
	ds_bpermute_b32 v4, v1, v58 offset:20
	s_wait_dscnt 0x4
	v_fmac_f32_e32 v55, v3, v57
	v_mul_f32_e32 v3, v13, v5
	;; [unrolled: 4-line block ×3, first 2 shown]
	s_wait_dscnt 0x3
	s_delay_alu instid0(VALU_DEP_2) | instskip(SKIP_2) | instid1(VALU_DEP_2)
	v_fmac_f32_e32 v55, v3, v10
	v_mul_f32_e32 v3, v15, v7
	s_wait_dscnt 0x2
	v_fmac_f32_e32 v55, v2, v11
	ds_bpermute_b32 v2, v1, v58 offset:28
	s_wait_dscnt 0x2
	v_fmac_f32_e32 v55, v3, v4
	v_mul_f32_e32 v3, v16, v8
	s_wait_dscnt 0x1
	s_delay_alu instid0(VALU_DEP_1) | instskip(NEXT) | instid1(VALU_DEP_1)
	v_fmac_f32_e32 v55, v3, v5
	v_mov_b32_e32 v84, v55
.LBB161_40:                             ;   in Loop: Header=BB161_3 Depth=1
	v_add_co_u32 v23, vcc_lo, v23, s22
	s_wait_alu 0xfffd
	v_add_co_ci_u32_e64 v24, null, s23, v24, vcc_lo
	v_add_co_u32 v25, vcc_lo, v25, s22
	s_wait_alu 0xfffd
	v_add_co_ci_u32_e64 v26, null, s23, v26, vcc_lo
	;; [unrolled: 3-line block ×13, first 2 shown]
	v_add_co_u32 v49, vcc_lo, v49, s22
	v_mul_f32_e32 v3, v9, v17
	s_add_nc_u64 s[26:27], s[26:27], s[20:21]
	s_wait_alu 0xfffd
	v_add_co_ci_u32_e64 v50, null, s23, v50, vcc_lo
	v_add_co_u32 v51, vcc_lo, v51, s22
	s_wait_alu 0xfffe
	v_cmp_lt_i64_e64 s3, s[26:27], s[4:5]
	s_wait_alu 0xfffd
	v_add_co_ci_u32_e64 v52, null, s23, v52, vcc_lo
	v_add_co_u32 v53, vcc_lo, v53, s22
	s_wait_dscnt 0x0
	v_fmac_f32_e32 v84, v3, v2
	s_wait_alu 0xfffd
	v_add_co_ci_u32_e64 v54, null, s23, v54, vcc_lo
	s_and_b32 vcc_lo, exec_lo, s3
	s_add_nc_u64 s[24:25], s[24:25], s[20:21]
	s_wait_alu 0xfffe
	s_cbranch_vccz .LBB161_50
; %bb.41:                               ;   in Loop: Header=BB161_3 Depth=1
	v_mov_b32_e32 v55, v84
	s_branch .LBB161_3
.LBB161_42:                             ;   in Loop: Header=BB161_3 Depth=1
	v_add_co_u32 v2, vcc_lo, v23, v18
	s_wait_alu 0xfffd
	v_add_co_ci_u32_e64 v3, null, v24, v19, vcc_lo
	v_add_co_u32 v4, vcc_lo, v25, v18
	s_wait_alu 0xfffd
	v_add_co_ci_u32_e64 v5, null, v26, v19, vcc_lo
	global_load_b32 v2, v[2:3], off
	global_load_b32 v10, v[4:5], off
	v_dual_mov_b32 v3, v1 :: v_dual_mov_b32 v4, v1
	v_dual_mov_b32 v5, v1 :: v_dual_mov_b32 v6, v1
	;; [unrolled: 1-line block ×6, first 2 shown]
	v_mov_b32_e32 v15, v1
	v_mov_b32_e32 v17, v1
	s_wait_alu 0xfffe
	s_or_b32 exec_lo, exec_lo, s3
	s_and_saveexec_b32 s3, s2
	s_cbranch_execz .LBB161_32
.LBB161_43:                             ;   in Loop: Header=BB161_3 Depth=1
	v_add_co_u32 v56, vcc_lo, v51, v18
	s_wait_alu 0xfffd
	v_add_co_ci_u32_e64 v57, null, v52, v19, vcc_lo
	v_add_co_u32 v59, vcc_lo, v53, v18
	s_wait_alu 0xfffd
	v_add_co_ci_u32_e64 v60, null, v54, v19, vcc_lo
	global_load_b32 v3, v[56:57], off
	global_load_b32 v11, v[59:60], off
	s_wait_alu 0xfffe
	s_or_b32 exec_lo, exec_lo, s3
	s_and_saveexec_b32 s3, s2
	s_cbranch_execz .LBB161_33
.LBB161_44:                             ;   in Loop: Header=BB161_3 Depth=1
	v_add_co_u32 v56, vcc_lo, v47, v18
	s_wait_alu 0xfffd
	v_add_co_ci_u32_e64 v57, null, v48, v19, vcc_lo
	v_add_co_u32 v59, vcc_lo, v49, v18
	s_wait_alu 0xfffd
	v_add_co_ci_u32_e64 v60, null, v50, v19, vcc_lo
	global_load_b32 v4, v[56:57], off
	global_load_b32 v12, v[59:60], off
	s_wait_alu 0xfffe
	s_or_b32 exec_lo, exec_lo, s3
	s_and_saveexec_b32 s3, s2
	s_cbranch_execz .LBB161_34
.LBB161_45:                             ;   in Loop: Header=BB161_3 Depth=1
	v_add_co_u32 v56, vcc_lo, v43, v18
	s_wait_alu 0xfffd
	v_add_co_ci_u32_e64 v57, null, v44, v19, vcc_lo
	v_add_co_u32 v59, vcc_lo, v45, v18
	s_wait_alu 0xfffd
	v_add_co_ci_u32_e64 v60, null, v46, v19, vcc_lo
	global_load_b32 v5, v[56:57], off
	global_load_b32 v13, v[59:60], off
	s_wait_alu 0xfffe
	s_or_b32 exec_lo, exec_lo, s3
	s_and_saveexec_b32 s3, s2
	s_cbranch_execz .LBB161_35
.LBB161_46:                             ;   in Loop: Header=BB161_3 Depth=1
	v_add_co_u32 v56, vcc_lo, v39, v18
	s_wait_alu 0xfffd
	v_add_co_ci_u32_e64 v57, null, v40, v19, vcc_lo
	v_add_co_u32 v59, vcc_lo, v41, v18
	s_wait_alu 0xfffd
	v_add_co_ci_u32_e64 v60, null, v42, v19, vcc_lo
	global_load_b32 v6, v[56:57], off
	global_load_b32 v14, v[59:60], off
	s_wait_alu 0xfffe
	s_or_b32 exec_lo, exec_lo, s3
	s_and_saveexec_b32 s3, s2
	s_cbranch_execz .LBB161_36
.LBB161_47:                             ;   in Loop: Header=BB161_3 Depth=1
	v_add_co_u32 v56, vcc_lo, v35, v18
	s_wait_alu 0xfffd
	v_add_co_ci_u32_e64 v57, null, v36, v19, vcc_lo
	v_add_co_u32 v59, vcc_lo, v37, v18
	s_wait_alu 0xfffd
	v_add_co_ci_u32_e64 v60, null, v38, v19, vcc_lo
	global_load_b32 v7, v[56:57], off
	global_load_b32 v15, v[59:60], off
	s_wait_alu 0xfffe
	s_or_b32 exec_lo, exec_lo, s3
	s_and_saveexec_b32 s3, s2
	s_cbranch_execz .LBB161_37
.LBB161_48:                             ;   in Loop: Header=BB161_3 Depth=1
	v_add_co_u32 v56, vcc_lo, v31, v18
	s_wait_alu 0xfffd
	v_add_co_ci_u32_e64 v57, null, v32, v19, vcc_lo
	v_add_co_u32 v59, vcc_lo, v33, v18
	s_wait_alu 0xfffd
	v_add_co_ci_u32_e64 v60, null, v34, v19, vcc_lo
	global_load_b32 v8, v[56:57], off
	global_load_b32 v16, v[59:60], off
	s_wait_alu 0xfffe
	s_or_b32 exec_lo, exec_lo, s3
	s_and_saveexec_b32 s3, s2
	s_cbranch_execnz .LBB161_38
	s_branch .LBB161_39
.LBB161_49:
                                        ; implicit-def: $vgpr84
	s_branch .LBB161_51
.LBB161_50:
	s_cbranch_execnz .LBB161_83
.LBB161_51:
	v_mov_b32_e32 v84, 0
	s_and_not1_b32 vcc_lo, exec_lo, s29
	s_wait_alu 0xfffe
	s_cbranch_vccnz .LBB161_83
; %bb.52:
	v_bfe_u32 v48, v0, 10, 10
	v_dual_mov_b32 v1, 0 :: v_dual_and_b32 v50, 0x3ff, v0
	s_lshl_b64 s[18:19], s[14:15], 2
	s_mov_b32 s3, 0
	s_delay_alu instid0(VALU_DEP_2) | instskip(SKIP_2) | instid1(VALU_DEP_3)
	v_lshlrev_b32_e32 v49, 3, v48
	v_dual_mov_b32 v83, 0 :: v_dual_lshlrev_b32 v8, 5, v48
	v_dual_mov_b32 v5, v1 :: v_dual_add_nc_u32 v4, s28, v50
	v_add_co_u32 v10, s2, v49, s14
	s_wait_alu 0xf1ff
	v_add_co_ci_u32_e64 v11, null, 0, 0, s2
	s_delay_alu instid0(VALU_DEP_3) | instskip(NEXT) | instid1(VALU_DEP_3)
	v_lshlrev_b64_e32 v[18:19], 2, v[4:5]
	v_mul_lo_u32 v6, s7, v10
	v_mad_co_u64_u32 v[2:3], null, s6, v10, 0
	s_delay_alu instid0(VALU_DEP_4) | instskip(SKIP_2) | instid1(VALU_DEP_1)
	v_mul_lo_u32 v7, s6, v11
	s_load_b32 s2, s[0:1], 0x44
	s_mov_b32 s17, s3
	v_add3_u32 v3, v3, v7, v6
	v_add_co_u32 v6, s16, v8, s18
	s_wait_alu 0xf1ff
	v_add_co_ci_u32_e64 v7, null, 0, s19, s16
	s_delay_alu instid0(VALU_DEP_3) | instskip(NEXT) | instid1(VALU_DEP_3)
	v_lshlrev_b64_e32 v[4:5], 2, v[2:3]
	v_add_co_u32 v8, vcc_lo, v6, 4
	s_wait_alu 0xfffd
	s_delay_alu instid0(VALU_DEP_3) | instskip(NEXT) | instid1(VALU_DEP_3)
	v_add_co_ci_u32_e64 v9, null, 0, v7, vcc_lo
	v_add_co_u32 v51, vcc_lo, s8, v4
	s_wait_alu 0xfffd
	v_add_co_ci_u32_e64 v52, null, s9, v5, vcc_lo
	v_add_co_u32 v53, vcc_lo, s10, v4
	s_wait_alu 0xfffd
	;; [unrolled: 3-line block ×5, first 2 shown]
	v_add_co_ci_u32_e64 v28, null, 0, v7, vcc_lo
	v_add_co_u32 v42, vcc_lo, v6, 20
	v_mad_co_u64_u32 v[22:23], null, s6, v4, s[8:9]
	v_mul_lo_u32 v5, s6, v5
	v_mul_lo_u32 v15, s7, v4
	v_mad_co_u64_u32 v[36:37], null, s6, v4, s[10:11]
	s_wait_alu 0xfffd
	v_add_co_ci_u32_e64 v30, null, 0, v7, vcc_lo
	v_add_co_u32 v44, vcc_lo, v6, 24
	s_wait_alu 0xfffd
	v_add_co_ci_u32_e64 v32, null, 0, v7, vcc_lo
	v_add_co_u32 v6, vcc_lo, v6, 28
	v_mad_co_u64_u32 v[20:21], null, s6, v8, s[8:9]
	v_mul_lo_u32 v9, s6, v9
	v_mul_lo_u32 v12, s7, v8
	v_mad_co_u64_u32 v[34:35], null, s6, v8, s[10:11]
	s_wait_alu 0xfffd
	v_add_co_ci_u32_e64 v7, null, 0, v7, vcc_lo
	v_add_co_u32 v4, vcc_lo, v10, 7
	v_add3_u32 v23, v15, v23, v5
	v_add3_u32 v37, v15, v37, v5
	s_wait_alu 0xfffd
	v_add_co_ci_u32_e64 v5, null, 0, v11, vcc_lo
	v_mul_lo_u32 v61, s6, v7
	v_add_co_u32 v7, vcc_lo, v10, 6
	v_add3_u32 v21, v12, v21, v9
	v_add3_u32 v35, v12, v35, v9
	s_wait_alu 0xfffd
	v_add_co_ci_u32_e64 v12, null, 0, v11, vcc_lo
	v_mul_lo_u32 v8, s7, v4
	v_mul_lo_u32 v9, s6, v5
	v_mad_co_u64_u32 v[4:5], null, s6, v4, 0
	v_mad_co_u64_u32 v[24:25], null, s6, v13, s[8:9]
	v_mul_lo_u32 v17, s7, v13
	v_mul_lo_u32 v59, s6, v32
	v_mad_co_u64_u32 v[32:33], null, s6, v6, s[8:9]
	v_mul_lo_u32 v62, s7, v6
	v_mad_co_u64_u32 v[38:39], null, s6, v13, s[10:11]
	v_mad_co_u64_u32 v[46:47], null, s6, v6, s[10:11]
	v_mul_lo_u32 v13, s7, v7
	v_mul_lo_u32 v12, s6, v12
	v_mad_co_u64_u32 v[6:7], null, s6, v7, 0
	v_add3_u32 v5, v5, v9, v8
	v_add_co_u32 v8, vcc_lo, v10, 5
	v_mad_co_u64_u32 v[26:27], null, s6, v16, s[8:9]
	v_mul_lo_u32 v55, s6, v28
	v_mul_lo_u32 v56, s7, v16
	v_mad_co_u64_u32 v[40:41], null, s6, v16, s[10:11]
	s_wait_alu 0xfffd
	v_add_co_ci_u32_e64 v9, null, 0, v11, vcc_lo
	v_add3_u32 v7, v7, v12, v13
	v_mad_co_u64_u32 v[28:29], null, s6, v42, s[8:9]
	v_mul_lo_u32 v57, s6, v30
	v_mul_lo_u32 v58, s7, v42
	v_mad_co_u64_u32 v[42:43], null, s6, v42, s[10:11]
	v_lshlrev_b64_e32 v[4:5], 2, v[4:5]
	v_mad_co_u64_u32 v[30:31], null, s6, v44, s[8:9]
	v_mul_lo_u32 v60, s7, v44
	v_mad_co_u64_u32 v[44:45], null, s6, v44, s[10:11]
	v_mul_lo_u32 v12, s7, v8
	v_mul_lo_u32 v13, s6, v9
	v_mad_co_u64_u32 v[8:9], null, s6, v8, 0
	v_lshlrev_b64_e32 v[6:7], 2, v[6:7]
	v_add3_u32 v27, v56, v27, v55
	v_add3_u32 v41, v56, v41, v55
	v_add_co_u32 v55, vcc_lo, s8, v4
	v_add3_u32 v29, v58, v29, v57
	v_add3_u32 v43, v58, v43, v57
	s_wait_alu 0xfffd
	v_add_co_ci_u32_e64 v56, null, s9, v5, vcc_lo
	v_add_co_u32 v57, vcc_lo, s10, v4
	v_add3_u32 v31, v60, v31, v59
	v_add3_u32 v45, v60, v45, v59
	s_wait_alu 0xfffd
	v_add_co_ci_u32_e64 v58, null, s11, v5, vcc_lo
	v_add_co_u32 v59, vcc_lo, s8, v6
	v_mul_lo_u32 v14, s6, v14
	v_add3_u32 v9, v9, v13, v12
	s_wait_alu 0xfffd
	v_add_co_ci_u32_e64 v60, null, s9, v7, vcc_lo
	v_add_co_u32 v12, vcc_lo, v10, 4
	s_wait_kmcnt 0x0
	s_lshl_b32 s16, s2, 8
	v_add3_u32 v33, v62, v33, v61
	v_add3_u32 v47, v62, v47, v61
	v_add_co_u32 v61, s2, s10, v6
	s_wait_alu 0xfffd
	v_add_co_ci_u32_e64 v6, null, 0, v11, vcc_lo
	v_lshlrev_b64_e32 v[4:5], 2, v[8:9]
	v_add_co_u32 v8, vcc_lo, v10, 3
	s_wait_alu 0xfffd
	v_add_co_ci_u32_e64 v9, null, 0, v11, vcc_lo
	v_add3_u32 v25, v17, v25, v14
	v_add3_u32 v39, v17, v39, v14
	s_wait_alu 0xf1ff
	v_add_co_ci_u32_e64 v62, null, s11, v7, s2
	v_mul_lo_u32 v13, s7, v12
	v_mul_lo_u32 v14, s6, v6
	v_mad_co_u64_u32 v[6:7], null, s6, v12, 0
	v_mul_lo_u32 v12, s7, v8
	v_mul_lo_u32 v15, s6, v9
	v_mad_co_u64_u32 v[8:9], null, s6, v8, 0
	v_add_co_u32 v63, vcc_lo, s8, v4
	s_wait_alu 0xfffd
	v_add_co_ci_u32_e64 v64, null, s9, v5, vcc_lo
	v_add3_u32 v7, v7, v14, v13
	v_add_co_u32 v65, vcc_lo, s10, v4
	s_wait_alu 0xfffd
	v_add_co_ci_u32_e64 v66, null, s11, v5, vcc_lo
	v_add_co_u32 v10, vcc_lo, v10, 2
	v_add3_u32 v9, v9, v15, v12
	s_wait_alu 0xfffd
	v_add_co_ci_u32_e64 v11, null, 0, v11, vcc_lo
	v_lshlrev_b64_e32 v[4:5], 2, v[6:7]
	v_mul_lo_u32 v12, s7, v10
	v_lshlrev_b64_e32 v[6:7], 2, v[8:9]
	s_delay_alu instid0(VALU_DEP_4)
	v_mul_lo_u32 v11, s6, v11
	v_mad_co_u64_u32 v[8:9], null, s6, v10, 0
	v_add_co_u32 v67, vcc_lo, s8, v4
	s_wait_alu 0xfffd
	v_add_co_ci_u32_e64 v68, null, s9, v5, vcc_lo
	v_add_co_u32 v69, vcc_lo, s10, v4
	s_wait_alu 0xfffd
	v_add_co_ci_u32_e64 v70, null, s11, v5, vcc_lo
	;; [unrolled: 3-line block ×3, first 2 shown]
	v_add3_u32 v9, v9, v11, v12
	v_add_co_u32 v73, vcc_lo, s10, v6
	s_wait_alu 0xfffd
	v_add_co_ci_u32_e64 v74, null, s11, v7, vcc_lo
	v_add_co_u32 v2, vcc_lo, v2, s6
	s_wait_alu 0xfffd
	v_add_co_ci_u32_e64 v3, null, s7, v3, vcc_lo
	v_lshlrev_b64_e32 v[4:5], 2, v[8:9]
	s_wait_alu 0xfffe
	s_mul_u64 s[18:19], s[6:7], s[16:17]
	s_delay_alu instid0(VALU_DEP_2) | instskip(NEXT) | instid1(VALU_DEP_2)
	v_lshlrev_b64_e32 v[2:3], 2, v[2:3]
	v_add_co_u32 v75, vcc_lo, s8, v4
	s_wait_alu 0xfffd
	v_add_co_ci_u32_e64 v76, null, s9, v5, vcc_lo
	v_add_co_u32 v77, vcc_lo, s10, v4
	s_wait_alu 0xfffd
	v_add_co_ci_u32_e64 v78, null, s11, v5, vcc_lo
	v_add_co_u32 v79, vcc_lo, s8, v2
	s_wait_alu 0xfffd
	v_add_co_ci_u32_e64 v80, null, s9, v3, vcc_lo
	v_add_co_u32 v81, vcc_lo, s10, v2
	s_wait_alu 0xfffd
	v_add_co_ci_u32_e64 v82, null, s11, v3, vcc_lo
	s_add_nc_u64 s[8:9], s[0:1], 64
	s_wait_alu 0xfffe
	s_lshl_b64 s[10:11], s[18:19], 2
	s_add_nc_u64 s[18:19], s[14:15], 0xff
.LBB161_53:                             ; =>This Inner Loop Header: Depth=1
	s_wait_alu 0xfffe
	v_cmp_ge_i64_e64 s2, s[18:19], s[4:5]
	v_add_co_u32 v85, s20, v49, s18
	s_wait_alu 0xf1ff
	v_add_co_ci_u32_e64 v86, null, 0, s19, s20
                                        ; implicit-def: $vgpr84
	s_and_b32 vcc_lo, exec_lo, s2
	s_mov_b32 s2, -1
	s_wait_alu 0xfffe
	s_cbranch_vccz .LBB161_75
; %bb.54:                               ;   in Loop: Header=BB161_53 Depth=1
	s_load_b32 s2, s[8:9], 0xc
	v_mov_b32_e32 v87, 0
	s_wait_kmcnt 0x0
	s_and_b32 s2, s2, 0xffff
	s_wait_alu 0xfffe
	v_mad_u32_u24 v2, v48, s2, v50
	s_mov_b32 s2, exec_lo
	s_delay_alu instid0(VALU_DEP_1) | instskip(NEXT) | instid1(VALU_DEP_1)
	v_and_b32_e32 v2, 31, v2
	v_cmpx_gt_u32_e32 8, v2
	s_cbranch_execz .LBB161_58
; %bb.55:                               ;   in Loop: Header=BB161_53 Depth=1
	v_add_co_u32 v2, vcc_lo, v85, v2
	s_wait_alu 0xfffd
	v_add_co_ci_u32_e64 v3, null, 0, v86, vcc_lo
	v_mov_b32_e32 v87, 0
	s_delay_alu instid0(VALU_DEP_3) | instskip(SKIP_1) | instid1(VALU_DEP_3)
	v_add_co_u32 v2, vcc_lo, 0xffffff01, v2
	s_wait_alu 0xfffd
	v_add_co_ci_u32_e64 v3, null, -1, v3, vcc_lo
	s_mov_b32 s20, exec_lo
	v_cmpx_gt_i64_e64 s[4:5], v[2:3]
	s_cbranch_execz .LBB161_57
; %bb.56:                               ;   in Loop: Header=BB161_53 Depth=1
	v_lshlrev_b64_e32 v[2:3], 2, v[2:3]
	s_delay_alu instid0(VALU_DEP_1) | instskip(SKIP_1) | instid1(VALU_DEP_2)
	v_add_co_u32 v2, vcc_lo, s12, v2
	s_wait_alu 0xfffd
	v_add_co_ci_u32_e64 v3, null, s13, v3, vcc_lo
	global_load_b32 v87, v[2:3], off
.LBB161_57:                             ;   in Loop: Header=BB161_53 Depth=1
	s_wait_alu 0xfffe
	s_or_b32 exec_lo, exec_lo, s20
.LBB161_58:                             ;   in Loop: Header=BB161_53 Depth=1
	s_wait_alu 0xfffe
	s_or_b32 exec_lo, exec_lo, s2
	v_add_co_u32 v9, vcc_lo, 0xffffff01, v85
	s_wait_alu 0xfffd
	v_add_co_ci_u32_e64 v10, null, -1, v86, vcc_lo
	v_mov_b32_e32 v8, v1
	v_dual_mov_b32 v2, v1 :: v_dual_mov_b32 v3, v1
	v_dual_mov_b32 v4, v1 :: v_dual_mov_b32 v5, v1
	;; [unrolled: 1-line block ×3, first 2 shown]
	v_cmp_gt_i64_e32 vcc_lo, s[4:5], v[9:10]
	s_delay_alu instid0(VALU_DEP_3) | instskip(NEXT) | instid1(VALU_DEP_3)
	v_dual_mov_b32 v17, v8 :: v_dual_mov_b32 v14, v5
	v_dual_mov_b32 v15, v6 :: v_dual_mov_b32 v16, v7
	;; [unrolled: 1-line block ×4, first 2 shown]
	v_mov_b32_e32 v9, v8
	v_mov_b32_e32 v8, v7
	;; [unrolled: 1-line block ×8, first 2 shown]
	s_and_saveexec_b32 s2, vcc_lo
	s_cbranch_execz .LBB161_60
; %bb.59:                               ;   in Loop: Header=BB161_53 Depth=1
	v_add_co_u32 v2, vcc_lo, v51, v18
	s_wait_alu 0xfffd
	v_add_co_ci_u32_e64 v3, null, v52, v19, vcc_lo
	v_add_co_u32 v4, vcc_lo, v53, v18
	s_wait_alu 0xfffd
	v_add_co_ci_u32_e64 v5, null, v54, v19, vcc_lo
	global_load_b32 v2, v[2:3], off
	global_load_b32 v10, v[4:5], off
	v_dual_mov_b32 v3, v1 :: v_dual_mov_b32 v4, v1
	v_dual_mov_b32 v5, v1 :: v_dual_mov_b32 v6, v1
	;; [unrolled: 1-line block ×6, first 2 shown]
	v_mov_b32_e32 v15, v1
	v_mov_b32_e32 v17, v1
.LBB161_60:                             ;   in Loop: Header=BB161_53 Depth=1
	s_wait_alu 0xfffe
	s_or_b32 exec_lo, exec_lo, s2
	v_add_co_u32 v88, vcc_lo, 0xffffff02, v85
	s_wait_alu 0xfffd
	v_add_co_ci_u32_e64 v89, null, -1, v86, vcc_lo
	s_mov_b32 s2, exec_lo
	v_cmpx_gt_i64_e64 s[4:5], v[88:89]
	s_cbranch_execz .LBB161_62
; %bb.61:                               ;   in Loop: Header=BB161_53 Depth=1
	v_add_co_u32 v88, vcc_lo, v79, v18
	s_wait_alu 0xfffd
	v_add_co_ci_u32_e64 v89, null, v80, v19, vcc_lo
	v_add_co_u32 v90, vcc_lo, v81, v18
	s_wait_alu 0xfffd
	v_add_co_ci_u32_e64 v91, null, v82, v19, vcc_lo
	global_load_b32 v3, v[88:89], off
	global_load_b32 v11, v[90:91], off
.LBB161_62:                             ;   in Loop: Header=BB161_53 Depth=1
	s_wait_alu 0xfffe
	s_or_b32 exec_lo, exec_lo, s2
	v_add_co_u32 v88, vcc_lo, 0xffffff03, v85
	s_wait_alu 0xfffd
	v_add_co_ci_u32_e64 v89, null, -1, v86, vcc_lo
	s_mov_b32 s2, exec_lo
	v_cmpx_gt_i64_e64 s[4:5], v[88:89]
	s_cbranch_execz .LBB161_64
; %bb.63:                               ;   in Loop: Header=BB161_53 Depth=1
	v_add_co_u32 v88, vcc_lo, v75, v18
	s_wait_alu 0xfffd
	v_add_co_ci_u32_e64 v89, null, v76, v19, vcc_lo
	v_add_co_u32 v90, vcc_lo, v77, v18
	s_wait_alu 0xfffd
	v_add_co_ci_u32_e64 v91, null, v78, v19, vcc_lo
	global_load_b32 v4, v[88:89], off
	global_load_b32 v12, v[90:91], off
.LBB161_64:                             ;   in Loop: Header=BB161_53 Depth=1
	;; [unrolled: 18-line block ×7, first 2 shown]
	s_wait_alu 0xfffe
	s_or_b32 exec_lo, exec_lo, s2
	s_wait_loadcnt 0x0
	ds_bpermute_b32 v84, v1, v87
	ds_bpermute_b32 v88, v1, v87 offset:4
	ds_bpermute_b32 v89, v1, v87 offset:8
	v_dual_mul_f32 v2, v10, v2 :: v_dual_mul_f32 v3, v11, v3
	ds_bpermute_b32 v10, v1, v87 offset:12
	ds_bpermute_b32 v11, v1, v87 offset:16
	s_mov_b32 s2, 0
	s_wait_dscnt 0x4
	v_fma_f32 v84, v2, v84, v83
	v_mul_f32_e32 v2, v12, v4
	ds_bpermute_b32 v4, v1, v87 offset:20
	s_wait_dscnt 0x4
	v_dual_fmac_f32 v84, v3, v88 :: v_dual_mul_f32 v3, v13, v5
	ds_bpermute_b32 v5, v1, v87 offset:24
	s_wait_dscnt 0x4
	v_fmac_f32_e32 v84, v2, v89
	v_mul_f32_e32 v2, v14, v6
	v_mul_f32_e32 v6, v15, v7
	s_wait_dscnt 0x3
	s_delay_alu instid0(VALU_DEP_3)
	v_fmac_f32_e32 v84, v3, v10
	ds_bpermute_b32 v3, v1, v87 offset:28
	s_wait_dscnt 0x3
	v_fmac_f32_e32 v84, v2, v11
	v_mul_f32_e32 v2, v16, v8
	s_wait_dscnt 0x2
	s_delay_alu instid0(VALU_DEP_2) | instskip(SKIP_1) | instid1(VALU_DEP_1)
	v_fmac_f32_e32 v84, v6, v4
	s_wait_dscnt 0x1
	v_fmac_f32_e32 v84, v2, v5
	v_mul_f32_e32 v2, v17, v9
	s_wait_dscnt 0x0
	s_delay_alu instid0(VALU_DEP_1)
	v_fmac_f32_e32 v84, v2, v3
.LBB161_75:                             ;   in Loop: Header=BB161_53 Depth=1
	s_wait_alu 0xfffe
	s_and_b32 vcc_lo, exec_lo, s2
	s_wait_alu 0xfffe
	s_cbranch_vccz .LBB161_81
; %bb.76:                               ;   in Loop: Header=BB161_53 Depth=1
	s_load_b32 s2, s[8:9], 0x0
	v_mov_b32_e32 v4, 0
	s_wait_kmcnt 0x0
	s_cmp_lt_u32 ttmp9, s2
	s_cselect_b32 s2, 12, 18
	s_wait_alu 0xfffe
	s_add_nc_u64 s[20:21], s[8:9], s[2:3]
	s_load_u16 s2, s[20:21], 0x0
	s_wait_kmcnt 0x0
	v_mad_u32_u24 v2, v48, s2, v50
	s_mov_b32 s2, exec_lo
	s_delay_alu instid0(VALU_DEP_1) | instskip(NEXT) | instid1(VALU_DEP_1)
	v_and_b32_e32 v2, 31, v2
	v_cmpx_gt_u32_e32 8, v2
	s_cbranch_execz .LBB161_80
; %bb.77:                               ;   in Loop: Header=BB161_53 Depth=1
	v_add_co_u32 v2, vcc_lo, v85, v2
	s_wait_alu 0xfffd
	v_add_co_ci_u32_e64 v3, null, 0, v86, vcc_lo
	v_mov_b32_e32 v4, 0
	s_delay_alu instid0(VALU_DEP_3) | instskip(SKIP_1) | instid1(VALU_DEP_3)
	v_add_co_u32 v2, vcc_lo, 0xffffff01, v2
	s_wait_alu 0xfffd
	v_add_co_ci_u32_e64 v3, null, -1, v3, vcc_lo
	s_mov_b32 s20, exec_lo
	v_cmpx_gt_i64_e64 s[4:5], v[2:3]
	s_cbranch_execz .LBB161_79
; %bb.78:                               ;   in Loop: Header=BB161_53 Depth=1
	v_lshlrev_b64_e32 v[2:3], 2, v[2:3]
	s_delay_alu instid0(VALU_DEP_1) | instskip(SKIP_1) | instid1(VALU_DEP_2)
	v_add_co_u32 v2, vcc_lo, s12, v2
	s_wait_alu 0xfffd
	v_add_co_ci_u32_e64 v3, null, s13, v3, vcc_lo
	global_load_b32 v4, v[2:3], off
.LBB161_79:                             ;   in Loop: Header=BB161_53 Depth=1
	s_wait_alu 0xfffe
	s_or_b32 exec_lo, exec_lo, s20
.LBB161_80:                             ;   in Loop: Header=BB161_53 Depth=1
	s_wait_alu 0xfffe
	s_or_b32 exec_lo, exec_lo, s2
	v_add_co_u32 v2, vcc_lo, v51, v18
	s_wait_alu 0xfffd
	v_add_co_ci_u32_e64 v3, null, v52, v19, vcc_lo
	v_add_co_u32 v5, vcc_lo, v53, v18
	s_wait_alu 0xfffd
	v_add_co_ci_u32_e64 v6, null, v54, v19, vcc_lo
	;; [unrolled: 3-line block ×4, first 2 shown]
	global_load_b32 v13, v[2:3], off
	global_load_b32 v14, v[5:6], off
	;; [unrolled: 1-line block ×4, first 2 shown]
	v_add_co_u32 v2, vcc_lo, v22, v18
	s_wait_alu 0xfffd
	v_add_co_ci_u32_e64 v3, null, v23, v19, vcc_lo
	v_add_co_u32 v5, vcc_lo, v36, v18
	s_wait_alu 0xfffd
	v_add_co_ci_u32_e64 v6, null, v37, v19, vcc_lo
	;; [unrolled: 3-line block ×5, first 2 shown]
	global_load_b32 v17, v[2:3], off
	global_load_b32 v84, v[5:6], off
	;; [unrolled: 1-line block ×5, first 2 shown]
	v_add_co_u32 v2, vcc_lo, v40, v18
	s_wait_alu 0xfffd
	v_add_co_ci_u32_e64 v3, null, v41, v19, vcc_lo
	v_add_co_u32 v5, vcc_lo, v28, v18
	s_wait_alu 0xfffd
	v_add_co_ci_u32_e64 v6, null, v29, v19, vcc_lo
	;; [unrolled: 3-line block ×5, first 2 shown]
	global_load_b32 v88, v[2:3], off
	global_load_b32 v89, v[5:6], off
	;; [unrolled: 1-line block ×5, first 2 shown]
	v_add_co_u32 v2, vcc_lo, v32, v18
	s_wait_alu 0xfffd
	v_add_co_ci_u32_e64 v3, null, v33, v19, vcc_lo
	v_add_co_u32 v5, vcc_lo, v46, v18
	s_wait_alu 0xfffd
	v_add_co_ci_u32_e64 v6, null, v47, v19, vcc_lo
	global_load_b32 v2, v[2:3], off
	global_load_b32 v3, v[5:6], off
	s_wait_loadcnt 0x10
	ds_bpermute_b32 v5, v1, v4
	ds_bpermute_b32 v6, v1, v4 offset:4
	ds_bpermute_b32 v10, v1, v4 offset:8
	;; [unrolled: 1-line block ×3, first 2 shown]
	s_wait_loadcnt 0xe
	v_mul_f32_e32 v12, v13, v14
	ds_bpermute_b32 v13, v1, v4 offset:16
	s_wait_loadcnt_dscnt 0xc04
	v_dual_mul_f32 v14, v15, v16 :: v_dual_fmac_f32 v83, v12, v5
	ds_bpermute_b32 v5, v1, v4 offset:20
	s_wait_dscnt 0x4
	v_fmac_f32_e32 v83, v14, v6
	ds_bpermute_b32 v6, v1, v4 offset:24
	ds_bpermute_b32 v4, v1, v4 offset:28
	s_wait_loadcnt 0xa
	v_mul_f32_e32 v12, v17, v84
	s_wait_loadcnt_dscnt 0x605
	s_delay_alu instid0(VALU_DEP_1) | instskip(SKIP_4) | instid1(VALU_DEP_2)
	v_dual_fmac_f32 v83, v12, v10 :: v_dual_mul_f32 v10, v87, v88
	v_mul_f32_e32 v14, v85, v86
	s_wait_loadcnt 0x2
	v_dual_mul_f32 v7, v89, v7 :: v_dual_mul_f32 v8, v8, v9
	s_wait_dscnt 0x4
	v_fmac_f32_e32 v83, v14, v11
	s_wait_dscnt 0x3
	s_delay_alu instid0(VALU_DEP_1) | instskip(SKIP_1) | instid1(VALU_DEP_1)
	v_fmac_f32_e32 v83, v10, v13
	s_wait_loadcnt_dscnt 0x2
	v_dual_mul_f32 v2, v2, v3 :: v_dual_fmac_f32 v83, v7, v5
	s_wait_dscnt 0x1
	s_delay_alu instid0(VALU_DEP_1) | instskip(SKIP_1) | instid1(VALU_DEP_1)
	v_fmac_f32_e32 v83, v8, v6
	s_wait_dscnt 0x0
	v_fmac_f32_e32 v83, v2, v4
	s_delay_alu instid0(VALU_DEP_1)
	v_mov_b32_e32 v84, v83
.LBB161_81:                             ;   in Loop: Header=BB161_53 Depth=1
	v_add_co_u32 v51, vcc_lo, v51, s10
	s_wait_alu 0xfffd
	v_add_co_ci_u32_e64 v52, null, s11, v52, vcc_lo
	v_add_co_u32 v53, vcc_lo, v53, s10
	s_wait_alu 0xfffd
	v_add_co_ci_u32_e64 v54, null, s11, v54, vcc_lo
	;; [unrolled: 3-line block ×27, first 2 shown]
	v_add_co_u32 v77, vcc_lo, v77, s10
	s_add_nc_u64 s[14:15], s[14:15], s[16:17]
	s_wait_alu 0xfffd
	v_add_co_ci_u32_e64 v78, null, s11, v78, vcc_lo
	v_add_co_u32 v79, vcc_lo, v79, s10
	s_wait_alu 0xfffe
	v_cmp_ge_i64_e64 s2, s[14:15], s[4:5]
	s_wait_alu 0xfffd
	v_add_co_ci_u32_e64 v80, null, s11, v80, vcc_lo
	v_add_co_u32 v81, vcc_lo, v81, s10
	s_wait_alu 0xfffd
	v_add_co_ci_u32_e64 v82, null, s11, v82, vcc_lo
	s_and_b32 vcc_lo, exec_lo, s2
	s_add_nc_u64 s[18:19], s[18:19], s[16:17]
	s_wait_alu 0xfffe
	s_cbranch_vccnz .LBB161_83
; %bb.82:                               ;   in Loop: Header=BB161_53 Depth=1
	v_mov_b32_e32 v83, v84
	s_branch .LBB161_53
.LBB161_83:
	v_and_b32_e32 v2, 0x3ff, v0
	v_bfe_u32 v1, v0, 10, 10
	v_bfe_u32 v0, v0, 5, 5
	s_mov_b32 s3, 0
	s_mov_b32 s2, exec_lo
	s_delay_alu instid0(VALU_DEP_2) | instskip(NEXT) | instid1(VALU_DEP_2)
	v_mad_u32_u24 v3, v1, 33, v2
	v_add_nc_u32_e32 v0, v0, v1
	s_delay_alu instid0(VALU_DEP_2)
	v_lshl_add_u32 v1, v3, 2, 0
	v_mov_b32_e32 v3, 0
	ds_store_b32 v1, v84
	ds_store_b32 v1, v3 offset:4224
	s_wait_dscnt 0x0
	s_barrier_signal -1
	s_barrier_wait -1
	global_inv scope:SCOPE_SE
	v_cmpx_gt_u32_e32 32, v0
	s_cbranch_execz .LBB161_86
; %bb.84:
	v_and_b32_e32 v1, 31, v2
	v_lshlrev_b32_e32 v3, 2, v0
	s_load_b64 s[4:5], s[0:1], 0x30
	s_mov_b32 s2, ttmp9
	s_wait_alu 0xfffe
	s_lshl_b64 s[0:1], s[2:3], 5
	v_mul_u32_u24_e32 v1, 0x84, v1
	v_or_b32_e32 v0, s0, v0
	v_cmp_eq_u32_e64 s0, 0, v2
	s_delay_alu instid0(VALU_DEP_3) | instskip(SKIP_4) | instid1(VALU_DEP_2)
	v_add3_u32 v1, 0, v3, v1
	v_mbcnt_lo_u32_b32 v3, -1, 0
	ds_load_b32 v1, v1
	v_xor_b32_e32 v4, 16, v3
	v_xor_b32_e32 v5, 8, v3
	v_cmp_gt_i32_e32 vcc_lo, 32, v4
	s_wait_kmcnt 0x0
	s_cmp_lg_u64 s[4:5], 0
	s_wait_alu 0xfffd
	v_cndmask_b32_e32 v4, v3, v4, vcc_lo
	v_cmp_gt_i32_e32 vcc_lo, 32, v5
	s_wait_alu 0xfffd
	s_delay_alu instid0(VALU_DEP_2)
	v_dual_cndmask_b32 v5, v3, v5 :: v_dual_lshlrev_b32 v4, 2, v4
	s_wait_dscnt 0x0
	ds_bpermute_b32 v4, v4, v1
	v_lshlrev_b32_e32 v5, 2, v5
	s_wait_dscnt 0x0
	v_add_f32_e32 v1, v1, v4
	ds_bpermute_b32 v4, v5, v1
	v_xor_b32_e32 v5, 4, v3
	s_delay_alu instid0(VALU_DEP_1) | instskip(SKIP_2) | instid1(VALU_DEP_1)
	v_cmp_gt_i32_e32 vcc_lo, 32, v5
	s_wait_alu 0xfffd
	v_cndmask_b32_e32 v5, v3, v5, vcc_lo
	v_lshlrev_b32_e32 v5, 2, v5
	s_wait_dscnt 0x0
	v_add_f32_e32 v1, v1, v4
	ds_bpermute_b32 v4, v5, v1
	v_xor_b32_e32 v5, 2, v3
	s_delay_alu instid0(VALU_DEP_1) | instskip(SKIP_2) | instid1(VALU_DEP_1)
	v_cmp_gt_i32_e32 vcc_lo, 32, v5
	s_wait_alu 0xfffd
	v_cndmask_b32_e32 v5, v3, v5, vcc_lo
	v_lshlrev_b32_e32 v5, 2, v5
	s_wait_dscnt 0x0
	v_add_f32_e32 v1, v1, v4
	ds_bpermute_b32 v4, v5, v1
	v_xor_b32_e32 v5, 1, v3
	s_delay_alu instid0(VALU_DEP_1) | instskip(SKIP_4) | instid1(VALU_DEP_2)
	v_cmp_gt_i32_e32 vcc_lo, 32, v5
	s_wait_alu 0xfffd
	v_cndmask_b32_e32 v5, v3, v5, vcc_lo
	s_wait_dscnt 0x0
	v_add_f32_e32 v3, v1, v4
	v_lshlrev_b32_e32 v1, 2, v5
	ds_bpermute_b32 v4, v1, v3
	v_mov_b32_e32 v1, s1
	s_cselect_b32 s1, -1, 0
	s_delay_alu instid0(VALU_DEP_1)
	v_cmp_gt_i64_e32 vcc_lo, s[6:7], v[0:1]
	s_and_b32 s0, s0, vcc_lo
	s_wait_alu 0xfffe
	s_and_b32 s0, s1, s0
	s_wait_alu 0xfffe
	s_and_b32 exec_lo, exec_lo, s0
	s_cbranch_execz .LBB161_86
; %bb.85:
	v_lshlrev_b64_e32 v[0:1], 2, v[0:1]
	s_wait_dscnt 0x0
	v_add_f32_e32 v2, v3, v4
	s_delay_alu instid0(VALU_DEP_2) | instskip(SKIP_1) | instid1(VALU_DEP_3)
	v_add_co_u32 v0, vcc_lo, s4, v0
	s_wait_alu 0xfffd
	v_add_co_ci_u32_e64 v1, null, s5, v1, vcc_lo
	global_store_b32 v[0:1], v2, off
.LBB161_86:
	s_endpgm
	.section	.rodata,"a",@progbits
	.p2align	6, 0x0
	.amdhsa_kernel _ZN2at6native12_GLOBAL__N_135GammaBetaBackwardCUDAKernelTemplateIffLj32ELj32ELj256ELb0ELb0ELb1EEEvllPKT_S5_PKT0_S8_PS3_S9_
		.amdhsa_group_segment_fixed_size 0
		.amdhsa_private_segment_fixed_size 0
		.amdhsa_kernarg_size 320
		.amdhsa_user_sgpr_count 2
		.amdhsa_user_sgpr_dispatch_ptr 0
		.amdhsa_user_sgpr_queue_ptr 0
		.amdhsa_user_sgpr_kernarg_segment_ptr 1
		.amdhsa_user_sgpr_dispatch_id 0
		.amdhsa_user_sgpr_private_segment_size 0
		.amdhsa_wavefront_size32 1
		.amdhsa_uses_dynamic_stack 0
		.amdhsa_enable_private_segment 0
		.amdhsa_system_sgpr_workgroup_id_x 1
		.amdhsa_system_sgpr_workgroup_id_y 1
		.amdhsa_system_sgpr_workgroup_id_z 0
		.amdhsa_system_sgpr_workgroup_info 0
		.amdhsa_system_vgpr_workitem_id 1
		.amdhsa_next_free_vgpr 92
		.amdhsa_next_free_sgpr 32
		.amdhsa_reserve_vcc 1
		.amdhsa_float_round_mode_32 0
		.amdhsa_float_round_mode_16_64 0
		.amdhsa_float_denorm_mode_32 3
		.amdhsa_float_denorm_mode_16_64 3
		.amdhsa_fp16_overflow 0
		.amdhsa_workgroup_processor_mode 1
		.amdhsa_memory_ordered 1
		.amdhsa_forward_progress 1
		.amdhsa_inst_pref_size 71
		.amdhsa_round_robin_scheduling 0
		.amdhsa_exception_fp_ieee_invalid_op 0
		.amdhsa_exception_fp_denorm_src 0
		.amdhsa_exception_fp_ieee_div_zero 0
		.amdhsa_exception_fp_ieee_overflow 0
		.amdhsa_exception_fp_ieee_underflow 0
		.amdhsa_exception_fp_ieee_inexact 0
		.amdhsa_exception_int_div_zero 0
	.end_amdhsa_kernel
	.section	.text._ZN2at6native12_GLOBAL__N_135GammaBetaBackwardCUDAKernelTemplateIffLj32ELj32ELj256ELb0ELb0ELb1EEEvllPKT_S5_PKT0_S8_PS3_S9_,"axG",@progbits,_ZN2at6native12_GLOBAL__N_135GammaBetaBackwardCUDAKernelTemplateIffLj32ELj32ELj256ELb0ELb0ELb1EEEvllPKT_S5_PKT0_S8_PS3_S9_,comdat
.Lfunc_end161:
	.size	_ZN2at6native12_GLOBAL__N_135GammaBetaBackwardCUDAKernelTemplateIffLj32ELj32ELj256ELb0ELb0ELb1EEEvllPKT_S5_PKT0_S8_PS3_S9_, .Lfunc_end161-_ZN2at6native12_GLOBAL__N_135GammaBetaBackwardCUDAKernelTemplateIffLj32ELj32ELj256ELb0ELb0ELb1EEEvllPKT_S5_PKT0_S8_PS3_S9_
                                        ; -- End function
	.set _ZN2at6native12_GLOBAL__N_135GammaBetaBackwardCUDAKernelTemplateIffLj32ELj32ELj256ELb0ELb0ELb1EEEvllPKT_S5_PKT0_S8_PS3_S9_.num_vgpr, 92
	.set _ZN2at6native12_GLOBAL__N_135GammaBetaBackwardCUDAKernelTemplateIffLj32ELj32ELj256ELb0ELb0ELb1EEEvllPKT_S5_PKT0_S8_PS3_S9_.num_agpr, 0
	.set _ZN2at6native12_GLOBAL__N_135GammaBetaBackwardCUDAKernelTemplateIffLj32ELj32ELj256ELb0ELb0ELb1EEEvllPKT_S5_PKT0_S8_PS3_S9_.numbered_sgpr, 32
	.set _ZN2at6native12_GLOBAL__N_135GammaBetaBackwardCUDAKernelTemplateIffLj32ELj32ELj256ELb0ELb0ELb1EEEvllPKT_S5_PKT0_S8_PS3_S9_.num_named_barrier, 0
	.set _ZN2at6native12_GLOBAL__N_135GammaBetaBackwardCUDAKernelTemplateIffLj32ELj32ELj256ELb0ELb0ELb1EEEvllPKT_S5_PKT0_S8_PS3_S9_.private_seg_size, 0
	.set _ZN2at6native12_GLOBAL__N_135GammaBetaBackwardCUDAKernelTemplateIffLj32ELj32ELj256ELb0ELb0ELb1EEEvllPKT_S5_PKT0_S8_PS3_S9_.uses_vcc, 1
	.set _ZN2at6native12_GLOBAL__N_135GammaBetaBackwardCUDAKernelTemplateIffLj32ELj32ELj256ELb0ELb0ELb1EEEvllPKT_S5_PKT0_S8_PS3_S9_.uses_flat_scratch, 0
	.set _ZN2at6native12_GLOBAL__N_135GammaBetaBackwardCUDAKernelTemplateIffLj32ELj32ELj256ELb0ELb0ELb1EEEvllPKT_S5_PKT0_S8_PS3_S9_.has_dyn_sized_stack, 0
	.set _ZN2at6native12_GLOBAL__N_135GammaBetaBackwardCUDAKernelTemplateIffLj32ELj32ELj256ELb0ELb0ELb1EEEvllPKT_S5_PKT0_S8_PS3_S9_.has_recursion, 0
	.set _ZN2at6native12_GLOBAL__N_135GammaBetaBackwardCUDAKernelTemplateIffLj32ELj32ELj256ELb0ELb0ELb1EEEvllPKT_S5_PKT0_S8_PS3_S9_.has_indirect_call, 0
	.section	.AMDGPU.csdata,"",@progbits
; Kernel info:
; codeLenInByte = 9000
; TotalNumSgprs: 34
; NumVgprs: 92
; ScratchSize: 0
; MemoryBound: 0
; FloatMode: 240
; IeeeMode: 1
; LDSByteSize: 0 bytes/workgroup (compile time only)
; SGPRBlocks: 0
; VGPRBlocks: 11
; NumSGPRsForWavesPerEU: 34
; NumVGPRsForWavesPerEU: 92
; Occupancy: 16
; WaveLimiterHint : 0
; COMPUTE_PGM_RSRC2:SCRATCH_EN: 0
; COMPUTE_PGM_RSRC2:USER_SGPR: 2
; COMPUTE_PGM_RSRC2:TRAP_HANDLER: 0
; COMPUTE_PGM_RSRC2:TGID_X_EN: 1
; COMPUTE_PGM_RSRC2:TGID_Y_EN: 1
; COMPUTE_PGM_RSRC2:TGID_Z_EN: 0
; COMPUTE_PGM_RSRC2:TIDIG_COMP_CNT: 1
	.section	.text._ZN2at6native12_GLOBAL__N_118cuComputeGradInputIN3c104HalfEfLb1EEEvPKT_S7_llPKT0_SA_S7_PS5_,"axG",@progbits,_ZN2at6native12_GLOBAL__N_118cuComputeGradInputIN3c104HalfEfLb1EEEvPKT_S7_llPKT0_SA_S7_PS5_,comdat
	.globl	_ZN2at6native12_GLOBAL__N_118cuComputeGradInputIN3c104HalfEfLb1EEEvPKT_S7_llPKT0_SA_S7_PS5_ ; -- Begin function _ZN2at6native12_GLOBAL__N_118cuComputeGradInputIN3c104HalfEfLb1EEEvPKT_S7_llPKT0_SA_S7_PS5_
	.p2align	8
	.type	_ZN2at6native12_GLOBAL__N_118cuComputeGradInputIN3c104HalfEfLb1EEEvPKT_S7_llPKT0_SA_S7_PS5_,@function
_ZN2at6native12_GLOBAL__N_118cuComputeGradInputIN3c104HalfEfLb1EEEvPKT_S7_llPKT0_SA_S7_PS5_: ; @_ZN2at6native12_GLOBAL__N_118cuComputeGradInputIN3c104HalfEfLb1EEEvPKT_S7_llPKT0_SA_S7_PS5_
; %bb.0:
	s_load_b128 s[8:11], s[0:1], 0x10
	s_mov_b32 s4, ttmp7
	s_ashr_i32 s5, ttmp7, 31
	s_wait_kmcnt 0x0
	v_cmp_le_i64_e64 s2, s[8:9], s[4:5]
	s_and_b32 vcc_lo, exec_lo, s2
	s_cbranch_vccnz .LBB162_47
; %bb.1:
	s_clause 0x2
	s_load_b32 s2, s[0:1], 0x4c
	s_load_b128 s[12:15], s[0:1], 0x30
	s_load_b32 s27, s[0:1], 0x44
	s_cls_i32 s3, s11
	v_bfe_u32 v10, v0, 10, 10
	v_cmp_gt_i64_e64 s34, s[10:11], 0
	v_mbcnt_lo_u32_b32 v12, -1, 0
	s_mov_b32 s26, ttmp7
	v_cndmask_b32_e64 v11, 0, 1, s34
	s_wait_kmcnt 0x0
	s_lshr_b32 s28, s2, 16
	s_and_b32 s29, s2, 0xffff
	s_cmp_lg_u64 s[12:13], 0
	s_mul_i32 s35, s28, s29
	s_cselect_b32 s30, -1, 0
	s_cmp_gt_u32 s29, 1
	s_cselect_b32 s31, -1, 0
	s_cmp_gt_u32 s28, 1
	s_cselect_b32 s33, -1, 0
	s_xor_b32 s2, s10, s11
	s_add_co_i32 s3, s3, -1
	s_ashr_i32 s2, s2, 31
	s_wait_alu 0xfffe
	s_ashr_i32 s36, s35, 31
	s_add_co_i32 s2, s2, 32
	s_delay_alu instid0(SALU_CYCLE_1) | instskip(NEXT) | instid1(SALU_CYCLE_1)
	s_min_u32 s6, s3, s2
	s_lshl_b64 s[2:3], s[10:11], s6
	s_delay_alu instid0(SALU_CYCLE_1) | instskip(NEXT) | instid1(SALU_CYCLE_1)
	s_min_u32 s2, s2, 1
	s_or_b32 s2, s3, s2
	s_sub_co_i32 s3, 32, s6
	s_cvt_f32_i32 s2, s2
	s_clause 0x1
	s_load_b128 s[16:19], s[0:1], 0x0
	s_load_b64 s[6:7], s[0:1], 0x28
	v_cmp_eq_u32_e64 s0, 0, v10
	v_cmp_ne_u32_e64 s1, 0, v10
	v_ldexp_f32 v8, s2, s3
	s_delay_alu instid0(VALU_DEP_1) | instskip(SKIP_1) | instid1(VALU_DEP_2)
	v_div_scale_f32 v1, null, v8, v8, 1.0
	v_div_scale_f32 v4, vcc_lo, 1.0, v8, 1.0
	v_rcp_f32_e32 v2, v1
	v_xor_b32_e32 v3, 0x80000000, v1
	s_delay_alu instid0(TRANS32_DEP_1) | instid1(VALU_DEP_1)
	v_fma_f32 v1, v3, v2, 1.0
	s_delay_alu instid0(VALU_DEP_1) | instskip(NEXT) | instid1(VALU_DEP_1)
	v_dual_fmac_f32 v2, v1, v2 :: v_dual_and_b32 v9, 0x3ff, v0
	v_mad_u32_u24 v0, v10, s29, v9
	v_dual_mov_b32 v1, 0 :: v_dual_lshlrev_b32 v6, 3, v9
	s_delay_alu instid0(VALU_DEP_3) | instskip(NEXT) | instid1(VALU_DEP_2)
	v_mul_f32_e32 v5, v4, v2
	v_cmp_gt_i64_e64 s2, s[10:11], v[0:1]
	s_delay_alu instid0(VALU_DEP_3) | instskip(NEXT) | instid1(VALU_DEP_3)
	v_add_nc_u32_e32 v15, 0, v6
	v_fma_f32 v7, v3, v5, v4
	s_delay_alu instid0(VALU_DEP_1) | instskip(SKIP_1) | instid1(VALU_DEP_2)
	v_fmac_f32_e32 v5, v7, v2
	v_lshlrev_b32_e32 v13, 3, v0
	v_dual_fmac_f32 v4, v3, v5 :: v_dual_add_nc_u32 v7, s35, v0
	s_delay_alu instid0(VALU_DEP_2) | instskip(NEXT) | instid1(VALU_DEP_2)
	v_add_nc_u32_e32 v13, 0, v13
	v_ashrrev_i32_e32 v3, 31, v7
	s_delay_alu instid0(VALU_DEP_3) | instskip(SKIP_2) | instid1(VALU_DEP_3)
	v_div_fmas_f32 v4, v4, v2, v5
	v_sub_co_u32 v2, vcc_lo, v7, s35
	s_wait_alu 0xfffd
	v_subrev_co_ci_u32_e64 v3, null, s36, v3, vcc_lo
	s_delay_alu instid0(VALU_DEP_3)
	v_div_fixup_f32 v14, v4, v8, 1.0
	s_branch .LBB162_4
.LBB162_2:                              ;   in Loop: Header=BB162_4 Depth=1
	s_or_b32 exec_lo, exec_lo, s24
.LBB162_3:                              ;   in Loop: Header=BB162_4 Depth=1
	s_add_co_i32 s4, s27, s26
	s_wait_storecnt 0x0
	s_wait_loadcnt_dscnt 0x0
	s_wait_alu 0xfffe
	s_ashr_i32 s5, s4, 31
	s_mov_b32 s26, s4
	s_wait_alu 0xfffe
	v_cmp_le_i64_e64 s3, s[8:9], s[4:5]
	s_barrier_signal -1
	s_barrier_wait -1
	global_inv scope:SCOPE_SE
	s_and_b32 vcc_lo, exec_lo, s3
	s_wait_alu 0xfffe
	s_cbranch_vccnz .LBB162_47
.LBB162_4:                              ; =>This Loop Header: Depth=1
                                        ;     Child Loop BB162_8 Depth 2
                                        ;     Child Loop BB162_19 Depth 2
	;; [unrolled: 1-line block ×6, first 2 shown]
	s_lshl_b64 s[20:21], s[4:5], 2
	s_mul_u64 s[4:5], s[4:5], s[10:11]
	s_wait_kmcnt 0x0
	s_wait_alu 0xfffe
	s_add_nc_u64 s[20:21], s[6:7], s[20:21]
	v_cmp_ne_u32_e64 s3, 1, v11
	s_load_b32 s37, s[20:21], 0x0
	s_lshl_b64 s[24:25], s[4:5], 1
	s_and_not1_b32 vcc_lo, exec_lo, s30
	s_add_nc_u64 s[20:21], s[18:19], s[24:25]
	s_add_nc_u64 s[22:23], s[16:17], s[24:25]
	s_mov_b32 s4, -1
                                        ; implicit-def: $vgpr16
	s_wait_alu 0xfffe
	s_cbranch_vccnz .LBB162_15
; %bb.5:                                ;   in Loop: Header=BB162_4 Depth=1
	v_mov_b32_e32 v16, 0
	s_and_b32 vcc_lo, exec_lo, s3
	s_wait_alu 0xfffe
	s_cbranch_vccnz .LBB162_14
; %bb.6:                                ;   in Loop: Header=BB162_4 Depth=1
	s_mov_b32 s4, 0
	s_branch .LBB162_8
.LBB162_7:                              ;   in Loop: Header=BB162_8 Depth=2
	s_wait_alu 0xfffe
	s_or_b32 exec_lo, exec_lo, s3
	s_delay_alu instid0(VALU_DEP_1)
	v_mul_f32_e32 v4, v6, v17
	s_add_co_i32 s4, s4, s35
	s_wait_alu 0xfffe
	s_ashr_i32 s5, s4, 31
	s_wait_alu 0xfffe
	v_cmp_le_i64_e64 s3, s[10:11], s[4:5]
	v_mul_f32_e32 v4, v7, v4
	s_wait_kmcnt 0x0
	s_delay_alu instid0(VALU_DEP_1)
	v_fmac_f32_e32 v16, s37, v4
	s_and_b32 vcc_lo, exec_lo, s3
	s_wait_alu 0xfffe
	s_cbranch_vccnz .LBB162_14
.LBB162_8:                              ;   Parent Loop BB162_4 Depth=1
                                        ; =>  This Inner Loop Header: Depth=2
	s_wait_alu 0xfffe
	v_add_nc_u32_e32 v4, s4, v0
	v_mov_b32_e32 v6, 0
	s_delay_alu instid0(VALU_DEP_2) | instskip(NEXT) | instid1(VALU_DEP_1)
	v_ashrrev_i32_e32 v5, 31, v4
	v_cmp_gt_i64_e32 vcc_lo, s[10:11], v[4:5]
	v_lshlrev_b64_e32 v[4:5], 1, v[4:5]
	s_and_saveexec_b32 s5, vcc_lo
	s_cbranch_execz .LBB162_10
; %bb.9:                                ;   in Loop: Header=BB162_8 Depth=2
	s_delay_alu instid0(VALU_DEP_1) | instskip(SKIP_1) | instid1(VALU_DEP_2)
	v_add_co_u32 v6, s3, s12, v4
	s_wait_alu 0xf1ff
	v_add_co_ci_u32_e64 v7, null, s13, v5, s3
	global_load_u16 v6, v[6:7], off
	s_wait_loadcnt 0x0
	v_cvt_f32_f16_e32 v6, v6
.LBB162_10:                             ;   in Loop: Header=BB162_8 Depth=2
	s_wait_alu 0xfffe
	s_or_b32 exec_lo, exec_lo, s5
	v_mov_b32_e32 v17, 0
	v_mov_b32_e32 v7, 0
	s_and_saveexec_b32 s5, vcc_lo
	s_cbranch_execz .LBB162_12
; %bb.11:                               ;   in Loop: Header=BB162_8 Depth=2
	v_add_co_u32 v18, s3, s20, v4
	s_wait_alu 0xf1ff
	v_add_co_ci_u32_e64 v19, null, s21, v5, s3
	global_load_u16 v7, v[18:19], off
	s_wait_loadcnt 0x0
	v_cvt_f32_f16_e32 v7, v7
.LBB162_12:                             ;   in Loop: Header=BB162_8 Depth=2
	s_wait_alu 0xfffe
	s_or_b32 exec_lo, exec_lo, s5
	s_and_saveexec_b32 s3, vcc_lo
	s_cbranch_execz .LBB162_7
; %bb.13:                               ;   in Loop: Header=BB162_8 Depth=2
	v_add_co_u32 v4, vcc_lo, s22, v4
	s_wait_alu 0xfffd
	v_add_co_ci_u32_e64 v5, null, s23, v5, vcc_lo
	global_load_u16 v4, v[4:5], off
	s_wait_loadcnt 0x0
	v_cvt_f32_f16_e32 v17, v4
	s_branch .LBB162_7
.LBB162_14:                             ;   in Loop: Header=BB162_4 Depth=1
	s_mov_b32 s4, 0
.LBB162_15:                             ;   in Loop: Header=BB162_4 Depth=1
	s_wait_alu 0xfffe
	s_and_not1_b32 vcc_lo, exec_lo, s4
	s_wait_alu 0xfffe
	s_cbranch_vccnz .LBB162_23
; %bb.16:                               ;   in Loop: Header=BB162_4 Depth=1
	v_mov_b32_e32 v16, 0
	s_and_not1_b32 vcc_lo, exec_lo, s34
	s_wait_alu 0xfffe
	s_cbranch_vccnz .LBB162_23
; %bb.17:                               ;   in Loop: Header=BB162_4 Depth=1
	s_mov_b32 s4, 0
	s_branch .LBB162_19
.LBB162_18:                             ;   in Loop: Header=BB162_19 Depth=2
	s_wait_alu 0xfffe
	s_or_b32 exec_lo, exec_lo, s3
	s_add_co_i32 s4, s4, s35
	v_mul_f32_e32 v4, v6, v7
	s_wait_alu 0xfffe
	s_ashr_i32 s5, s4, 31
	s_wait_alu 0xfffe
	v_cmp_le_i64_e64 s3, s[10:11], s[4:5]
	s_wait_kmcnt 0x0
	v_fmac_f32_e32 v16, s37, v4
	s_and_b32 vcc_lo, exec_lo, s3
	s_wait_alu 0xfffe
	s_cbranch_vccnz .LBB162_23
.LBB162_19:                             ;   Parent Loop BB162_4 Depth=1
                                        ; =>  This Inner Loop Header: Depth=2
	s_wait_alu 0xfffe
	v_add_nc_u32_e32 v4, s4, v0
	v_mov_b32_e32 v6, 0
	s_delay_alu instid0(VALU_DEP_2) | instskip(NEXT) | instid1(VALU_DEP_1)
	v_ashrrev_i32_e32 v5, 31, v4
	v_cmp_gt_i64_e32 vcc_lo, s[10:11], v[4:5]
	v_lshlrev_b64_e32 v[4:5], 1, v[4:5]
	s_and_saveexec_b32 s5, vcc_lo
	s_cbranch_execz .LBB162_21
; %bb.20:                               ;   in Loop: Header=BB162_19 Depth=2
	s_delay_alu instid0(VALU_DEP_1) | instskip(SKIP_1) | instid1(VALU_DEP_2)
	v_add_co_u32 v6, s3, s20, v4
	s_wait_alu 0xf1ff
	v_add_co_ci_u32_e64 v7, null, s21, v5, s3
	global_load_u16 v6, v[6:7], off
	s_wait_loadcnt 0x0
	v_cvt_f32_f16_e32 v6, v6
.LBB162_21:                             ;   in Loop: Header=BB162_19 Depth=2
	s_wait_alu 0xfffe
	s_or_b32 exec_lo, exec_lo, s5
	v_mov_b32_e32 v7, 0
	s_and_saveexec_b32 s3, vcc_lo
	s_cbranch_execz .LBB162_18
; %bb.22:                               ;   in Loop: Header=BB162_19 Depth=2
	v_add_co_u32 v4, vcc_lo, s22, v4
	s_wait_alu 0xfffd
	v_add_co_ci_u32_e64 v5, null, s23, v5, vcc_lo
	global_load_u16 v4, v[4:5], off
	s_wait_loadcnt 0x0
	v_cvt_f32_f16_e32 v7, v4
	s_branch .LBB162_18
.LBB162_23:                             ;   in Loop: Header=BB162_4 Depth=1
	s_and_not1_b32 vcc_lo, exec_lo, s31
	s_wait_alu 0xfffe
	s_cbranch_vccnz .LBB162_26
; %bb.24:                               ;   in Loop: Header=BB162_4 Depth=1
	s_mov_b32 s3, s29
.LBB162_25:                             ;   Parent Loop BB162_4 Depth=1
                                        ; =>  This Inner Loop Header: Depth=2
	s_wait_alu 0xfffe
	s_lshr_b32 s4, s3, 1
	s_cmp_lt_u32 s3, 4
	s_wait_alu 0xfffe
	v_xor_b32_e32 v4, s4, v12
	s_mov_b32 s3, s4
	s_delay_alu instid0(VALU_DEP_1) | instskip(SKIP_2) | instid1(VALU_DEP_1)
	v_cmp_gt_i32_e32 vcc_lo, 32, v4
	s_wait_alu 0xfffd
	v_cndmask_b32_e32 v4, v12, v4, vcc_lo
	v_lshlrev_b32_e32 v4, 2, v4
	ds_bpermute_b32 v4, v4, v16
	s_wait_dscnt 0x0
	v_add_f32_e32 v16, v16, v4
	s_cbranch_scc0 .LBB162_25
.LBB162_26:                             ;   in Loop: Header=BB162_4 Depth=1
	s_and_not1_b32 vcc_lo, exec_lo, s33
	s_mov_b32 s5, s28
	s_wait_alu 0xfffe
	s_cbranch_vccnz .LBB162_38
.LBB162_27:                             ;   Parent Loop BB162_4 Depth=1
                                        ; =>  This Inner Loop Header: Depth=2
	s_wait_alu 0xfffe
	s_lshr_b32 s38, s5, 1
	s_and_b32 s4, s5, 0xfffe
	s_wait_alu 0xfffe
	v_cmp_le_u32_e64 s3, s38, v10
	v_cmp_gt_u32_e64 s4, s4, v10
	v_cmp_gt_u32_e32 vcc_lo, s38, v10
	s_and_b32 s4, s3, s4
	s_wait_alu 0xfffe
	s_and_saveexec_b32 s3, s4
	s_cbranch_execz .LBB162_29
; %bb.28:                               ;   in Loop: Header=BB162_27 Depth=2
	v_subrev_nc_u32_e32 v4, s38, v10
	s_delay_alu instid0(VALU_DEP_1) | instskip(NEXT) | instid1(VALU_DEP_1)
	v_mad_u32_u24 v4, v4, s29, v9
	v_lshl_add_u32 v4, v4, 3, 0
	ds_store_b32 v4, v16 offset:4
.LBB162_29:                             ;   in Loop: Header=BB162_27 Depth=2
	s_wait_alu 0xfffe
	s_or_b32 exec_lo, exec_lo, s3
	s_wait_dscnt 0x0
	s_barrier_signal -1
	s_barrier_wait -1
	global_inv scope:SCOPE_SE
	s_and_saveexec_b32 s3, vcc_lo
	s_cbranch_execz .LBB162_31
; %bb.30:                               ;   in Loop: Header=BB162_27 Depth=2
	ds_load_b32 v4, v13 offset:4
	s_wait_dscnt 0x0
	v_add_f32_e32 v16, v16, v4
.LBB162_31:                             ;   in Loop: Header=BB162_27 Depth=2
	s_wait_alu 0xfffe
	s_or_b32 exec_lo, exec_lo, s3
	s_cmp_lt_u32 s5, 4
	s_wait_loadcnt 0x0
	s_barrier_signal -1
	s_barrier_wait -1
	global_inv scope:SCOPE_SE
	s_cbranch_scc1 .LBB162_33
; %bb.32:                               ;   in Loop: Header=BB162_27 Depth=2
	s_mov_b32 s5, s38
	s_branch .LBB162_27
.LBB162_33:                             ;   in Loop: Header=BB162_4 Depth=1
	s_and_saveexec_b32 s3, s0
; %bb.34:                               ;   in Loop: Header=BB162_4 Depth=1
	ds_store_b32 v15, v16 offset:4
; %bb.35:                               ;   in Loop: Header=BB162_4 Depth=1
	s_wait_alu 0xfffe
	s_or_b32 exec_lo, exec_lo, s3
	s_wait_loadcnt_dscnt 0x0
	s_barrier_signal -1
	s_barrier_wait -1
	global_inv scope:SCOPE_SE
	s_and_saveexec_b32 s3, s1
; %bb.36:                               ;   in Loop: Header=BB162_4 Depth=1
	ds_load_b32 v16, v15 offset:4
; %bb.37:                               ;   in Loop: Header=BB162_4 Depth=1
	s_wait_alu 0xfffe
	s_or_b32 exec_lo, exec_lo, s3
.LBB162_38:                             ;   in Loop: Header=BB162_4 Depth=1
	s_wait_kmcnt 0x0
	v_mul_f32_e32 v17, s37, v14
	s_and_not1_b32 vcc_lo, exec_lo, s30
	s_add_nc_u64 s[4:5], s[14:15], s[24:25]
	s_wait_alu 0xfffe
	s_cbranch_vccnz .LBB162_43
; %bb.39:                               ;   in Loop: Header=BB162_4 Depth=1
	s_and_saveexec_b32 s24, s2
	s_cbranch_execz .LBB162_42
; %bb.40:                               ;   in Loop: Header=BB162_4 Depth=1
	v_dual_mov_b32 v5, v3 :: v_dual_mov_b32 v4, v2
	v_dual_mov_b32 v7, v1 :: v_dual_mov_b32 v6, v0
	s_mov_b32 s25, 0
.LBB162_41:                             ;   Parent Loop BB162_4 Depth=1
                                        ; =>  This Inner Loop Header: Depth=2
	s_delay_alu instid0(VALU_DEP_1) | instskip(NEXT) | instid1(VALU_DEP_1)
	v_lshlrev_b64_e32 v[18:19], 1, v[6:7]
	v_add_co_u32 v6, vcc_lo, s20, v18
	s_wait_alu 0xfffd
	s_delay_alu instid0(VALU_DEP_2)
	v_add_co_ci_u32_e64 v7, null, s21, v19, vcc_lo
	v_add_co_u32 v20, vcc_lo, s22, v18
	s_wait_alu 0xfffd
	v_add_co_ci_u32_e64 v21, null, s23, v19, vcc_lo
	global_load_u16 v22, v[6:7], off
	global_load_u16 v20, v[20:21], off
	v_add_co_u32 v6, vcc_lo, s12, v18
	s_wait_alu 0xfffd
	v_add_co_ci_u32_e64 v7, null, s13, v19, vcc_lo
	v_add_co_u32 v4, vcc_lo, v4, s35
	s_wait_alu 0xfffd
	v_add_co_ci_u32_e64 v5, null, s36, v5, vcc_lo
	global_load_u16 v6, v[6:7], off
	v_add_co_u32 v18, s3, s4, v18
	v_cmp_le_i64_e32 vcc_lo, s[10:11], v[4:5]
	s_wait_alu 0xf1ff
	v_add_co_ci_u32_e64 v19, null, s5, v19, s3
	s_or_b32 s25, vcc_lo, s25
	s_wait_loadcnt 0x2
	v_cvt_f32_f16_e32 v7, v22
	s_wait_loadcnt 0x1
	v_cvt_f32_f16_e32 v20, v20
	s_delay_alu instid0(VALU_DEP_1) | instskip(SKIP_1) | instid1(VALU_DEP_1)
	v_dual_mul_f32 v7, s37, v7 :: v_dual_mul_f32 v20, v8, v20
	s_wait_dscnt 0x0
	v_mul_f32_e32 v21, v16, v7
	v_ashrrev_i32_e32 v7, 31, v4
	s_wait_loadcnt 0x0
	s_delay_alu instid0(VALU_DEP_2) | instskip(NEXT) | instid1(VALU_DEP_1)
	v_fma_mix_f32 v6, v20, v6, -v21 op_sel_hi:[0,1,0]
	v_fma_mixlo_f16 v20, v17, v6, 0
	v_mov_b32_e32 v6, v4
	global_store_b16 v[18:19], v20, off
	s_and_not1_b32 exec_lo, exec_lo, s25
	s_cbranch_execnz .LBB162_41
.LBB162_42:                             ;   in Loop: Header=BB162_4 Depth=1
	s_or_b32 exec_lo, exec_lo, s24
	s_cbranch_execnz .LBB162_3
	s_branch .LBB162_44
.LBB162_43:                             ;   in Loop: Header=BB162_4 Depth=1
.LBB162_44:                             ;   in Loop: Header=BB162_4 Depth=1
	s_and_saveexec_b32 s24, s2
	s_cbranch_execz .LBB162_2
; %bb.45:                               ;   in Loop: Header=BB162_4 Depth=1
	v_dual_mov_b32 v5, v3 :: v_dual_mov_b32 v4, v2
	v_dual_mov_b32 v7, v1 :: v_dual_mov_b32 v6, v0
	s_mov_b32 s25, 0
.LBB162_46:                             ;   Parent Loop BB162_4 Depth=1
                                        ; =>  This Inner Loop Header: Depth=2
	s_delay_alu instid0(VALU_DEP_1) | instskip(NEXT) | instid1(VALU_DEP_1)
	v_lshlrev_b64_e32 v[18:19], 1, v[6:7]
	v_add_co_u32 v6, vcc_lo, s20, v18
	s_wait_alu 0xfffd
	s_delay_alu instid0(VALU_DEP_2)
	v_add_co_ci_u32_e64 v7, null, s21, v19, vcc_lo
	global_load_u16 v20, v[6:7], off
	v_add_co_u32 v6, vcc_lo, s22, v18
	s_wait_alu 0xfffd
	v_add_co_ci_u32_e64 v7, null, s23, v19, vcc_lo
	v_add_co_u32 v4, vcc_lo, v4, s35
	s_wait_alu 0xfffd
	v_add_co_ci_u32_e64 v5, null, s36, v5, vcc_lo
	global_load_u16 v6, v[6:7], off
	v_add_co_u32 v18, s3, s4, v18
	v_cmp_le_i64_e32 vcc_lo, s[10:11], v[4:5]
	s_wait_alu 0xf1ff
	v_add_co_ci_u32_e64 v19, null, s5, v19, s3
	s_or_b32 s25, vcc_lo, s25
	s_wait_loadcnt 0x1
	v_cvt_f32_f16_e32 v7, v20
	s_delay_alu instid0(VALU_DEP_1) | instskip(SKIP_1) | instid1(VALU_DEP_1)
	v_mul_f32_e32 v7, s37, v7
	s_wait_dscnt 0x0
	v_mul_f32_e32 v20, v16, v7
	v_ashrrev_i32_e32 v7, 31, v4
	s_wait_loadcnt 0x0
	s_delay_alu instid0(VALU_DEP_2) | instskip(NEXT) | instid1(VALU_DEP_1)
	v_fma_mix_f32 v6, v8, v6, -v20 op_sel_hi:[0,1,0]
	v_fma_mixlo_f16 v20, v17, v6, 0
	v_mov_b32_e32 v6, v4
	global_store_b16 v[18:19], v20, off
	s_and_not1_b32 exec_lo, exec_lo, s25
	s_cbranch_execnz .LBB162_46
	s_branch .LBB162_2
.LBB162_47:
	s_endpgm
	.section	.rodata,"a",@progbits
	.p2align	6, 0x0
	.amdhsa_kernel _ZN2at6native12_GLOBAL__N_118cuComputeGradInputIN3c104HalfEfLb1EEEvPKT_S7_llPKT0_SA_S7_PS5_
		.amdhsa_group_segment_fixed_size 0
		.amdhsa_private_segment_fixed_size 0
		.amdhsa_kernarg_size 320
		.amdhsa_user_sgpr_count 2
		.amdhsa_user_sgpr_dispatch_ptr 0
		.amdhsa_user_sgpr_queue_ptr 0
		.amdhsa_user_sgpr_kernarg_segment_ptr 1
		.amdhsa_user_sgpr_dispatch_id 0
		.amdhsa_user_sgpr_private_segment_size 0
		.amdhsa_wavefront_size32 1
		.amdhsa_uses_dynamic_stack 0
		.amdhsa_enable_private_segment 0
		.amdhsa_system_sgpr_workgroup_id_x 1
		.amdhsa_system_sgpr_workgroup_id_y 1
		.amdhsa_system_sgpr_workgroup_id_z 0
		.amdhsa_system_sgpr_workgroup_info 0
		.amdhsa_system_vgpr_workitem_id 1
		.amdhsa_next_free_vgpr 23
		.amdhsa_next_free_sgpr 39
		.amdhsa_reserve_vcc 1
		.amdhsa_float_round_mode_32 0
		.amdhsa_float_round_mode_16_64 0
		.amdhsa_float_denorm_mode_32 3
		.amdhsa_float_denorm_mode_16_64 3
		.amdhsa_fp16_overflow 0
		.amdhsa_workgroup_processor_mode 1
		.amdhsa_memory_ordered 1
		.amdhsa_forward_progress 1
		.amdhsa_inst_pref_size 16
		.amdhsa_round_robin_scheduling 0
		.amdhsa_exception_fp_ieee_invalid_op 0
		.amdhsa_exception_fp_denorm_src 0
		.amdhsa_exception_fp_ieee_div_zero 0
		.amdhsa_exception_fp_ieee_overflow 0
		.amdhsa_exception_fp_ieee_underflow 0
		.amdhsa_exception_fp_ieee_inexact 0
		.amdhsa_exception_int_div_zero 0
	.end_amdhsa_kernel
	.section	.text._ZN2at6native12_GLOBAL__N_118cuComputeGradInputIN3c104HalfEfLb1EEEvPKT_S7_llPKT0_SA_S7_PS5_,"axG",@progbits,_ZN2at6native12_GLOBAL__N_118cuComputeGradInputIN3c104HalfEfLb1EEEvPKT_S7_llPKT0_SA_S7_PS5_,comdat
.Lfunc_end162:
	.size	_ZN2at6native12_GLOBAL__N_118cuComputeGradInputIN3c104HalfEfLb1EEEvPKT_S7_llPKT0_SA_S7_PS5_, .Lfunc_end162-_ZN2at6native12_GLOBAL__N_118cuComputeGradInputIN3c104HalfEfLb1EEEvPKT_S7_llPKT0_SA_S7_PS5_
                                        ; -- End function
	.set _ZN2at6native12_GLOBAL__N_118cuComputeGradInputIN3c104HalfEfLb1EEEvPKT_S7_llPKT0_SA_S7_PS5_.num_vgpr, 23
	.set _ZN2at6native12_GLOBAL__N_118cuComputeGradInputIN3c104HalfEfLb1EEEvPKT_S7_llPKT0_SA_S7_PS5_.num_agpr, 0
	.set _ZN2at6native12_GLOBAL__N_118cuComputeGradInputIN3c104HalfEfLb1EEEvPKT_S7_llPKT0_SA_S7_PS5_.numbered_sgpr, 39
	.set _ZN2at6native12_GLOBAL__N_118cuComputeGradInputIN3c104HalfEfLb1EEEvPKT_S7_llPKT0_SA_S7_PS5_.num_named_barrier, 0
	.set _ZN2at6native12_GLOBAL__N_118cuComputeGradInputIN3c104HalfEfLb1EEEvPKT_S7_llPKT0_SA_S7_PS5_.private_seg_size, 0
	.set _ZN2at6native12_GLOBAL__N_118cuComputeGradInputIN3c104HalfEfLb1EEEvPKT_S7_llPKT0_SA_S7_PS5_.uses_vcc, 1
	.set _ZN2at6native12_GLOBAL__N_118cuComputeGradInputIN3c104HalfEfLb1EEEvPKT_S7_llPKT0_SA_S7_PS5_.uses_flat_scratch, 0
	.set _ZN2at6native12_GLOBAL__N_118cuComputeGradInputIN3c104HalfEfLb1EEEvPKT_S7_llPKT0_SA_S7_PS5_.has_dyn_sized_stack, 0
	.set _ZN2at6native12_GLOBAL__N_118cuComputeGradInputIN3c104HalfEfLb1EEEvPKT_S7_llPKT0_SA_S7_PS5_.has_recursion, 0
	.set _ZN2at6native12_GLOBAL__N_118cuComputeGradInputIN3c104HalfEfLb1EEEvPKT_S7_llPKT0_SA_S7_PS5_.has_indirect_call, 0
	.section	.AMDGPU.csdata,"",@progbits
; Kernel info:
; codeLenInByte = 2008
; TotalNumSgprs: 41
; NumVgprs: 23
; ScratchSize: 0
; MemoryBound: 0
; FloatMode: 240
; IeeeMode: 1
; LDSByteSize: 0 bytes/workgroup (compile time only)
; SGPRBlocks: 0
; VGPRBlocks: 2
; NumSGPRsForWavesPerEU: 41
; NumVGPRsForWavesPerEU: 23
; Occupancy: 16
; WaveLimiterHint : 0
; COMPUTE_PGM_RSRC2:SCRATCH_EN: 0
; COMPUTE_PGM_RSRC2:USER_SGPR: 2
; COMPUTE_PGM_RSRC2:TRAP_HANDLER: 0
; COMPUTE_PGM_RSRC2:TGID_X_EN: 1
; COMPUTE_PGM_RSRC2:TGID_Y_EN: 1
; COMPUTE_PGM_RSRC2:TGID_Z_EN: 0
; COMPUTE_PGM_RSRC2:TIDIG_COMP_CNT: 1
	.section	.text._ZN2at6native12_GLOBAL__N_128layer_norm_grad_input_kernelIN3c104HalfEfLb1EEEvPKT_S7_PKT0_SA_S7_PS5_i,"axG",@progbits,_ZN2at6native12_GLOBAL__N_128layer_norm_grad_input_kernelIN3c104HalfEfLb1EEEvPKT_S7_PKT0_SA_S7_PS5_i,comdat
	.globl	_ZN2at6native12_GLOBAL__N_128layer_norm_grad_input_kernelIN3c104HalfEfLb1EEEvPKT_S7_PKT0_SA_S7_PS5_i ; -- Begin function _ZN2at6native12_GLOBAL__N_128layer_norm_grad_input_kernelIN3c104HalfEfLb1EEEvPKT_S7_PKT0_SA_S7_PS5_i
	.p2align	8
	.type	_ZN2at6native12_GLOBAL__N_128layer_norm_grad_input_kernelIN3c104HalfEfLb1EEEvPKT_S7_PKT0_SA_S7_PS5_i,@function
_ZN2at6native12_GLOBAL__N_128layer_norm_grad_input_kernelIN3c104HalfEfLb1EEEvPKT_S7_PKT0_SA_S7_PS5_i: ; @_ZN2at6native12_GLOBAL__N_128layer_norm_grad_input_kernelIN3c104HalfEfLb1EEEvPKT_S7_PKT0_SA_S7_PS5_i
; %bb.0:
	s_clause 0x1
	s_load_b128 s[4:7], s[0:1], 0x18
	s_load_b32 s12, s[0:1], 0x30
	s_mov_b32 s2, ttmp9
	s_mov_b32 s3, 0
	s_load_b128 s[8:11], s[0:1], 0x0
	s_lshl_b64 s[14:15], s[2:3], 2
	v_lshlrev_b32_e32 v1, 2, v0
	v_mov_b32_e32 v9, 0
	s_delay_alu instid0(VALU_DEP_2)
	v_or_b32_e32 v2, 3, v1
	s_wait_kmcnt 0x0
	s_add_nc_u64 s[4:5], s[4:5], s[14:15]
	s_ashr_i32 s13, s12, 31
	s_load_b32 s18, s[4:5], 0x0
	s_mul_u64 s[4:5], s[12:13], s[2:3]
	s_mov_b32 s2, exec_lo
	s_lshl_b64 s[16:17], s[4:5], 1
	s_delay_alu instid0(SALU_CYCLE_1)
	s_add_nc_u64 s[4:5], s[10:11], s[16:17]
	s_add_nc_u64 s[14:15], s[8:9], s[16:17]
	v_cmpx_gt_u32_e64 s12, v2
	s_cbranch_execz .LBB163_12
; %bb.1:
	s_load_b32 s19, s[0:1], 0x44
	s_cmp_lg_u64 s[6:7], 0
	v_dual_mov_b32 v2, 0 :: v_dual_mov_b32 v9, 0
	s_cselect_b32 s13, -1, 0
	s_wait_kmcnt 0x0
	s_and_b32 s19, s19, 0xffff
	s_delay_alu instid0(SALU_CYCLE_1)
	s_lshl_b32 s19, s19, 2
	s_branch .LBB163_3
.LBB163_2:                              ;   in Loop: Header=BB163_3 Depth=1
	global_load_u16 v5, v[5:6], off offset:6
	global_load_u16 v3, v[3:4], off offset:6
	s_wait_loadcnt 0x6
	v_cvt_f32_f16_e32 v4, v13
	v_cvt_f32_f16_e32 v6, v12
	s_wait_loadcnt 0x4
	v_cvt_f32_f16_e32 v7, v16
	s_wait_loadcnt 0x2
	v_cvt_f32_f16_e32 v8, v19
	v_dual_mul_f32 v4, v11, v4 :: v_dual_add_nc_u32 v1, s19, v1
	s_delay_alu instid0(VALU_DEP_1) | instskip(SKIP_1) | instid1(VALU_DEP_1)
	v_dual_mul_f32 v7, v10, v7 :: v_dual_mul_f32 v4, v4, v6
	v_cvt_f32_f16_e32 v6, v15
	v_dual_fmac_f32 v9, s18, v4 :: v_dual_mul_f32 v4, v7, v6
	v_cvt_f32_f16_e32 v6, v18
	v_mul_f32_e32 v7, v17, v8
	s_delay_alu instid0(VALU_DEP_1) | instskip(NEXT) | instid1(VALU_DEP_1)
	v_dual_fmac_f32 v9, s18, v4 :: v_dual_mul_f32 v4, v7, v6
	v_dual_fmac_f32 v9, s18, v4 :: v_dual_add_nc_u32 v6, 3, v1
	s_delay_alu instid0(VALU_DEP_1)
	v_cmp_le_u32_e32 vcc_lo, s12, v6
	s_or_b32 s3, vcc_lo, s3
	s_wait_loadcnt 0x1
	v_cvt_f32_f16_e32 v5, v5
	s_wait_loadcnt 0x0
	v_cvt_f32_f16_e32 v3, v3
	s_delay_alu instid0(VALU_DEP_2) | instskip(NEXT) | instid1(VALU_DEP_1)
	v_mul_f32_e32 v5, v14, v5
	v_mul_f32_e32 v3, v5, v3
	s_delay_alu instid0(VALU_DEP_1)
	v_fmac_f32_e32 v9, s18, v3
	s_and_not1_b32 exec_lo, exec_lo, s3
	s_cbranch_execz .LBB163_11
.LBB163_3:                              ; =>This Inner Loop Header: Depth=1
	v_lshlrev_b64_e32 v[7:8], 1, v[1:2]
	v_dual_mov_b32 v10, 1.0 :: v_dual_mov_b32 v11, 1.0
	s_wait_alu 0xfffe
	s_and_b32 vcc_lo, exec_lo, s13
	s_wait_alu 0xfffe
	s_cbranch_vccz .LBB163_5
; %bb.4:                                ;   in Loop: Header=BB163_3 Depth=1
	v_add_co_u32 v3, vcc_lo, s6, v7
	s_wait_alu 0xfffd
	v_add_co_ci_u32_e64 v4, null, s7, v8, vcc_lo
	global_load_u16 v3, v[3:4], off
	s_wait_loadcnt 0x0
	v_cvt_f32_f16_e32 v11, v3
.LBB163_5:                              ;   in Loop: Header=BB163_3 Depth=1
	v_add_co_u32 v3, vcc_lo, s4, v7
	s_wait_alu 0xfffd
	v_add_co_ci_u32_e64 v4, null, s5, v8, vcc_lo
	v_add_co_u32 v5, vcc_lo, s14, v7
	s_wait_alu 0xfffd
	v_add_co_ci_u32_e64 v6, null, s15, v8, vcc_lo
	global_load_u16 v12, v[3:4], off
	global_load_u16 v13, v[5:6], off
	s_and_not1_b32 vcc_lo, exec_lo, s13
	s_wait_alu 0xfffe
	s_cbranch_vccnz .LBB163_7
; %bb.6:                                ;   in Loop: Header=BB163_3 Depth=1
	v_add_co_u32 v14, vcc_lo, s6, v7
	s_wait_alu 0xfffd
	v_add_co_ci_u32_e64 v15, null, s7, v8, vcc_lo
	global_load_u16 v10, v[14:15], off offset:2
	s_wait_loadcnt 0x0
	v_cvt_f32_f16_e32 v10, v10
.LBB163_7:                              ;   in Loop: Header=BB163_3 Depth=1
	global_load_u16 v15, v[3:4], off offset:2
	global_load_u16 v16, v[5:6], off offset:2
	v_dual_mov_b32 v14, 1.0 :: v_dual_mov_b32 v17, 1.0
	s_and_not1_b32 vcc_lo, exec_lo, s13
	s_wait_alu 0xfffe
	s_cbranch_vccnz .LBB163_9
; %bb.8:                                ;   in Loop: Header=BB163_3 Depth=1
	v_add_co_u32 v17, vcc_lo, s6, v7
	s_wait_alu 0xfffd
	v_add_co_ci_u32_e64 v18, null, s7, v8, vcc_lo
	global_load_u16 v17, v[17:18], off offset:4
	s_wait_loadcnt 0x0
	v_cvt_f32_f16_e32 v17, v17
.LBB163_9:                              ;   in Loop: Header=BB163_3 Depth=1
	global_load_u16 v18, v[3:4], off offset:4
	global_load_u16 v19, v[5:6], off offset:4
	s_and_not1_b32 vcc_lo, exec_lo, s13
	s_wait_alu 0xfffe
	s_cbranch_vccnz .LBB163_2
; %bb.10:                               ;   in Loop: Header=BB163_3 Depth=1
	v_add_co_u32 v7, vcc_lo, s6, v7
	s_wait_alu 0xfffd
	v_add_co_ci_u32_e64 v8, null, s7, v8, vcc_lo
	global_load_u16 v7, v[7:8], off offset:6
	s_wait_loadcnt 0x0
	v_cvt_f32_f16_e32 v14, v7
	s_branch .LBB163_2
.LBB163_11:
	s_or_b32 exec_lo, exec_lo, s3
.LBB163_12:
	s_delay_alu instid0(SALU_CYCLE_1) | instskip(NEXT) | instid1(SALU_CYCLE_1)
	s_or_b32 exec_lo, exec_lo, s2
	s_mov_b32 s3, exec_lo
	v_cmpx_gt_u32_e64 s12, v1
	s_cbranch_execz .LBB163_19
; %bb.13:
	v_mov_b32_e32 v2, 0
	s_cmp_lg_u64 s[6:7], 0
	s_delay_alu instid0(VALU_DEP_1) | instskip(NEXT) | instid1(VALU_DEP_1)
	v_lshlrev_b64_e32 v[2:3], 1, v[1:2]
	v_add_co_u32 v6, vcc_lo, s16, v2
	s_wait_alu 0xfffd
	s_delay_alu instid0(VALU_DEP_2)
	v_add_co_ci_u32_e64 v7, null, s17, v3, vcc_lo
	v_add_co_u32 v2, vcc_lo, s6, v2
	s_wait_alu 0xfffd
	v_add_co_ci_u32_e64 v3, null, s7, v3, vcc_lo
	v_add_co_u32 v4, vcc_lo, s10, v6
	s_wait_alu 0xfffd
	;; [unrolled: 3-line block ×3, first 2 shown]
	v_add_co_ci_u32_e64 v7, null, s9, v7, vcc_lo
	s_cselect_b32 s8, -1, 0
	s_mov_b32 s9, 0
	s_branch .LBB163_16
.LBB163_14:                             ;   in Loop: Header=BB163_16 Depth=1
	global_load_u16 v8, v[2:3], off
	s_wait_loadcnt 0x0
	v_cvt_f32_f16_e32 v8, v8
.LBB163_15:                             ;   in Loop: Header=BB163_16 Depth=1
	global_load_u16 v10, v[6:7], off
	global_load_u16 v11, v[4:5], off
	v_add_co_u32 v2, vcc_lo, v2, 2
	s_wait_alu 0xfffd
	v_add_co_ci_u32_e64 v3, null, 0, v3, vcc_lo
	v_add_co_u32 v4, vcc_lo, v4, 2
	s_wait_alu 0xfffd
	v_add_co_ci_u32_e64 v5, null, 0, v5, vcc_lo
	v_add_co_u32 v6, s2, v6, 2
	s_wait_alu 0xf1ff
	v_add_co_ci_u32_e64 v7, null, 0, v7, s2
	s_wait_loadcnt 0x1
	v_cvt_f32_f16_e32 v10, v10
	v_add_nc_u32_e32 v1, 1, v1
	s_wait_loadcnt 0x0
	v_cvt_f32_f16_e32 v11, v11
	s_delay_alu instid0(VALU_DEP_3) | instskip(NEXT) | instid1(VALU_DEP_3)
	v_mul_f32_e32 v8, v8, v10
	v_cmp_le_u32_e32 vcc_lo, s12, v1
	s_delay_alu instid0(VALU_DEP_2) | instskip(SKIP_2) | instid1(VALU_DEP_1)
	v_mul_f32_e32 v8, v8, v11
	s_or_b32 s9, vcc_lo, s9
	s_wait_kmcnt 0x0
	v_fmac_f32_e32 v9, s18, v8
	s_wait_alu 0xfffe
	s_and_not1_b32 exec_lo, exec_lo, s9
	s_cbranch_execz .LBB163_18
.LBB163_16:                             ; =>This Inner Loop Header: Depth=1
	s_wait_alu 0xfffe
	s_and_not1_b32 vcc_lo, exec_lo, s8
	s_wait_alu 0xfffe
	s_cbranch_vccz .LBB163_14
; %bb.17:                               ;   in Loop: Header=BB163_16 Depth=1
	v_mov_b32_e32 v8, 1.0
	s_branch .LBB163_15
.LBB163_18:
	s_or_b32 exec_lo, exec_lo, s9
.LBB163_19:
	s_delay_alu instid0(SALU_CYCLE_1) | instskip(SKIP_4) | instid1(VALU_DEP_1)
	s_or_b32 exec_lo, exec_lo, s3
	v_mbcnt_lo_u32_b32 v5, -1, 0
	s_mov_b32 s2, exec_lo
	s_barrier_signal -1
	s_barrier_wait -1
	v_lshl_or_b32 v1, v5, 2, 64
	v_cmp_gt_u32_e32 vcc_lo, 24, v5
	global_inv scope:SCOPE_SE
	ds_bpermute_b32 v3, v1, v9
	s_wait_alu 0xfffd
	v_cndmask_b32_e64 v2, 0, 8, vcc_lo
	v_cmp_gt_u32_e32 vcc_lo, 28, v5
	s_delay_alu instid0(VALU_DEP_2)
	v_add_lshl_u32 v2, v2, v5, 2
	s_wait_dscnt 0x0
	v_add_f32_e32 v4, v9, v3
	s_wait_alu 0xfffd
	v_cndmask_b32_e64 v3, 0, 4, vcc_lo
	v_cmp_gt_u32_e32 vcc_lo, 30, v5
	ds_bpermute_b32 v6, v2, v4
	v_add_lshl_u32 v3, v3, v5, 2
	s_wait_dscnt 0x0
	v_add_f32_e32 v6, v4, v6
	s_wait_alu 0xfffd
	v_cndmask_b32_e64 v4, 0, 2, vcc_lo
	v_cmp_ne_u32_e32 vcc_lo, 31, v5
	ds_bpermute_b32 v7, v3, v6
	v_add_lshl_u32 v4, v4, v5, 2
	s_wait_alu 0xfffd
	v_add_co_ci_u32_e64 v5, null, 0, v5, vcc_lo
	s_wait_dscnt 0x0
	s_delay_alu instid0(VALU_DEP_1)
	v_dual_add_f32 v6, v6, v7 :: v_dual_lshlrev_b32 v5, 2, v5
	ds_bpermute_b32 v7, v4, v6
	s_wait_dscnt 0x0
	v_dual_add_f32 v7, v6, v7 :: v_dual_and_b32 v6, 31, v0
	ds_bpermute_b32 v8, v5, v7
	v_cmpx_eq_u32_e32 0, v6
	s_cbranch_execz .LBB163_21
; %bb.20:
	v_lshrrev_b32_e32 v9, 3, v0
	s_wait_dscnt 0x0
	v_add_f32_e32 v7, v7, v8
	s_delay_alu instid0(VALU_DEP_2)
	v_add_nc_u32_e32 v9, 0, v9
	ds_store_b32 v9, v7
.LBB163_21:
	s_wait_alu 0xfffe
	s_or_b32 exec_lo, exec_lo, s2
	s_wait_loadcnt_dscnt 0x0
	s_barrier_signal -1
	s_barrier_wait -1
	global_inv scope:SCOPE_SE
	s_load_b32 s2, s[0:1], 0x44
	v_mov_b32_e32 v7, 0
	s_wait_kmcnt 0x0
	s_bfe_u32 s3, s2, 0xb0005
	s_wait_alu 0xfffe
	v_cmp_gt_u32_e32 vcc_lo, s3, v0
	s_and_saveexec_b32 s3, vcc_lo
; %bb.22:
	v_lshl_add_u32 v6, v6, 2, 0
	ds_load_b32 v7, v6
; %bb.23:
	s_wait_alu 0xfffe
	s_or_b32 exec_lo, exec_lo, s3
	s_delay_alu instid0(SALU_CYCLE_1)
	s_mov_b32 s3, exec_lo
	v_cmpx_gt_u32_e32 32, v0
	s_cbranch_execz .LBB163_25
; %bb.24:
	s_wait_dscnt 0x0
	ds_bpermute_b32 v1, v1, v7
	s_wait_dscnt 0x0
	v_add_f32_e32 v1, v7, v1
	ds_bpermute_b32 v2, v2, v1
	s_wait_dscnt 0x0
	v_add_f32_e32 v1, v1, v2
	;; [unrolled: 3-line block ×5, first 2 shown]
.LBB163_25:
	s_wait_alu 0xfffe
	s_or_b32 exec_lo, exec_lo, s3
	s_delay_alu instid0(SALU_CYCLE_1)
	s_mov_b32 s3, exec_lo
	v_cmpx_eq_u32_e32 0, v0
	s_cbranch_execz .LBB163_27
; %bb.26:
	v_mov_b32_e32 v1, 0
	s_wait_dscnt 0x0
	ds_store_b32 v1, v7 offset:4
.LBB163_27:
	s_wait_alu 0xfffe
	s_or_b32 exec_lo, exec_lo, s3
	s_wait_loadcnt_dscnt 0x0
	s_barrier_signal -1
	s_barrier_wait -1
	global_inv scope:SCOPE_SE
	s_mov_b32 s3, exec_lo
	v_cmpx_gt_i32_e64 s12, v0
	s_cbranch_execz .LBB163_33
; %bb.28:
	s_cvt_f32_i32 s8, s12
	s_load_b64 s[20:21], s[0:1], 0x28
	s_and_b32 s1, 0xffff, s2
	s_cmp_lg_u64 s[6:7], 0
	v_div_scale_f32 v1, null, s8, s8, 1.0
	v_div_scale_f32 v4, vcc_lo, 1.0, s8, 1.0
	s_cselect_b32 s9, -1, 0
	v_rcp_f32_e32 v2, v1
	v_xor_b32_e32 v1, 0x80000000, v1
	s_mov_b32 s10, 0
	s_delay_alu instid0(TRANS32_DEP_1) | instid1(VALU_DEP_1)
	v_fma_f32 v3, v1, v2, 1.0
	s_wait_kmcnt 0x0
	s_add_nc_u64 s[2:3], s[20:21], s[16:17]
	s_delay_alu instid0(VALU_DEP_1) | instskip(NEXT) | instid1(VALU_DEP_1)
	v_fmac_f32_e32 v2, v3, v2
	v_mul_f32_e32 v5, v4, v2
	s_delay_alu instid0(VALU_DEP_1) | instskip(NEXT) | instid1(VALU_DEP_1)
	v_fma_f32 v3, v1, v5, v4
	v_fmac_f32_e32 v5, v3, v2
	s_delay_alu instid0(VALU_DEP_1) | instskip(SKIP_3) | instid1(VALU_DEP_1)
	v_dual_mov_b32 v3, 0 :: v_dual_fmac_f32 v4, v1, v5
	ds_load_b32 v3, v3 offset:4
	s_wait_alu 0xfffd
	v_div_fmas_f32 v1, v4, v2, v5
	v_div_fixup_f32 v1, v1, s8, 1.0
	s_delay_alu instid0(VALU_DEP_1)
	v_mul_f32_e32 v4, s18, v1
	s_branch .LBB163_31
.LBB163_29:                             ;   in Loop: Header=BB163_31 Depth=1
	v_add_co_u32 v7, vcc_lo, s6, v1
	s_wait_alu 0xfffd
	v_add_co_ci_u32_e64 v8, null, s7, v2, vcc_lo
	global_load_u16 v7, v[7:8], off
	s_wait_loadcnt 0x0
	v_cvt_f32_f16_e32 v7, v7
.LBB163_30:                             ;   in Loop: Header=BB163_31 Depth=1
	s_wait_loadcnt 0x1
	v_cvt_f32_f16_e32 v6, v6
	v_add_nc_u32_e32 v0, s1, v0
	v_add_co_u32 v1, s0, s2, v1
	s_wait_alu 0xf1ff
	v_add_co_ci_u32_e64 v2, null, s3, v2, s0
	v_dual_mul_f32 v6, s18, v6 :: v_dual_mul_f32 v7, s8, v7
	v_cmp_le_i32_e32 vcc_lo, s12, v0
	s_wait_dscnt 0x0
	s_delay_alu instid0(VALU_DEP_2) | instskip(SKIP_2) | instid1(VALU_DEP_1)
	v_mul_f32_e32 v6, v3, v6
	s_or_b32 s10, vcc_lo, s10
	s_wait_loadcnt 0x0
	v_fma_mix_f32 v5, v7, v5, -v6 op_sel_hi:[0,1,0]
	s_delay_alu instid0(VALU_DEP_1)
	v_fma_mixlo_f16 v5, v4, v5, 0
	global_store_b16 v[1:2], v5, off
	s_wait_alu 0xfffe
	s_and_not1_b32 exec_lo, exec_lo, s10
	s_cbranch_execz .LBB163_33
.LBB163_31:                             ; =>This Inner Loop Header: Depth=1
	v_ashrrev_i32_e32 v1, 31, v0
	s_delay_alu instid0(VALU_DEP_1) | instskip(NEXT) | instid1(VALU_DEP_1)
	v_lshlrev_b64_e32 v[1:2], 1, v[0:1]
	v_add_co_u32 v5, vcc_lo, s4, v1
	s_wait_alu 0xfffd
	s_delay_alu instid0(VALU_DEP_2)
	v_add_co_ci_u32_e64 v6, null, s5, v2, vcc_lo
	v_add_co_u32 v7, vcc_lo, s14, v1
	s_wait_alu 0xfffd
	v_add_co_ci_u32_e64 v8, null, s15, v2, vcc_lo
	global_load_u16 v6, v[5:6], off
	global_load_u16 v5, v[7:8], off
	s_wait_alu 0xfffe
	s_and_not1_b32 vcc_lo, exec_lo, s9
	s_wait_alu 0xfffe
	s_cbranch_vccz .LBB163_29
; %bb.32:                               ;   in Loop: Header=BB163_31 Depth=1
	v_mov_b32_e32 v7, 1.0
	s_branch .LBB163_30
.LBB163_33:
	s_endpgm
	.section	.rodata,"a",@progbits
	.p2align	6, 0x0
	.amdhsa_kernel _ZN2at6native12_GLOBAL__N_128layer_norm_grad_input_kernelIN3c104HalfEfLb1EEEvPKT_S7_PKT0_SA_S7_PS5_i
		.amdhsa_group_segment_fixed_size 0
		.amdhsa_private_segment_fixed_size 0
		.amdhsa_kernarg_size 312
		.amdhsa_user_sgpr_count 2
		.amdhsa_user_sgpr_dispatch_ptr 0
		.amdhsa_user_sgpr_queue_ptr 0
		.amdhsa_user_sgpr_kernarg_segment_ptr 1
		.amdhsa_user_sgpr_dispatch_id 0
		.amdhsa_user_sgpr_private_segment_size 0
		.amdhsa_wavefront_size32 1
		.amdhsa_uses_dynamic_stack 0
		.amdhsa_enable_private_segment 0
		.amdhsa_system_sgpr_workgroup_id_x 1
		.amdhsa_system_sgpr_workgroup_id_y 0
		.amdhsa_system_sgpr_workgroup_id_z 0
		.amdhsa_system_sgpr_workgroup_info 0
		.amdhsa_system_vgpr_workitem_id 0
		.amdhsa_next_free_vgpr 20
		.amdhsa_next_free_sgpr 22
		.amdhsa_reserve_vcc 1
		.amdhsa_float_round_mode_32 0
		.amdhsa_float_round_mode_16_64 0
		.amdhsa_float_denorm_mode_32 3
		.amdhsa_float_denorm_mode_16_64 3
		.amdhsa_fp16_overflow 0
		.amdhsa_workgroup_processor_mode 1
		.amdhsa_memory_ordered 1
		.amdhsa_forward_progress 1
		.amdhsa_inst_pref_size 16
		.amdhsa_round_robin_scheduling 0
		.amdhsa_exception_fp_ieee_invalid_op 0
		.amdhsa_exception_fp_denorm_src 0
		.amdhsa_exception_fp_ieee_div_zero 0
		.amdhsa_exception_fp_ieee_overflow 0
		.amdhsa_exception_fp_ieee_underflow 0
		.amdhsa_exception_fp_ieee_inexact 0
		.amdhsa_exception_int_div_zero 0
	.end_amdhsa_kernel
	.section	.text._ZN2at6native12_GLOBAL__N_128layer_norm_grad_input_kernelIN3c104HalfEfLb1EEEvPKT_S7_PKT0_SA_S7_PS5_i,"axG",@progbits,_ZN2at6native12_GLOBAL__N_128layer_norm_grad_input_kernelIN3c104HalfEfLb1EEEvPKT_S7_PKT0_SA_S7_PS5_i,comdat
.Lfunc_end163:
	.size	_ZN2at6native12_GLOBAL__N_128layer_norm_grad_input_kernelIN3c104HalfEfLb1EEEvPKT_S7_PKT0_SA_S7_PS5_i, .Lfunc_end163-_ZN2at6native12_GLOBAL__N_128layer_norm_grad_input_kernelIN3c104HalfEfLb1EEEvPKT_S7_PKT0_SA_S7_PS5_i
                                        ; -- End function
	.set _ZN2at6native12_GLOBAL__N_128layer_norm_grad_input_kernelIN3c104HalfEfLb1EEEvPKT_S7_PKT0_SA_S7_PS5_i.num_vgpr, 20
	.set _ZN2at6native12_GLOBAL__N_128layer_norm_grad_input_kernelIN3c104HalfEfLb1EEEvPKT_S7_PKT0_SA_S7_PS5_i.num_agpr, 0
	.set _ZN2at6native12_GLOBAL__N_128layer_norm_grad_input_kernelIN3c104HalfEfLb1EEEvPKT_S7_PKT0_SA_S7_PS5_i.numbered_sgpr, 22
	.set _ZN2at6native12_GLOBAL__N_128layer_norm_grad_input_kernelIN3c104HalfEfLb1EEEvPKT_S7_PKT0_SA_S7_PS5_i.num_named_barrier, 0
	.set _ZN2at6native12_GLOBAL__N_128layer_norm_grad_input_kernelIN3c104HalfEfLb1EEEvPKT_S7_PKT0_SA_S7_PS5_i.private_seg_size, 0
	.set _ZN2at6native12_GLOBAL__N_128layer_norm_grad_input_kernelIN3c104HalfEfLb1EEEvPKT_S7_PKT0_SA_S7_PS5_i.uses_vcc, 1
	.set _ZN2at6native12_GLOBAL__N_128layer_norm_grad_input_kernelIN3c104HalfEfLb1EEEvPKT_S7_PKT0_SA_S7_PS5_i.uses_flat_scratch, 0
	.set _ZN2at6native12_GLOBAL__N_128layer_norm_grad_input_kernelIN3c104HalfEfLb1EEEvPKT_S7_PKT0_SA_S7_PS5_i.has_dyn_sized_stack, 0
	.set _ZN2at6native12_GLOBAL__N_128layer_norm_grad_input_kernelIN3c104HalfEfLb1EEEvPKT_S7_PKT0_SA_S7_PS5_i.has_recursion, 0
	.set _ZN2at6native12_GLOBAL__N_128layer_norm_grad_input_kernelIN3c104HalfEfLb1EEEvPKT_S7_PKT0_SA_S7_PS5_i.has_indirect_call, 0
	.section	.AMDGPU.csdata,"",@progbits
; Kernel info:
; codeLenInByte = 1968
; TotalNumSgprs: 24
; NumVgprs: 20
; ScratchSize: 0
; MemoryBound: 0
; FloatMode: 240
; IeeeMode: 1
; LDSByteSize: 0 bytes/workgroup (compile time only)
; SGPRBlocks: 0
; VGPRBlocks: 2
; NumSGPRsForWavesPerEU: 24
; NumVGPRsForWavesPerEU: 20
; Occupancy: 16
; WaveLimiterHint : 0
; COMPUTE_PGM_RSRC2:SCRATCH_EN: 0
; COMPUTE_PGM_RSRC2:USER_SGPR: 2
; COMPUTE_PGM_RSRC2:TRAP_HANDLER: 0
; COMPUTE_PGM_RSRC2:TGID_X_EN: 1
; COMPUTE_PGM_RSRC2:TGID_Y_EN: 0
; COMPUTE_PGM_RSRC2:TGID_Z_EN: 0
; COMPUTE_PGM_RSRC2:TIDIG_COMP_CNT: 0
	.section	.text._ZN2at6native12_GLOBAL__N_133GammaBetaBackwardSimpleCUDAKernelIN3c104HalfEfLb1EEEvllPKT_S7_PKT0_SA_PS5_SB_,"axG",@progbits,_ZN2at6native12_GLOBAL__N_133GammaBetaBackwardSimpleCUDAKernelIN3c104HalfEfLb1EEEvllPKT_S7_PKT0_SA_PS5_SB_,comdat
	.globl	_ZN2at6native12_GLOBAL__N_133GammaBetaBackwardSimpleCUDAKernelIN3c104HalfEfLb1EEEvllPKT_S7_PKT0_SA_PS5_SB_ ; -- Begin function _ZN2at6native12_GLOBAL__N_133GammaBetaBackwardSimpleCUDAKernelIN3c104HalfEfLb1EEEvllPKT_S7_PKT0_SA_PS5_SB_
	.p2align	8
	.type	_ZN2at6native12_GLOBAL__N_133GammaBetaBackwardSimpleCUDAKernelIN3c104HalfEfLb1EEEvllPKT_S7_PKT0_SA_PS5_SB_,@function
_ZN2at6native12_GLOBAL__N_133GammaBetaBackwardSimpleCUDAKernelIN3c104HalfEfLb1EEEvllPKT_S7_PKT0_SA_PS5_SB_: ; @_ZN2at6native12_GLOBAL__N_133GammaBetaBackwardSimpleCUDAKernelIN3c104HalfEfLb1EEEvllPKT_S7_PKT0_SA_PS5_SB_
; %bb.0:
	s_clause 0x1
	s_load_b32 s2, s[0:1], 0x4c
	s_load_b256 s[4:11], s[0:1], 0x0
	v_mov_b32_e32 v1, 0
	s_wait_kmcnt 0x0
	s_and_b32 s2, s2, 0xffff
	s_delay_alu instid0(VALU_DEP_1) | instid1(SALU_CYCLE_1)
	v_mad_co_u64_u32 v[2:3], null, s2, ttmp9, v[0:1]
	s_mov_b32 s2, exec_lo
	v_cmpx_gt_i64_e64 s[6:7], v[2:3]
	s_cbranch_execz .LBB164_9
; %bb.1:
	s_load_b128 s[0:3], s[0:1], 0x28
	v_cmp_lt_i64_e64 s12, s[4:5], 1
	v_lshlrev_b64_e32 v[2:3], 1, v[2:3]
	s_and_b32 vcc_lo, exec_lo, s12
	s_cbranch_vccnz .LBB164_7
; %bb.2:
	s_delay_alu instid0(VALU_DEP_1) | instskip(NEXT) | instid1(VALU_DEP_2)
	v_mov_b32_e32 v0, v2
	v_dual_mov_b32 v4, 0 :: v_dual_mov_b32 v1, v3
	s_wait_kmcnt 0x0
	s_cmp_lg_u64 s[2:3], 0
	s_cselect_b32 s12, -1, 0
	s_lshl_b64 s[6:7], s[6:7], 1
	s_branch .LBB164_4
.LBB164_3:                              ;   in Loop: Header=BB164_4 Depth=1
	v_add_co_u32 v0, vcc_lo, v0, s6
	s_delay_alu instid0(VALU_DEP_2)
	v_add_f32_e32 v4, v4, v5
	s_wait_alu 0xfffd
	v_add_co_ci_u32_e64 v1, null, s7, v1, vcc_lo
	s_add_nc_u64 s[4:5], s[4:5], -1
	s_add_nc_u64 s[0:1], s[0:1], 4
	s_wait_alu 0xfffe
	s_cmp_eq_u64 s[4:5], 0
	s_cbranch_scc1 .LBB164_6
.LBB164_4:                              ; =>This Inner Loop Header: Depth=1
	v_mov_b32_e32 v5, 0
	s_and_not1_b32 vcc_lo, exec_lo, s12
	s_wait_alu 0xfffe
	s_cbranch_vccnz .LBB164_3
; %bb.5:                                ;   in Loop: Header=BB164_4 Depth=1
	v_add_co_u32 v5, vcc_lo, s8, v0
	s_wait_alu 0xfffd
	v_add_co_ci_u32_e64 v6, null, s9, v1, vcc_lo
	v_add_co_u32 v7, vcc_lo, s10, v0
	s_wait_alu 0xfffd
	v_add_co_ci_u32_e64 v8, null, s11, v1, vcc_lo
	global_load_u16 v5, v[5:6], off
	global_load_u16 v6, v[7:8], off
	s_load_b32 s13, s[0:1], 0x0
	s_wait_loadcnt 0x1
	v_cvt_f32_f16_e32 v5, v5
	s_wait_loadcnt 0x0
	v_cvt_f32_f16_e32 v6, v6
	s_delay_alu instid0(VALU_DEP_1) | instskip(SKIP_1) | instid1(VALU_DEP_1)
	v_mul_f32_e32 v5, v5, v6
	s_wait_kmcnt 0x0
	v_mul_f32_e32 v5, s13, v5
	s_branch .LBB164_3
.LBB164_6:
	v_cvt_f16_f32_e32 v1, v4
.LBB164_7:
	s_wait_kmcnt 0x0
	s_cmp_lg_u64 s[2:3], 0
	s_cbranch_scc0 .LBB164_9
; %bb.8:
	v_add_co_u32 v2, vcc_lo, s2, v2
	s_wait_alu 0xfffd
	v_add_co_ci_u32_e64 v3, null, s3, v3, vcc_lo
	global_store_b16 v[2:3], v1, off
.LBB164_9:
	s_endpgm
	.section	.rodata,"a",@progbits
	.p2align	6, 0x0
	.amdhsa_kernel _ZN2at6native12_GLOBAL__N_133GammaBetaBackwardSimpleCUDAKernelIN3c104HalfEfLb1EEEvllPKT_S7_PKT0_SA_PS5_SB_
		.amdhsa_group_segment_fixed_size 0
		.amdhsa_private_segment_fixed_size 0
		.amdhsa_kernarg_size 320
		.amdhsa_user_sgpr_count 2
		.amdhsa_user_sgpr_dispatch_ptr 0
		.amdhsa_user_sgpr_queue_ptr 0
		.amdhsa_user_sgpr_kernarg_segment_ptr 1
		.amdhsa_user_sgpr_dispatch_id 0
		.amdhsa_user_sgpr_private_segment_size 0
		.amdhsa_wavefront_size32 1
		.amdhsa_uses_dynamic_stack 0
		.amdhsa_enable_private_segment 0
		.amdhsa_system_sgpr_workgroup_id_x 1
		.amdhsa_system_sgpr_workgroup_id_y 0
		.amdhsa_system_sgpr_workgroup_id_z 0
		.amdhsa_system_sgpr_workgroup_info 0
		.amdhsa_system_vgpr_workitem_id 0
		.amdhsa_next_free_vgpr 9
		.amdhsa_next_free_sgpr 14
		.amdhsa_reserve_vcc 1
		.amdhsa_float_round_mode_32 0
		.amdhsa_float_round_mode_16_64 0
		.amdhsa_float_denorm_mode_32 3
		.amdhsa_float_denorm_mode_16_64 3
		.amdhsa_fp16_overflow 0
		.amdhsa_workgroup_processor_mode 1
		.amdhsa_memory_ordered 1
		.amdhsa_forward_progress 1
		.amdhsa_inst_pref_size 3
		.amdhsa_round_robin_scheduling 0
		.amdhsa_exception_fp_ieee_invalid_op 0
		.amdhsa_exception_fp_denorm_src 0
		.amdhsa_exception_fp_ieee_div_zero 0
		.amdhsa_exception_fp_ieee_overflow 0
		.amdhsa_exception_fp_ieee_underflow 0
		.amdhsa_exception_fp_ieee_inexact 0
		.amdhsa_exception_int_div_zero 0
	.end_amdhsa_kernel
	.section	.text._ZN2at6native12_GLOBAL__N_133GammaBetaBackwardSimpleCUDAKernelIN3c104HalfEfLb1EEEvllPKT_S7_PKT0_SA_PS5_SB_,"axG",@progbits,_ZN2at6native12_GLOBAL__N_133GammaBetaBackwardSimpleCUDAKernelIN3c104HalfEfLb1EEEvllPKT_S7_PKT0_SA_PS5_SB_,comdat
.Lfunc_end164:
	.size	_ZN2at6native12_GLOBAL__N_133GammaBetaBackwardSimpleCUDAKernelIN3c104HalfEfLb1EEEvllPKT_S7_PKT0_SA_PS5_SB_, .Lfunc_end164-_ZN2at6native12_GLOBAL__N_133GammaBetaBackwardSimpleCUDAKernelIN3c104HalfEfLb1EEEvllPKT_S7_PKT0_SA_PS5_SB_
                                        ; -- End function
	.set _ZN2at6native12_GLOBAL__N_133GammaBetaBackwardSimpleCUDAKernelIN3c104HalfEfLb1EEEvllPKT_S7_PKT0_SA_PS5_SB_.num_vgpr, 9
	.set _ZN2at6native12_GLOBAL__N_133GammaBetaBackwardSimpleCUDAKernelIN3c104HalfEfLb1EEEvllPKT_S7_PKT0_SA_PS5_SB_.num_agpr, 0
	.set _ZN2at6native12_GLOBAL__N_133GammaBetaBackwardSimpleCUDAKernelIN3c104HalfEfLb1EEEvllPKT_S7_PKT0_SA_PS5_SB_.numbered_sgpr, 14
	.set _ZN2at6native12_GLOBAL__N_133GammaBetaBackwardSimpleCUDAKernelIN3c104HalfEfLb1EEEvllPKT_S7_PKT0_SA_PS5_SB_.num_named_barrier, 0
	.set _ZN2at6native12_GLOBAL__N_133GammaBetaBackwardSimpleCUDAKernelIN3c104HalfEfLb1EEEvllPKT_S7_PKT0_SA_PS5_SB_.private_seg_size, 0
	.set _ZN2at6native12_GLOBAL__N_133GammaBetaBackwardSimpleCUDAKernelIN3c104HalfEfLb1EEEvllPKT_S7_PKT0_SA_PS5_SB_.uses_vcc, 1
	.set _ZN2at6native12_GLOBAL__N_133GammaBetaBackwardSimpleCUDAKernelIN3c104HalfEfLb1EEEvllPKT_S7_PKT0_SA_PS5_SB_.uses_flat_scratch, 0
	.set _ZN2at6native12_GLOBAL__N_133GammaBetaBackwardSimpleCUDAKernelIN3c104HalfEfLb1EEEvllPKT_S7_PKT0_SA_PS5_SB_.has_dyn_sized_stack, 0
	.set _ZN2at6native12_GLOBAL__N_133GammaBetaBackwardSimpleCUDAKernelIN3c104HalfEfLb1EEEvllPKT_S7_PKT0_SA_PS5_SB_.has_recursion, 0
	.set _ZN2at6native12_GLOBAL__N_133GammaBetaBackwardSimpleCUDAKernelIN3c104HalfEfLb1EEEvllPKT_S7_PKT0_SA_PS5_SB_.has_indirect_call, 0
	.section	.AMDGPU.csdata,"",@progbits
; Kernel info:
; codeLenInByte = 352
; TotalNumSgprs: 16
; NumVgprs: 9
; ScratchSize: 0
; MemoryBound: 0
; FloatMode: 240
; IeeeMode: 1
; LDSByteSize: 0 bytes/workgroup (compile time only)
; SGPRBlocks: 0
; VGPRBlocks: 1
; NumSGPRsForWavesPerEU: 16
; NumVGPRsForWavesPerEU: 9
; Occupancy: 16
; WaveLimiterHint : 0
; COMPUTE_PGM_RSRC2:SCRATCH_EN: 0
; COMPUTE_PGM_RSRC2:USER_SGPR: 2
; COMPUTE_PGM_RSRC2:TRAP_HANDLER: 0
; COMPUTE_PGM_RSRC2:TGID_X_EN: 1
; COMPUTE_PGM_RSRC2:TGID_Y_EN: 0
; COMPUTE_PGM_RSRC2:TGID_Z_EN: 0
; COMPUTE_PGM_RSRC2:TIDIG_COMP_CNT: 0
	.section	.text._ZN2at6native12_GLOBAL__N_135GammaBetaBackwardCUDAKernelTemplateIN3c104HalfEfLj64ELj1ELj32ELb1ELb1ELb1EEEvllPKT_S7_PKT0_SA_PS5_SB_,"axG",@progbits,_ZN2at6native12_GLOBAL__N_135GammaBetaBackwardCUDAKernelTemplateIN3c104HalfEfLj64ELj1ELj32ELb1ELb1ELb1EEEvllPKT_S7_PKT0_SA_PS5_SB_,comdat
	.globl	_ZN2at6native12_GLOBAL__N_135GammaBetaBackwardCUDAKernelTemplateIN3c104HalfEfLj64ELj1ELj32ELb1ELb1ELb1EEEvllPKT_S7_PKT0_SA_PS5_SB_ ; -- Begin function _ZN2at6native12_GLOBAL__N_135GammaBetaBackwardCUDAKernelTemplateIN3c104HalfEfLj64ELj1ELj32ELb1ELb1ELb1EEEvllPKT_S7_PKT0_SA_PS5_SB_
	.p2align	8
	.type	_ZN2at6native12_GLOBAL__N_135GammaBetaBackwardCUDAKernelTemplateIN3c104HalfEfLj64ELj1ELj32ELb1ELb1ELb1EEEvllPKT_S7_PKT0_SA_PS5_SB_,@function
_ZN2at6native12_GLOBAL__N_135GammaBetaBackwardCUDAKernelTemplateIN3c104HalfEfLj64ELj1ELj32ELb1ELb1ELb1EEEvllPKT_S7_PKT0_SA_PS5_SB_: ; @_ZN2at6native12_GLOBAL__N_135GammaBetaBackwardCUDAKernelTemplateIN3c104HalfEfLj64ELj1ELj32ELb1ELb1ELb1EEEvllPKT_S7_PKT0_SA_PS5_SB_
; %bb.0:
	s_clause 0x1
	s_load_b128 s[4:7], s[0:1], 0x0
	s_load_b64 s[2:3], s[0:1], 0x30
	s_lshl_b32 s12, ttmp7, 5
	s_mov_b32 s13, 0
	v_mov_b32_e32 v3, 0
	v_bfe_u32 v1, v0, 10, 10
	v_and_b32_e32 v0, 0x3ff, v0
	s_wait_kmcnt 0x0
	v_cmp_le_i64_e64 s8, s[4:5], s[12:13]
	s_and_b32 vcc_lo, exec_lo, s8
	s_cbranch_vccnz .LBB165_6
; %bb.1:
	s_clause 0x3
	s_load_b32 s14, s[0:1], 0x4c
	s_load_b32 s15, s[0:1], 0x44
	s_load_b128 s[8:11], s[0:1], 0x10
	s_load_b64 s[16:17], s[0:1], 0x28
	v_dual_mov_b32 v3, 0 :: v_dual_lshlrev_b32 v4, 5, v1
	v_lshl_or_b32 v2, ttmp9, 6, v0
	v_dual_mov_b32 v8, 4 :: v_dual_mov_b32 v9, 8
	v_dual_mov_b32 v10, 12 :: v_dual_mov_b32 v11, 16
	;; [unrolled: 1-line block ×7, first 2 shown]
	s_wait_kmcnt 0x0
	s_and_b32 s14, s14, 0xffff
	v_dual_mov_b32 v22, 60 :: v_dual_mov_b32 v23, 64
	v_mad_u32_u24 v5, v1, s14, v0
	v_add_co_u32 v39, s14, v4, s12
	s_wait_alu 0xf1ff
	v_add_co_ci_u32_e64 v40, null, 0, 0, s14
	s_delay_alu instid0(VALU_DEP_3) | instskip(NEXT) | instid1(VALU_DEP_3)
	v_dual_mov_b32 v25, 0x48 :: v_dual_and_b32 v38, 31, v5
	v_mul_lo_u32 v6, s7, v39
	s_delay_alu instid0(VALU_DEP_3)
	v_mul_lo_u32 v7, s6, v40
	v_mad_co_u64_u32 v[4:5], null, s6, v39, 0
	s_lshl_b32 s14, s15, 5
	s_mov_b32 s15, s13
	v_mov_b32_e32 v24, 0x44
	v_mov_b32_e32 v26, 0x4c
	;; [unrolled: 1-line block ×4, first 2 shown]
	v_add3_u32 v5, v5, v7, v6
	v_mov_b32_e32 v29, 0x58
	v_mov_b32_e32 v30, 0x5c
	;; [unrolled: 1-line block ×4, first 2 shown]
	v_lshlrev_b64_e32 v[6:7], 1, v[4:5]
	v_add_co_u32 v4, vcc_lo, v39, v38
	s_delay_alu instid0(VALU_DEP_1) | instskip(SKIP_3) | instid1(VALU_DEP_4)
	v_add_co_ci_u32_e64 v5, null, 0, v40, vcc_lo
	v_lshlrev_b64_e32 v[38:39], 1, v[2:3]
	v_mov_b32_e32 v33, 0x68
	v_mov_b32_e32 v34, 0x6c
	v_lshlrev_b64_e32 v[40:41], 2, v[4:5]
	v_mov_b32_e32 v35, 0x70
	v_mov_b32_e32 v36, 0x74
	v_add_co_u32 v38, vcc_lo, v6, v38
	s_wait_alu 0xfffd
	v_add_co_ci_u32_e64 v39, null, v7, v39, vcc_lo
	v_add_co_u32 v6, vcc_lo, s16, v40
	v_mov_b32_e32 v37, 0x78
	v_mov_b32_e32 v2, 0x7c
	s_wait_alu 0xfffd
	v_add_co_ci_u32_e64 v7, null, s17, v41, vcc_lo
	v_mov_b32_e32 v40, 0
	s_wait_alu 0xfffe
	s_mul_u64 s[18:19], s[6:7], s[14:15]
	s_lshl_b64 s[20:21], s[6:7], 1
	s_lshl_b64 s[16:17], s[18:19], 1
	;; [unrolled: 1-line block ×3, first 2 shown]
	s_branch .LBB165_3
.LBB165_2:                              ;   in Loop: Header=BB165_3 Depth=1
	s_or_b32 exec_lo, exec_lo, s22
	v_add_co_u32 v42, vcc_lo, s8, v38
	s_wait_alu 0xfffd
	v_add_co_ci_u32_e64 v43, null, s9, v39, vcc_lo
	v_add_co_u32 v44, vcc_lo, s10, v38
	s_wait_alu 0xfffd
	v_add_co_ci_u32_e64 v45, null, s11, v39, vcc_lo
	global_load_u16 v52, v[42:43], off
	global_load_u16 v53, v[44:45], off
	v_add_co_u32 v42, vcc_lo, v42, s20
	s_wait_alu 0xfffd
	v_add_co_ci_u32_e64 v43, null, s21, v43, vcc_lo
	v_add_co_u32 v44, vcc_lo, v44, s20
	s_wait_alu 0xfffd
	v_add_co_ci_u32_e64 v45, null, s21, v45, vcc_lo
	global_load_u16 v54, v[42:43], off
	global_load_u16 v55, v[44:45], off
	v_add_co_u32 v42, vcc_lo, v42, s20
	s_wait_alu 0xfffd
	v_add_co_ci_u32_e64 v43, null, s21, v43, vcc_lo
	v_add_co_u32 v44, vcc_lo, v44, s20
	s_wait_alu 0xfffd
	v_add_co_ci_u32_e64 v45, null, s21, v45, vcc_lo
	global_load_u16 v56, v[42:43], off
	global_load_u16 v57, v[44:45], off
	v_add_co_u32 v42, vcc_lo, v42, s20
	s_wait_alu 0xfffd
	v_add_co_ci_u32_e64 v43, null, s21, v43, vcc_lo
	v_add_co_u32 v44, vcc_lo, v44, s20
	s_wait_alu 0xfffd
	v_add_co_ci_u32_e64 v45, null, s21, v45, vcc_lo
	global_load_u16 v58, v[42:43], off
	global_load_u16 v59, v[44:45], off
	v_add_co_u32 v42, vcc_lo, v42, s20
	s_wait_alu 0xfffd
	v_add_co_ci_u32_e64 v43, null, s21, v43, vcc_lo
	v_add_co_u32 v44, vcc_lo, v44, s20
	s_wait_alu 0xfffd
	v_add_co_ci_u32_e64 v45, null, s21, v45, vcc_lo
	global_load_u16 v60, v[42:43], off
	v_add_co_u32 v42, vcc_lo, v42, s20
	s_wait_alu 0xfffd
	v_add_co_ci_u32_e64 v43, null, s21, v43, vcc_lo
	v_add_co_u32 v46, vcc_lo, v44, s20
	s_wait_alu 0xfffd
	v_add_co_ci_u32_e64 v47, null, s21, v45, vcc_lo
	v_add_co_u32 v48, vcc_lo, v42, s20
	s_wait_alu 0xfffd
	v_add_co_ci_u32_e64 v49, null, s21, v43, vcc_lo
	v_add_co_u32 v50, vcc_lo, v46, s20
	s_wait_alu 0xfffd
	v_add_co_ci_u32_e64 v51, null, s21, v47, vcc_lo
	global_load_u16 v61, v[44:45], off
	global_load_u16 v62, v[42:43], off
	global_load_u16 v63, v[46:47], off
	global_load_u16 v64, v[48:49], off
	global_load_u16 v65, v[50:51], off
	v_add_co_u32 v42, vcc_lo, v48, s20
	s_wait_alu 0xfffd
	v_add_co_ci_u32_e64 v43, null, s21, v49, vcc_lo
	v_add_co_u32 v44, vcc_lo, v50, s20
	s_wait_alu 0xfffd
	v_add_co_ci_u32_e64 v45, null, s21, v51, vcc_lo
	global_load_u16 v66, v[42:43], off
	v_add_co_u32 v42, vcc_lo, v42, s20
	s_wait_alu 0xfffd
	v_add_co_ci_u32_e64 v43, null, s21, v43, vcc_lo
	v_add_co_u32 v46, vcc_lo, v44, s20
	s_wait_alu 0xfffd
	v_add_co_ci_u32_e64 v47, null, s21, v45, vcc_lo
	v_add_co_u32 v48, vcc_lo, v42, s20
	s_wait_alu 0xfffd
	v_add_co_ci_u32_e64 v49, null, s21, v43, vcc_lo
	v_add_co_u32 v50, vcc_lo, v46, s20
	s_wait_alu 0xfffd
	v_add_co_ci_u32_e64 v51, null, s21, v47, vcc_lo
	global_load_u16 v67, v[44:45], off
	global_load_u16 v68, v[42:43], off
	global_load_u16 v69, v[46:47], off
	global_load_u16 v70, v[48:49], off
	global_load_u16 v71, v[50:51], off
	;; [unrolled: 24-line block ×6, first 2 shown]
	v_add_co_u32 v42, vcc_lo, v48, s20
	s_wait_alu 0xfffd
	v_add_co_ci_u32_e64 v43, null, s21, v49, vcc_lo
	v_add_co_u32 v44, vcc_lo, v50, s20
	s_wait_alu 0xfffd
	v_add_co_ci_u32_e64 v45, null, s21, v51, vcc_lo
	global_load_u16 v48, v[42:43], off
	v_add_co_u32 v42, vcc_lo, v42, s20
	s_wait_alu 0xfffd
	v_add_co_ci_u32_e64 v43, null, s21, v43, vcc_lo
	v_add_co_u32 v46, vcc_lo, v44, s20
	s_wait_alu 0xfffd
	v_add_co_ci_u32_e64 v47, null, s21, v45, vcc_lo
	global_load_u16 v49, v[44:45], off
	v_add_co_u32 v44, vcc_lo, v42, s20
	s_wait_alu 0xfffd
	v_add_co_ci_u32_e64 v45, null, s21, v43, vcc_lo
	global_load_u16 v50, v[42:43], off
	global_load_u16 v51, v[46:47], off
	s_add_nc_u64 s[12:13], s[12:13], s[14:15]
	s_wait_alu 0xfffe
	v_cmp_lt_i64_e64 s22, s[12:13], s[4:5]
	s_wait_loadcnt 0x2f
	v_cvt_f32_f16_e32 v42, v52
	s_wait_loadcnt 0x2e
	v_cvt_f32_f16_e32 v43, v53
	global_load_u16 v52, v[44:45], off
	v_mul_f32_e32 v42, v42, v43
	ds_bpermute_b32 v43, v3, v41
	s_wait_dscnt 0x0
	v_fmac_f32_e32 v40, v42, v43
	v_add_co_u32 v42, vcc_lo, v46, s20
	s_wait_alu 0xfffd
	v_add_co_ci_u32_e64 v43, null, s21, v47, vcc_lo
	v_add_co_u32 v46, vcc_lo, v44, s20
	s_wait_alu 0xfffd
	v_add_co_ci_u32_e64 v47, null, s21, v45, vcc_lo
	s_wait_loadcnt 0x2e
	v_cvt_f32_f16_e32 v44, v54
	s_wait_loadcnt 0x2d
	v_cvt_f32_f16_e32 v45, v55
	global_load_u16 v53, v[42:43], off
	global_load_u16 v54, v[46:47], off
	v_mul_f32_e32 v44, v44, v45
	ds_bpermute_b32 v45, v8, v41
	s_wait_dscnt 0x0
	v_fmac_f32_e32 v40, v44, v45
	v_add_co_u32 v44, vcc_lo, v42, s20
	s_wait_alu 0xfffd
	v_add_co_ci_u32_e64 v45, null, s21, v43, vcc_lo
	v_add_co_u32 v42, vcc_lo, v46, s20
	s_wait_alu 0xfffd
	v_add_co_ci_u32_e64 v43, null, s21, v47, vcc_lo
	s_wait_loadcnt 0x2e
	v_cvt_f32_f16_e32 v46, v56
	s_wait_loadcnt 0x2d
	v_cvt_f32_f16_e32 v47, v57
	global_load_u16 v55, v[44:45], off
	;; [unrolled: 16-line block ×5, first 2 shown]
	global_load_u16 v62, v[42:43], off
	v_mul_f32_e32 v46, v46, v47
	ds_bpermute_b32 v47, v12, v41
	s_wait_loadcnt 0xe
	v_cvt_f32_f16_e32 v48, v48
	s_wait_dscnt 0x0
	v_fmac_f32_e32 v40, v46, v47
	v_add_co_u32 v46, vcc_lo, v44, s20
	s_wait_alu 0xfffd
	v_add_co_ci_u32_e64 v47, null, s21, v45, vcc_lo
	v_add_co_u32 v44, vcc_lo, v42, s20
	s_wait_alu 0xfffd
	v_add_co_ci_u32_e64 v45, null, s21, v43, vcc_lo
	v_cvt_f32_f16_e32 v42, v64
	v_cvt_f32_f16_e32 v43, v65
	global_load_u16 v63, v[46:47], off
	global_load_u16 v64, v[44:45], off
	v_cvt_f32_f16_e32 v65, v69
	v_cvt_f32_f16_e32 v69, v72
	v_mul_f32_e32 v42, v42, v43
	ds_bpermute_b32 v43, v13, v41
	s_wait_loadcnt 0xe
	v_cvt_f32_f16_e32 v50, v50
	s_wait_dscnt 0x0
	v_fmac_f32_e32 v40, v42, v43
	v_add_co_u32 v42, vcc_lo, v46, s20
	s_wait_alu 0xfffd
	v_add_co_ci_u32_e64 v43, null, s21, v47, vcc_lo
	v_add_co_u32 v46, vcc_lo, v44, s20
	s_wait_alu 0xfffd
	v_add_co_ci_u32_e64 v47, null, s21, v45, vcc_lo
	;; [unrolled: 3-line block ×3, first 2 shown]
	global_load_u16 v42, v[42:43], off
	global_load_u16 v43, v[46:47], off
	;; [unrolled: 1-line block ×3, first 2 shown]
	ds_bpermute_b32 v45, v14, v41
	v_cvt_f32_f16_e32 v46, v66
	v_cvt_f32_f16_e32 v47, v67
	ds_bpermute_b32 v66, v17, v41
	v_cvt_f32_f16_e32 v67, v70
	v_add_co_u32 v38, vcc_lo, v38, s16
	v_mul_f32_e32 v46, v46, v47
	ds_bpermute_b32 v47, v15, v41
	s_wait_alu 0xfffd
	v_add_co_ci_u32_e64 v39, null, s17, v39, vcc_lo
	v_add_co_u32 v6, vcc_lo, v6, s18
	s_wait_alu 0xfffd
	v_add_co_ci_u32_e64 v7, null, s19, v7, vcc_lo
	v_add_co_u32 v4, vcc_lo, v4, s14
	s_wait_alu 0xfffd
	v_add_co_ci_u32_e64 v5, null, 0, v5, vcc_lo
	s_and_b32 vcc_lo, exec_lo, s22
	s_wait_dscnt 0x2
	v_fmac_f32_e32 v40, v46, v45
	ds_bpermute_b32 v45, v16, v41
	v_cvt_f32_f16_e32 v46, v68
	ds_bpermute_b32 v68, v18, v41
	v_mul_f32_e32 v46, v46, v65
	v_cvt_f32_f16_e32 v65, v71
	s_wait_dscnt 0x2
	s_delay_alu instid0(VALU_DEP_2) | instskip(NEXT) | instid1(VALU_DEP_2)
	v_fmac_f32_e32 v40, v46, v47
	v_mul_f32_e32 v46, v67, v65
	v_cvt_f32_f16_e32 v47, v73
	ds_bpermute_b32 v65, v19, v41
	v_cvt_f32_f16_e32 v67, v74
	s_wait_dscnt 0x2
	v_dual_fmac_f32 v40, v46, v45 :: v_dual_mul_f32 v45, v69, v47
	v_cvt_f32_f16_e32 v46, v75
	ds_bpermute_b32 v47, v20, v41
	v_cvt_f32_f16_e32 v69, v76
	v_fmac_f32_e32 v40, v45, v66
	v_mul_f32_e32 v45, v67, v46
	v_cvt_f32_f16_e32 v46, v77
	ds_bpermute_b32 v66, v21, v41
	v_cvt_f32_f16_e32 v67, v78
	s_wait_dscnt 0x3
	v_fmac_f32_e32 v40, v45, v68
	v_mul_f32_e32 v45, v69, v46
	v_cvt_f32_f16_e32 v46, v79
	ds_bpermute_b32 v68, v22, v41
	v_cvt_f32_f16_e32 v69, v80
	s_wait_dscnt 0x3
	v_dual_fmac_f32 v40, v45, v65 :: v_dual_mul_f32 v45, v67, v46
	v_cvt_f32_f16_e32 v46, v81
	ds_bpermute_b32 v65, v23, v41
	v_cvt_f32_f16_e32 v67, v82
	s_wait_dscnt 0x3
	v_fmac_f32_e32 v40, v45, v47
	v_mul_f32_e32 v45, v69, v46
	v_cvt_f32_f16_e32 v46, v83
	ds_bpermute_b32 v47, v24, v41
	v_cvt_f32_f16_e32 v69, v84
	s_wait_dscnt 0x3
	v_fmac_f32_e32 v40, v45, v66
	v_mul_f32_e32 v45, v67, v46
	;; [unrolled: 6-line block ×3, first 2 shown]
	v_cvt_f32_f16_e32 v46, v87
	ds_bpermute_b32 v68, v26, v41
	v_cvt_f32_f16_e32 v69, v88
	s_wait_dscnt 0x3
	v_dual_fmac_f32 v40, v45, v65 :: v_dual_mul_f32 v45, v67, v46
	v_cvt_f32_f16_e32 v46, v89
	ds_bpermute_b32 v65, v27, v41
	v_cvt_f32_f16_e32 v67, v90
	s_wait_dscnt 0x3
	v_fmac_f32_e32 v40, v45, v47
	v_mul_f32_e32 v45, v69, v46
	v_cvt_f32_f16_e32 v46, v91
	ds_bpermute_b32 v47, v28, v41
	v_cvt_f32_f16_e32 v69, v92
	s_wait_dscnt 0x3
	v_fmac_f32_e32 v40, v45, v66
	v_mul_f32_e32 v45, v67, v46
	;; [unrolled: 6-line block ×3, first 2 shown]
	v_cvt_f32_f16_e32 v46, v95
	ds_bpermute_b32 v68, v30, v41
	s_wait_dscnt 0x3
	v_dual_fmac_f32 v40, v45, v65 :: v_dual_mul_f32 v45, v67, v46
	v_cvt_f32_f16_e32 v46, v49
	ds_bpermute_b32 v49, v31, v41
	s_wait_dscnt 0x3
	v_dual_fmac_f32 v40, v45, v47 :: v_dual_mul_f32 v45, v48, v46
	s_wait_loadcnt 0x10
	v_cvt_f32_f16_e32 v46, v51
	ds_bpermute_b32 v47, v32, v41
	s_wait_loadcnt 0xf
	v_cvt_f32_f16_e32 v48, v52
	s_wait_loadcnt 0xd
	v_cvt_f32_f16_e32 v51, v54
	s_wait_dscnt 0x3
	v_fmac_f32_e32 v40, v45, v66
	v_mul_f32_e32 v45, v50, v46
	v_cvt_f32_f16_e32 v46, v53
	ds_bpermute_b32 v50, v33, v41
	s_wait_dscnt 0x3
	v_dual_fmac_f32 v40, v45, v68 :: v_dual_mul_f32 v45, v48, v46
	ds_bpermute_b32 v48, v34, v41
	s_wait_dscnt 0x3
	v_fmac_f32_e32 v40, v45, v49
	ds_bpermute_b32 v49, v35, v41
	s_wait_loadcnt 0xc
	v_cvt_f32_f16_e32 v46, v55
	s_wait_loadcnt 0xb
	v_cvt_f32_f16_e32 v52, v56
	s_delay_alu instid0(VALU_DEP_2) | instskip(SKIP_1) | instid1(VALU_DEP_1)
	v_mul_f32_e32 v45, v51, v46
	s_wait_dscnt 0x3
	v_fmac_f32_e32 v40, v45, v47
	ds_bpermute_b32 v47, v36, v41
	s_wait_loadcnt 0xa
	v_cvt_f32_f16_e32 v46, v57
	s_wait_loadcnt 0x9
	v_cvt_f32_f16_e32 v51, v58
	s_delay_alu instid0(VALU_DEP_2) | instskip(SKIP_1) | instid1(VALU_DEP_1)
	v_mul_f32_e32 v45, v52, v46
	s_wait_dscnt 0x3
	v_fmac_f32_e32 v40, v45, v50
	ds_bpermute_b32 v50, v37, v41
	ds_bpermute_b32 v41, v2, v41
	s_wait_loadcnt 0x8
	v_cvt_f32_f16_e32 v46, v59
	s_wait_loadcnt 0x7
	v_cvt_f32_f16_e32 v52, v60
	s_delay_alu instid0(VALU_DEP_2) | instskip(SKIP_1) | instid1(VALU_DEP_1)
	v_mul_f32_e32 v45, v51, v46
	s_wait_dscnt 0x4
	v_fmac_f32_e32 v40, v45, v48
	s_wait_loadcnt 0x6
	v_cvt_f32_f16_e32 v46, v61
	s_wait_loadcnt 0x5
	v_cvt_f32_f16_e32 v51, v62
	s_delay_alu instid0(VALU_DEP_2) | instskip(SKIP_1) | instid1(VALU_DEP_1)
	v_mul_f32_e32 v45, v52, v46
	s_wait_dscnt 0x3
	v_fmac_f32_e32 v40, v45, v49
	;; [unrolled: 8-line block ×3, first 2 shown]
	s_wait_loadcnt 0x2
	v_cvt_f32_f16_e32 v42, v42
	s_wait_loadcnt 0x1
	v_cvt_f32_f16_e32 v43, v43
	;; [unrolled: 2-line block ×3, first 2 shown]
	v_mul_f32_e32 v42, v48, v42
	s_wait_dscnt 0x1
	s_delay_alu instid0(VALU_DEP_1) | instskip(NEXT) | instid1(VALU_DEP_3)
	v_fmac_f32_e32 v40, v42, v50
	v_mul_f32_e32 v42, v43, v44
	s_wait_dscnt 0x0
	s_delay_alu instid0(VALU_DEP_1)
	v_fmac_f32_e32 v40, v42, v41
	s_wait_alu 0xfffe
	s_cbranch_vccz .LBB165_5
.LBB165_3:                              ; =>This Inner Loop Header: Depth=1
	v_mov_b32_e32 v41, 0
	s_mov_b32 s22, exec_lo
	v_cmpx_gt_i64_e64 s[4:5], v[4:5]
	s_cbranch_execz .LBB165_2
; %bb.4:                                ;   in Loop: Header=BB165_3 Depth=1
	global_load_b32 v41, v[6:7], off
	s_branch .LBB165_2
.LBB165_5:
	s_delay_alu instid0(VALU_DEP_1)
	v_cvt_f16_f32_e32 v3, v40
.LBB165_6:
	s_cmp_eq_u64 s[2:3], 0
	s_cbranch_scc1 .LBB165_8
; %bb.7:
	s_load_u16 s0, s[0:1], 0x4e
	v_mov_b32_e32 v2, 0
	s_mov_b32 s4, ttmp9
	s_mov_b32 s5, 0
	v_lshlrev_b32_e32 v0, 1, v0
	s_wait_kmcnt 0x0
	v_mad_co_u64_u32 v[1:2], null, s0, ttmp7, v[1:2]
	s_wait_alu 0xfffe
	s_lshl_b64 s[0:1], s[4:5], 7
	s_delay_alu instid0(VALU_DEP_1) | instskip(NEXT) | instid1(VALU_DEP_2)
	v_mul_lo_u32 v4, v2, s6
	v_mul_lo_u32 v5, v1, s7
	v_mad_co_u64_u32 v[1:2], null, v1, s6, 0
	s_delay_alu instid0(VALU_DEP_1) | instskip(NEXT) | instid1(VALU_DEP_1)
	v_add3_u32 v2, v2, v5, v4
	v_lshlrev_b64_e32 v[1:2], 1, v[1:2]
	s_delay_alu instid0(VALU_DEP_1) | instskip(SKIP_1) | instid1(VALU_DEP_2)
	v_add_co_u32 v1, vcc_lo, s2, v1
	s_wait_alu 0xfffd
	v_add_co_ci_u32_e64 v2, null, s3, v2, vcc_lo
	s_wait_alu 0xfffe
	s_delay_alu instid0(VALU_DEP_2) | instskip(SKIP_1) | instid1(VALU_DEP_2)
	v_add_co_u32 v1, vcc_lo, v1, s0
	s_wait_alu 0xfffd
	v_add_co_ci_u32_e64 v2, null, s1, v2, vcc_lo
	s_delay_alu instid0(VALU_DEP_2) | instskip(SKIP_1) | instid1(VALU_DEP_2)
	v_add_co_u32 v0, vcc_lo, v1, v0
	s_wait_alu 0xfffd
	v_add_co_ci_u32_e64 v1, null, 0, v2, vcc_lo
	global_store_b16 v[0:1], v3, off
.LBB165_8:
	s_endpgm
	.section	.rodata,"a",@progbits
	.p2align	6, 0x0
	.amdhsa_kernel _ZN2at6native12_GLOBAL__N_135GammaBetaBackwardCUDAKernelTemplateIN3c104HalfEfLj64ELj1ELj32ELb1ELb1ELb1EEEvllPKT_S7_PKT0_SA_PS5_SB_
		.amdhsa_group_segment_fixed_size 0
		.amdhsa_private_segment_fixed_size 0
		.amdhsa_kernarg_size 320
		.amdhsa_user_sgpr_count 2
		.amdhsa_user_sgpr_dispatch_ptr 0
		.amdhsa_user_sgpr_queue_ptr 0
		.amdhsa_user_sgpr_kernarg_segment_ptr 1
		.amdhsa_user_sgpr_dispatch_id 0
		.amdhsa_user_sgpr_private_segment_size 0
		.amdhsa_wavefront_size32 1
		.amdhsa_uses_dynamic_stack 0
		.amdhsa_enable_private_segment 0
		.amdhsa_system_sgpr_workgroup_id_x 1
		.amdhsa_system_sgpr_workgroup_id_y 1
		.amdhsa_system_sgpr_workgroup_id_z 0
		.amdhsa_system_sgpr_workgroup_info 0
		.amdhsa_system_vgpr_workitem_id 1
		.amdhsa_next_free_vgpr 96
		.amdhsa_next_free_sgpr 23
		.amdhsa_reserve_vcc 1
		.amdhsa_float_round_mode_32 0
		.amdhsa_float_round_mode_16_64 0
		.amdhsa_float_denorm_mode_32 3
		.amdhsa_float_denorm_mode_16_64 3
		.amdhsa_fp16_overflow 0
		.amdhsa_workgroup_processor_mode 1
		.amdhsa_memory_ordered 1
		.amdhsa_forward_progress 1
		.amdhsa_inst_pref_size 31
		.amdhsa_round_robin_scheduling 0
		.amdhsa_exception_fp_ieee_invalid_op 0
		.amdhsa_exception_fp_denorm_src 0
		.amdhsa_exception_fp_ieee_div_zero 0
		.amdhsa_exception_fp_ieee_overflow 0
		.amdhsa_exception_fp_ieee_underflow 0
		.amdhsa_exception_fp_ieee_inexact 0
		.amdhsa_exception_int_div_zero 0
	.end_amdhsa_kernel
	.section	.text._ZN2at6native12_GLOBAL__N_135GammaBetaBackwardCUDAKernelTemplateIN3c104HalfEfLj64ELj1ELj32ELb1ELb1ELb1EEEvllPKT_S7_PKT0_SA_PS5_SB_,"axG",@progbits,_ZN2at6native12_GLOBAL__N_135GammaBetaBackwardCUDAKernelTemplateIN3c104HalfEfLj64ELj1ELj32ELb1ELb1ELb1EEEvllPKT_S7_PKT0_SA_PS5_SB_,comdat
.Lfunc_end165:
	.size	_ZN2at6native12_GLOBAL__N_135GammaBetaBackwardCUDAKernelTemplateIN3c104HalfEfLj64ELj1ELj32ELb1ELb1ELb1EEEvllPKT_S7_PKT0_SA_PS5_SB_, .Lfunc_end165-_ZN2at6native12_GLOBAL__N_135GammaBetaBackwardCUDAKernelTemplateIN3c104HalfEfLj64ELj1ELj32ELb1ELb1ELb1EEEvllPKT_S7_PKT0_SA_PS5_SB_
                                        ; -- End function
	.set _ZN2at6native12_GLOBAL__N_135GammaBetaBackwardCUDAKernelTemplateIN3c104HalfEfLj64ELj1ELj32ELb1ELb1ELb1EEEvllPKT_S7_PKT0_SA_PS5_SB_.num_vgpr, 96
	.set _ZN2at6native12_GLOBAL__N_135GammaBetaBackwardCUDAKernelTemplateIN3c104HalfEfLj64ELj1ELj32ELb1ELb1ELb1EEEvllPKT_S7_PKT0_SA_PS5_SB_.num_agpr, 0
	.set _ZN2at6native12_GLOBAL__N_135GammaBetaBackwardCUDAKernelTemplateIN3c104HalfEfLj64ELj1ELj32ELb1ELb1ELb1EEEvllPKT_S7_PKT0_SA_PS5_SB_.numbered_sgpr, 23
	.set _ZN2at6native12_GLOBAL__N_135GammaBetaBackwardCUDAKernelTemplateIN3c104HalfEfLj64ELj1ELj32ELb1ELb1ELb1EEEvllPKT_S7_PKT0_SA_PS5_SB_.num_named_barrier, 0
	.set _ZN2at6native12_GLOBAL__N_135GammaBetaBackwardCUDAKernelTemplateIN3c104HalfEfLj64ELj1ELj32ELb1ELb1ELb1EEEvllPKT_S7_PKT0_SA_PS5_SB_.private_seg_size, 0
	.set _ZN2at6native12_GLOBAL__N_135GammaBetaBackwardCUDAKernelTemplateIN3c104HalfEfLj64ELj1ELj32ELb1ELb1ELb1EEEvllPKT_S7_PKT0_SA_PS5_SB_.uses_vcc, 1
	.set _ZN2at6native12_GLOBAL__N_135GammaBetaBackwardCUDAKernelTemplateIN3c104HalfEfLj64ELj1ELj32ELb1ELb1ELb1EEEvllPKT_S7_PKT0_SA_PS5_SB_.uses_flat_scratch, 0
	.set _ZN2at6native12_GLOBAL__N_135GammaBetaBackwardCUDAKernelTemplateIN3c104HalfEfLj64ELj1ELj32ELb1ELb1ELb1EEEvllPKT_S7_PKT0_SA_PS5_SB_.has_dyn_sized_stack, 0
	.set _ZN2at6native12_GLOBAL__N_135GammaBetaBackwardCUDAKernelTemplateIN3c104HalfEfLj64ELj1ELj32ELb1ELb1ELb1EEEvllPKT_S7_PKT0_SA_PS5_SB_.has_recursion, 0
	.set _ZN2at6native12_GLOBAL__N_135GammaBetaBackwardCUDAKernelTemplateIN3c104HalfEfLj64ELj1ELj32ELb1ELb1ELb1EEEvllPKT_S7_PKT0_SA_PS5_SB_.has_indirect_call, 0
	.section	.AMDGPU.csdata,"",@progbits
; Kernel info:
; codeLenInByte = 3912
; TotalNumSgprs: 25
; NumVgprs: 96
; ScratchSize: 0
; MemoryBound: 0
; FloatMode: 240
; IeeeMode: 1
; LDSByteSize: 0 bytes/workgroup (compile time only)
; SGPRBlocks: 0
; VGPRBlocks: 11
; NumSGPRsForWavesPerEU: 25
; NumVGPRsForWavesPerEU: 96
; Occupancy: 16
; WaveLimiterHint : 0
; COMPUTE_PGM_RSRC2:SCRATCH_EN: 0
; COMPUTE_PGM_RSRC2:USER_SGPR: 2
; COMPUTE_PGM_RSRC2:TRAP_HANDLER: 0
; COMPUTE_PGM_RSRC2:TGID_X_EN: 1
; COMPUTE_PGM_RSRC2:TGID_Y_EN: 1
; COMPUTE_PGM_RSRC2:TGID_Z_EN: 0
; COMPUTE_PGM_RSRC2:TIDIG_COMP_CNT: 1
	.section	.text._ZN2at6native12_GLOBAL__N_135GammaBetaBackwardCUDAKernelTemplateIN3c104HalfEfLj64ELj1ELj32ELb1ELb0ELb1EEEvllPKT_S7_PKT0_SA_PS5_SB_,"axG",@progbits,_ZN2at6native12_GLOBAL__N_135GammaBetaBackwardCUDAKernelTemplateIN3c104HalfEfLj64ELj1ELj32ELb1ELb0ELb1EEEvllPKT_S7_PKT0_SA_PS5_SB_,comdat
	.globl	_ZN2at6native12_GLOBAL__N_135GammaBetaBackwardCUDAKernelTemplateIN3c104HalfEfLj64ELj1ELj32ELb1ELb0ELb1EEEvllPKT_S7_PKT0_SA_PS5_SB_ ; -- Begin function _ZN2at6native12_GLOBAL__N_135GammaBetaBackwardCUDAKernelTemplateIN3c104HalfEfLj64ELj1ELj32ELb1ELb0ELb1EEEvllPKT_S7_PKT0_SA_PS5_SB_
	.p2align	8
	.type	_ZN2at6native12_GLOBAL__N_135GammaBetaBackwardCUDAKernelTemplateIN3c104HalfEfLj64ELj1ELj32ELb1ELb0ELb1EEEvllPKT_S7_PKT0_SA_PS5_SB_,@function
_ZN2at6native12_GLOBAL__N_135GammaBetaBackwardCUDAKernelTemplateIN3c104HalfEfLj64ELj1ELj32ELb1ELb0ELb1EEEvllPKT_S7_PKT0_SA_PS5_SB_: ; @_ZN2at6native12_GLOBAL__N_135GammaBetaBackwardCUDAKernelTemplateIN3c104HalfEfLj64ELj1ELj32ELb1ELb0ELb1EEEvllPKT_S7_PKT0_SA_PS5_SB_
; %bb.0:
	s_clause 0x1
	s_load_b256 s[4:11], s[0:1], 0x0
	s_load_b64 s[12:13], s[0:1], 0x28
	s_lshl_b32 s28, ttmp9, 6
	s_mov_b32 s15, 0
	s_or_b32 s14, s28, 63
	v_mov_b32_e32 v208, v0
	s_wait_kmcnt 0x0
	v_cmp_le_i64_e64 s2, s[6:7], s[14:15]
	s_lshl_b32 s14, ttmp7, 5
	s_wait_alu 0xfffe
	v_cmp_gt_i64_e64 s29, s[4:5], s[14:15]
	s_and_b32 vcc_lo, exec_lo, s2
	v_cndmask_b32_e64 v0, 0, 1, s29
	s_delay_alu instid0(VALU_DEP_1)
	v_cmp_ne_u32_e64 s2, 1, v0
	s_cbranch_vccz .LBB166_141
; %bb.1:
	v_mov_b32_e32 v202, 0
	s_and_b32 vcc_lo, exec_lo, s2
	s_cbranch_vccnz .LBB166_142
; %bb.2:
	v_bfe_u32 v38, v208, 10, 10
	v_dual_mov_b32 v1, 0 :: v_dual_and_b32 v40, 0x3ff, v208
	s_load_b32 s3, s[0:1], 0x44
	s_mov_b32 s17, 0
	s_delay_alu instid0(VALU_DEP_2) | instskip(NEXT) | instid1(VALU_DEP_2)
	v_lshlrev_b32_e32 v39, 5, v38
	v_dual_mov_b32 v7, v1 :: v_dual_add_nc_u32 v6, s28, v40
	s_mov_b32 s21, s17
	v_mov_b32_e32 v41, v1
	s_delay_alu instid0(VALU_DEP_3) | instskip(NEXT) | instid1(VALU_DEP_1)
	v_add_co_u32 v4, s2, v39, s14
	v_add_co_ci_u32_e64 v5, null, 0, 0, s2
	v_cmp_gt_i64_e64 s2, s[6:7], v[6:7]
	s_delay_alu instid0(VALU_DEP_3) | instskip(SKIP_1) | instid1(VALU_DEP_4)
	v_mul_lo_u32 v0, s7, v4
	v_mad_co_u64_u32 v[2:3], null, s6, v4, 0
	v_mul_lo_u32 v8, s6, v5
	v_lshlrev_b64_e32 v[34:35], 1, v[6:7]
	v_mov_b32_e32 v169, 0
	s_add_nc_u64 s[18:19], s[0:1], 64
	s_mov_b64 s[24:25], 31
	s_wait_kmcnt 0x0
	s_lshl_b32 s20, s3, 5
	s_mov_b64 s[26:27], s[14:15]
	s_mul_u64 s[22:23], s[6:7], s[20:21]
	v_add3_u32 v3, v3, v8, v0
	v_add_co_u32 v0, vcc_lo, v4, 31
	s_delay_alu instid0(VALU_DEP_1) | instskip(NEXT) | instid1(VALU_DEP_3)
	v_add_co_ci_u32_e64 v8, null, 0, v5, vcc_lo
	v_lshlrev_b64_e32 v[6:7], 1, v[2:3]
	s_delay_alu instid0(VALU_DEP_3) | instskip(SKIP_1) | instid1(VALU_DEP_3)
	v_mul_lo_u32 v12, s7, v0
	s_lshl_b64 s[22:23], s[22:23], 1
	v_mul_lo_u32 v13, s6, v8
	v_mad_co_u64_u32 v[8:9], null, s6, v0, 0
	v_add_co_u32 v0, vcc_lo, v4, 30
	s_wait_alu 0xfffd
	v_add_co_ci_u32_e64 v10, null, 0, v5, vcc_lo
	v_add_co_u32 v42, vcc_lo, s8, v6
	s_delay_alu instid0(VALU_DEP_3) | instskip(NEXT) | instid1(VALU_DEP_3)
	v_mul_lo_u32 v14, s7, v0
	v_mul_lo_u32 v15, s6, v10
	v_mad_co_u64_u32 v[10:11], null, s6, v0, 0
	s_wait_alu 0xfffd
	v_add_co_ci_u32_e64 v43, null, s9, v7, vcc_lo
	v_add_co_u32 v44, vcc_lo, s10, v6
	s_wait_alu 0xfffd
	v_add_co_ci_u32_e64 v45, null, s11, v7, vcc_lo
	v_add_co_u32 v0, vcc_lo, v4, 29
	v_add3_u32 v9, v9, v13, v12
	v_add3_u32 v11, v11, v15, v14
	s_wait_alu 0xfffd
	v_add_co_ci_u32_e64 v12, null, 0, v5, vcc_lo
	v_mul_lo_u32 v13, s7, v0
	v_lshlrev_b64_e32 v[6:7], 1, v[8:9]
	v_lshlrev_b64_e32 v[8:9], 1, v[10:11]
	s_delay_alu instid0(VALU_DEP_4) | instskip(SKIP_1) | instid1(VALU_DEP_4)
	v_mul_lo_u32 v12, s6, v12
	v_mad_co_u64_u32 v[10:11], null, s6, v0, 0
	v_add_co_u32 v46, vcc_lo, s8, v6
	s_wait_alu 0xfffd
	v_add_co_ci_u32_e64 v47, null, s9, v7, vcc_lo
	v_add_co_u32 v48, vcc_lo, s10, v6
	s_delay_alu instid0(VALU_DEP_4)
	v_add3_u32 v11, v11, v12, v13
	s_wait_alu 0xfffd
	v_add_co_ci_u32_e64 v49, null, s11, v7, vcc_lo
	v_add_co_u32 v50, vcc_lo, s8, v8
	s_wait_alu 0xfffd
	v_add_co_ci_u32_e64 v51, null, s9, v9, vcc_lo
	v_add_co_u32 v0, vcc_lo, v4, 28
	v_add_co_u32 v52, s3, s10, v8
	v_lshlrev_b64_e32 v[6:7], 1, v[10:11]
	s_wait_alu 0xfffd
	v_add_co_ci_u32_e64 v8, null, 0, v5, vcc_lo
	v_add_co_u32 v10, vcc_lo, v4, 27
	s_wait_alu 0xfffd
	v_add_co_ci_u32_e64 v11, null, 0, v5, vcc_lo
	s_wait_alu 0xf1ff
	v_add_co_ci_u32_e64 v53, null, s11, v9, s3
	v_mul_lo_u32 v12, s7, v0
	v_mul_lo_u32 v13, s6, v8
	v_mad_co_u64_u32 v[8:9], null, s6, v0, 0
	v_mul_lo_u32 v0, s7, v10
	v_mul_lo_u32 v14, s6, v11
	v_mad_co_u64_u32 v[10:11], null, s6, v10, 0
	v_add_co_u32 v54, vcc_lo, s8, v6
	s_wait_alu 0xfffd
	v_add_co_ci_u32_e64 v55, null, s9, v7, vcc_lo
	v_add_co_u32 v56, vcc_lo, s10, v6
	s_wait_alu 0xfffd
	v_add_co_ci_u32_e64 v57, null, s11, v7, vcc_lo
	v_add3_u32 v11, v11, v14, v0
	v_add_co_u32 v0, vcc_lo, v4, 26
	v_add3_u32 v9, v9, v13, v12
	s_wait_alu 0xfffd
	v_add_co_ci_u32_e64 v12, null, 0, v5, vcc_lo
	s_delay_alu instid0(VALU_DEP_3) | instskip(NEXT) | instid1(VALU_DEP_3)
	v_mul_lo_u32 v13, s7, v0
	v_lshlrev_b64_e32 v[6:7], 1, v[8:9]
	v_lshlrev_b64_e32 v[8:9], 1, v[10:11]
	s_delay_alu instid0(VALU_DEP_4) | instskip(SKIP_1) | instid1(VALU_DEP_4)
	v_mul_lo_u32 v12, s6, v12
	v_mad_co_u64_u32 v[10:11], null, s6, v0, 0
	v_add_co_u32 v58, vcc_lo, s8, v6
	s_wait_alu 0xfffd
	v_add_co_ci_u32_e64 v59, null, s9, v7, vcc_lo
	v_add_co_u32 v60, vcc_lo, s10, v6
	s_delay_alu instid0(VALU_DEP_4)
	v_add3_u32 v11, v11, v12, v13
	s_wait_alu 0xfffd
	v_add_co_ci_u32_e64 v61, null, s11, v7, vcc_lo
	v_add_co_u32 v62, vcc_lo, s8, v8
	s_wait_alu 0xfffd
	v_add_co_ci_u32_e64 v63, null, s9, v9, vcc_lo
	v_add_co_u32 v0, vcc_lo, v4, 25
	v_add_co_u32 v64, s3, s10, v8
	v_lshlrev_b64_e32 v[6:7], 1, v[10:11]
	s_wait_alu 0xfffd
	v_add_co_ci_u32_e64 v8, null, 0, v5, vcc_lo
	v_add_co_u32 v10, vcc_lo, v4, 24
	s_wait_alu 0xfffd
	v_add_co_ci_u32_e64 v11, null, 0, v5, vcc_lo
	s_wait_alu 0xf1ff
	v_add_co_ci_u32_e64 v65, null, s11, v9, s3
	v_mul_lo_u32 v12, s7, v0
	v_mul_lo_u32 v13, s6, v8
	v_mad_co_u64_u32 v[8:9], null, s6, v0, 0
	v_mul_lo_u32 v0, s7, v10
	v_mul_lo_u32 v14, s6, v11
	v_mad_co_u64_u32 v[10:11], null, s6, v10, 0
	v_add_co_u32 v66, vcc_lo, s8, v6
	s_wait_alu 0xfffd
	v_add_co_ci_u32_e64 v67, null, s9, v7, vcc_lo
	v_add_co_u32 v68, vcc_lo, s10, v6
	s_wait_alu 0xfffd
	v_add_co_ci_u32_e64 v69, null, s11, v7, vcc_lo
	v_add3_u32 v11, v11, v14, v0
	v_add_co_u32 v0, vcc_lo, v4, 23
	v_add3_u32 v9, v9, v13, v12
	s_wait_alu 0xfffd
	v_add_co_ci_u32_e64 v12, null, 0, v5, vcc_lo
	s_delay_alu instid0(VALU_DEP_3) | instskip(NEXT) | instid1(VALU_DEP_3)
	v_mul_lo_u32 v13, s7, v0
	v_lshlrev_b64_e32 v[6:7], 1, v[8:9]
	v_lshlrev_b64_e32 v[8:9], 1, v[10:11]
	s_delay_alu instid0(VALU_DEP_4) | instskip(SKIP_1) | instid1(VALU_DEP_4)
	v_mul_lo_u32 v12, s6, v12
	v_mad_co_u64_u32 v[10:11], null, s6, v0, 0
	v_add_co_u32 v70, vcc_lo, s8, v6
	s_wait_alu 0xfffd
	v_add_co_ci_u32_e64 v71, null, s9, v7, vcc_lo
	v_add_co_u32 v72, vcc_lo, s10, v6
	s_delay_alu instid0(VALU_DEP_4)
	v_add3_u32 v11, v11, v12, v13
	s_wait_alu 0xfffd
	v_add_co_ci_u32_e64 v73, null, s11, v7, vcc_lo
	v_add_co_u32 v74, vcc_lo, s8, v8
	s_wait_alu 0xfffd
	v_add_co_ci_u32_e64 v75, null, s9, v9, vcc_lo
	v_add_co_u32 v0, vcc_lo, v4, 22
	v_add_co_u32 v76, s3, s10, v8
	v_lshlrev_b64_e32 v[6:7], 1, v[10:11]
	s_wait_alu 0xfffd
	v_add_co_ci_u32_e64 v8, null, 0, v5, vcc_lo
	v_add_co_u32 v10, vcc_lo, v4, 21
	s_wait_alu 0xfffd
	v_add_co_ci_u32_e64 v11, null, 0, v5, vcc_lo
	s_wait_alu 0xf1ff
	v_add_co_ci_u32_e64 v77, null, s11, v9, s3
	v_mul_lo_u32 v12, s7, v0
	v_mul_lo_u32 v13, s6, v8
	v_mad_co_u64_u32 v[8:9], null, s6, v0, 0
	v_mul_lo_u32 v0, s7, v10
	v_mul_lo_u32 v14, s6, v11
	v_mad_co_u64_u32 v[10:11], null, s6, v10, 0
	v_add_co_u32 v78, vcc_lo, s8, v6
	s_wait_alu 0xfffd
	v_add_co_ci_u32_e64 v79, null, s9, v7, vcc_lo
	v_add_co_u32 v80, vcc_lo, s10, v6
	s_wait_alu 0xfffd
	v_add_co_ci_u32_e64 v81, null, s11, v7, vcc_lo
	v_add3_u32 v11, v11, v14, v0
	v_add_co_u32 v0, vcc_lo, v4, 20
	v_add3_u32 v9, v9, v13, v12
	s_wait_alu 0xfffd
	v_add_co_ci_u32_e64 v12, null, 0, v5, vcc_lo
	s_delay_alu instid0(VALU_DEP_3) | instskip(NEXT) | instid1(VALU_DEP_3)
	v_mul_lo_u32 v13, s7, v0
	v_lshlrev_b64_e32 v[6:7], 1, v[8:9]
	v_lshlrev_b64_e32 v[8:9], 1, v[10:11]
	s_delay_alu instid0(VALU_DEP_4) | instskip(SKIP_1) | instid1(VALU_DEP_4)
	v_mul_lo_u32 v12, s6, v12
	v_mad_co_u64_u32 v[10:11], null, s6, v0, 0
	v_add_co_u32 v82, vcc_lo, s8, v6
	s_wait_alu 0xfffd
	v_add_co_ci_u32_e64 v83, null, s9, v7, vcc_lo
	v_add_co_u32 v84, vcc_lo, s10, v6
	s_delay_alu instid0(VALU_DEP_4)
	v_add3_u32 v11, v11, v12, v13
	s_wait_alu 0xfffd
	v_add_co_ci_u32_e64 v85, null, s11, v7, vcc_lo
	v_add_co_u32 v86, vcc_lo, s8, v8
	s_wait_alu 0xfffd
	v_add_co_ci_u32_e64 v87, null, s9, v9, vcc_lo
	v_add_co_u32 v0, vcc_lo, v4, 19
	v_add_co_u32 v88, s3, s10, v8
	v_lshlrev_b64_e32 v[6:7], 1, v[10:11]
	s_wait_alu 0xfffd
	v_add_co_ci_u32_e64 v8, null, 0, v5, vcc_lo
	v_add_co_u32 v10, vcc_lo, v4, 18
	s_wait_alu 0xfffd
	v_add_co_ci_u32_e64 v11, null, 0, v5, vcc_lo
	s_wait_alu 0xf1ff
	v_add_co_ci_u32_e64 v89, null, s11, v9, s3
	v_mul_lo_u32 v12, s7, v0
	v_mul_lo_u32 v13, s6, v8
	v_mad_co_u64_u32 v[8:9], null, s6, v0, 0
	v_mul_lo_u32 v0, s7, v10
	v_mul_lo_u32 v14, s6, v11
	v_mad_co_u64_u32 v[10:11], null, s6, v10, 0
	v_add_co_u32 v90, vcc_lo, s8, v6
	s_wait_alu 0xfffd
	v_add_co_ci_u32_e64 v91, null, s9, v7, vcc_lo
	v_add_co_u32 v92, vcc_lo, s10, v6
	v_add3_u32 v9, v9, v13, v12
	s_wait_alu 0xfffd
	v_add_co_ci_u32_e64 v93, null, s11, v7, vcc_lo
	v_add_co_u32 v12, vcc_lo, v4, 17
	v_add3_u32 v11, v11, v14, v0
	s_wait_alu 0xfffd
	v_add_co_ci_u32_e64 v13, null, 0, v5, vcc_lo
	v_lshlrev_b64_e32 v[6:7], 1, v[8:9]
	v_mul_lo_u32 v14, s7, v12
	v_lshlrev_b64_e32 v[8:9], 1, v[10:11]
	s_delay_alu instid0(VALU_DEP_4)
	v_mul_lo_u32 v13, s6, v13
	v_mad_co_u64_u32 v[10:11], null, s6, v12, 0
	v_add_co_u32 v0, vcc_lo, s8, v6
	s_wait_alu 0xfffd
	v_add_co_ci_u32_e64 v94, null, s9, v7, vcc_lo
	v_add_co_u32 v95, vcc_lo, s10, v6
	s_delay_alu instid0(VALU_DEP_4)
	v_add3_u32 v11, v11, v13, v14
	s_wait_alu 0xfffd
	v_add_co_ci_u32_e64 v96, null, s11, v7, vcc_lo
	v_add_co_u32 v97, vcc_lo, s8, v8
	s_wait_alu 0xfffd
	v_add_co_ci_u32_e64 v98, null, s9, v9, vcc_lo
	v_add_co_u32 v12, vcc_lo, v4, 16
	v_add_co_u32 v99, s3, s10, v8
	v_lshlrev_b64_e32 v[6:7], 1, v[10:11]
	s_wait_alu 0xfffd
	v_add_co_ci_u32_e64 v8, null, 0, v5, vcc_lo
	v_add_co_u32 v10, vcc_lo, v4, 15
	s_wait_alu 0xfffd
	v_add_co_ci_u32_e64 v11, null, 0, v5, vcc_lo
	s_wait_alu 0xf1ff
	v_add_co_ci_u32_e64 v100, null, s11, v9, s3
	v_mul_lo_u32 v13, s7, v12
	v_mul_lo_u32 v14, s6, v8
	v_mad_co_u64_u32 v[8:9], null, s6, v12, 0
	v_mul_lo_u32 v12, s7, v10
	v_mul_lo_u32 v15, s6, v11
	v_mad_co_u64_u32 v[10:11], null, s6, v10, 0
	v_add_co_u32 v101, vcc_lo, s8, v6
	s_wait_alu 0xfffd
	v_add_co_ci_u32_e64 v102, null, s9, v7, vcc_lo
	v_add_co_u32 v103, vcc_lo, s10, v6
	s_wait_alu 0xfffd
	v_add_co_ci_u32_e64 v104, null, s11, v7, vcc_lo
	v_add3_u32 v11, v11, v15, v12
	v_add_co_u32 v12, vcc_lo, v4, 14
	v_add3_u32 v9, v9, v14, v13
	s_wait_alu 0xfffd
	v_add_co_ci_u32_e64 v13, null, 0, v5, vcc_lo
	s_delay_alu instid0(VALU_DEP_3) | instskip(NEXT) | instid1(VALU_DEP_3)
	v_mul_lo_u32 v14, s7, v12
	v_lshlrev_b64_e32 v[6:7], 1, v[8:9]
	v_lshlrev_b64_e32 v[8:9], 1, v[10:11]
	s_delay_alu instid0(VALU_DEP_4) | instskip(SKIP_1) | instid1(VALU_DEP_4)
	v_mul_lo_u32 v13, s6, v13
	v_mad_co_u64_u32 v[10:11], null, s6, v12, 0
	v_add_co_u32 v105, vcc_lo, s8, v6
	s_wait_alu 0xfffd
	v_add_co_ci_u32_e64 v106, null, s9, v7, vcc_lo
	v_add_co_u32 v107, vcc_lo, s10, v6
	s_delay_alu instid0(VALU_DEP_4)
	v_add3_u32 v11, v11, v13, v14
	s_wait_alu 0xfffd
	v_add_co_ci_u32_e64 v108, null, s11, v7, vcc_lo
	v_add_co_u32 v109, vcc_lo, s8, v8
	s_wait_alu 0xfffd
	v_add_co_ci_u32_e64 v110, null, s9, v9, vcc_lo
	v_add_co_u32 v12, vcc_lo, v4, 13
	v_add_co_u32 v111, s3, s10, v8
	v_lshlrev_b64_e32 v[6:7], 1, v[10:11]
	s_wait_alu 0xfffd
	v_add_co_ci_u32_e64 v8, null, 0, v5, vcc_lo
	v_add_co_u32 v10, vcc_lo, v4, 12
	s_wait_alu 0xfffd
	v_add_co_ci_u32_e64 v11, null, 0, v5, vcc_lo
	s_wait_alu 0xf1ff
	v_add_co_ci_u32_e64 v112, null, s11, v9, s3
	v_mul_lo_u32 v13, s7, v12
	v_mul_lo_u32 v14, s6, v8
	v_mad_co_u64_u32 v[8:9], null, s6, v12, 0
	v_mul_lo_u32 v12, s7, v10
	v_mul_lo_u32 v15, s6, v11
	v_mad_co_u64_u32 v[10:11], null, s6, v10, 0
	v_add_co_u32 v113, vcc_lo, s8, v6
	s_wait_alu 0xfffd
	v_add_co_ci_u32_e64 v114, null, s9, v7, vcc_lo
	v_add_co_u32 v115, vcc_lo, s10, v6
	s_wait_alu 0xfffd
	v_add_co_ci_u32_e64 v116, null, s11, v7, vcc_lo
	v_add3_u32 v11, v11, v15, v12
	v_add_co_u32 v12, vcc_lo, v4, 11
	v_add3_u32 v9, v9, v14, v13
	s_wait_alu 0xfffd
	v_add_co_ci_u32_e64 v13, null, 0, v5, vcc_lo
	s_delay_alu instid0(VALU_DEP_3) | instskip(NEXT) | instid1(VALU_DEP_3)
	v_mul_lo_u32 v14, s7, v12
	v_lshlrev_b64_e32 v[6:7], 1, v[8:9]
	v_lshlrev_b64_e32 v[8:9], 1, v[10:11]
	s_delay_alu instid0(VALU_DEP_4) | instskip(SKIP_1) | instid1(VALU_DEP_4)
	v_mul_lo_u32 v13, s6, v13
	v_mad_co_u64_u32 v[10:11], null, s6, v12, 0
	v_add_co_u32 v117, vcc_lo, s8, v6
	s_wait_alu 0xfffd
	v_add_co_ci_u32_e64 v118, null, s9, v7, vcc_lo
	v_add_co_u32 v119, vcc_lo, s10, v6
	s_delay_alu instid0(VALU_DEP_4)
	v_add3_u32 v11, v11, v13, v14
	s_wait_alu 0xfffd
	v_add_co_ci_u32_e64 v120, null, s11, v7, vcc_lo
	v_add_co_u32 v121, vcc_lo, s8, v8
	s_wait_alu 0xfffd
	v_add_co_ci_u32_e64 v122, null, s9, v9, vcc_lo
	v_add_co_u32 v12, vcc_lo, v4, 10
	v_add_co_u32 v123, s3, s10, v8
	v_lshlrev_b64_e32 v[6:7], 1, v[10:11]
	s_wait_alu 0xfffd
	v_add_co_ci_u32_e64 v8, null, 0, v5, vcc_lo
	v_add_co_u32 v10, vcc_lo, v4, 9
	s_wait_alu 0xfffd
	v_add_co_ci_u32_e64 v11, null, 0, v5, vcc_lo
	s_wait_alu 0xf1ff
	v_add_co_ci_u32_e64 v124, null, s11, v9, s3
	v_mul_lo_u32 v13, s7, v12
	v_mul_lo_u32 v14, s6, v8
	v_mad_co_u64_u32 v[8:9], null, s6, v12, 0
	v_mul_lo_u32 v12, s7, v10
	v_mul_lo_u32 v15, s6, v11
	v_mad_co_u64_u32 v[10:11], null, s6, v10, 0
	v_add_co_u32 v125, vcc_lo, s8, v6
	s_wait_alu 0xfffd
	v_add_co_ci_u32_e64 v126, null, s9, v7, vcc_lo
	v_add_co_u32 v127, vcc_lo, s10, v6
	v_add3_u32 v9, v9, v14, v13
	s_wait_alu 0xfffd
	v_add_co_ci_u32_e64 v128, null, s11, v7, vcc_lo
	v_add3_u32 v11, v11, v15, v12
	v_add_co_u32 v12, vcc_lo, v4, 8
	s_wait_alu 0xfffd
	v_add_co_ci_u32_e64 v13, null, 0, v5, vcc_lo
	v_lshlrev_b64_e32 v[6:7], 1, v[8:9]
	v_lshlrev_b64_e32 v[8:9], 1, v[10:11]
	v_mul_lo_u32 v14, s7, v12
	s_delay_alu instid0(VALU_DEP_4)
	v_mul_lo_u32 v13, s6, v13
	v_mad_co_u64_u32 v[10:11], null, s6, v12, 0
	v_add_co_u32 v129, vcc_lo, s8, v6
	s_wait_alu 0xfffd
	v_add_co_ci_u32_e64 v130, null, s9, v7, vcc_lo
	v_add_co_u32 v131, vcc_lo, s10, v6
	s_wait_alu 0xfffd
	v_add_co_ci_u32_e64 v132, null, s11, v7, vcc_lo
	v_add_co_u32 v133, vcc_lo, s8, v8
	v_add3_u32 v11, v11, v13, v14
	s_wait_alu 0xfffd
	v_add_co_ci_u32_e64 v134, null, s9, v9, vcc_lo
	v_add_co_u32 v12, vcc_lo, v4, 7
	v_add_co_u32 v135, s3, s10, v8
	s_wait_alu 0xfffd
	v_add_co_ci_u32_e64 v8, null, 0, v5, vcc_lo
	v_lshlrev_b64_e32 v[6:7], 1, v[10:11]
	v_add_co_u32 v10, vcc_lo, v4, 6
	s_wait_alu 0xfffd
	v_add_co_ci_u32_e64 v11, null, 0, v5, vcc_lo
	s_wait_alu 0xf1ff
	v_add_co_ci_u32_e64 v136, null, s11, v9, s3
	v_mul_lo_u32 v13, s7, v12
	v_mul_lo_u32 v14, s6, v8
	v_mad_co_u64_u32 v[8:9], null, s6, v12, 0
	v_mul_lo_u32 v12, s7, v10
	v_mul_lo_u32 v15, s6, v11
	v_mad_co_u64_u32 v[10:11], null, s6, v10, 0
	v_add_co_u32 v137, vcc_lo, s8, v6
	v_add3_u32 v9, v9, v14, v13
	s_wait_alu 0xfffd
	v_add_co_ci_u32_e64 v138, null, s9, v7, vcc_lo
	v_add_co_u32 v139, vcc_lo, s10, v6
	s_wait_alu 0xfffd
	v_add_co_ci_u32_e64 v140, null, s11, v7, vcc_lo
	v_add3_u32 v11, v11, v15, v12
	v_add_co_u32 v12, vcc_lo, v4, 5
	v_lshlrev_b64_e32 v[6:7], 1, v[8:9]
	s_wait_alu 0xfffd
	v_add_co_ci_u32_e64 v13, null, 0, v5, vcc_lo
	v_lshlrev_b64_e32 v[8:9], 1, v[10:11]
	v_mul_lo_u32 v14, s7, v12
	v_mad_co_u64_u32 v[10:11], null, s6, v12, 0
	v_add_co_u32 v141, vcc_lo, s8, v6
	v_mul_lo_u32 v13, s6, v13
	s_wait_alu 0xfffd
	v_add_co_ci_u32_e64 v142, null, s9, v7, vcc_lo
	v_add_co_u32 v143, vcc_lo, s10, v6
	s_wait_alu 0xfffd
	v_add_co_ci_u32_e64 v144, null, s11, v7, vcc_lo
	v_add_co_u32 v145, vcc_lo, s8, v8
	;; [unrolled: 3-line block ×3, first 2 shown]
	v_add3_u32 v11, v11, v13, v14
	v_add_co_u32 v147, s3, s10, v8
	s_wait_alu 0xfffd
	v_add_co_ci_u32_e64 v8, null, 0, v5, vcc_lo
	s_wait_alu 0xf1ff
	v_add_co_ci_u32_e64 v148, null, s11, v9, s3
	v_lshlrev_b64_e32 v[6:7], 1, v[10:11]
	v_mul_lo_u32 v13, s7, v12
	v_add_co_u32 v10, vcc_lo, v4, 3
	v_mul_lo_u32 v14, s6, v8
	v_mad_co_u64_u32 v[8:9], null, s6, v12, 0
	s_wait_alu 0xfffd
	v_add_co_ci_u32_e64 v11, null, 0, v5, vcc_lo
	v_mul_lo_u32 v12, s7, v10
	v_add_co_u32 v149, vcc_lo, s8, v6
	s_delay_alu instid0(VALU_DEP_3)
	v_mul_lo_u32 v15, s6, v11
	v_mad_co_u64_u32 v[10:11], null, s6, v10, 0
	v_add3_u32 v9, v9, v14, v13
	s_wait_alu 0xfffd
	v_add_co_ci_u32_e64 v150, null, s9, v7, vcc_lo
	v_add_co_u32 v151, vcc_lo, s10, v6
	s_wait_alu 0xfffd
	v_add_co_ci_u32_e64 v152, null, s11, v7, vcc_lo
	v_lshlrev_b64_e32 v[6:7], 1, v[8:9]
	v_add_co_u32 v8, vcc_lo, v4, 2
	v_add3_u32 v11, v11, v15, v12
	s_wait_alu 0xfffd
	v_add_co_ci_u32_e64 v9, null, 0, v5, vcc_lo
	s_delay_alu instid0(VALU_DEP_4) | instskip(NEXT) | instid1(VALU_DEP_3)
	v_add_co_u32 v153, vcc_lo, s8, v6
	v_lshlrev_b64_e32 v[4:5], 1, v[10:11]
	v_mul_lo_u32 v10, s7, v8
	s_delay_alu instid0(VALU_DEP_4)
	v_mul_lo_u32 v11, s6, v9
	v_mad_co_u64_u32 v[8:9], null, s6, v8, 0
	s_wait_alu 0xfffd
	v_add_co_ci_u32_e64 v154, null, s9, v7, vcc_lo
	v_add_co_u32 v155, vcc_lo, s10, v6
	s_wait_alu 0xfffd
	v_add_co_ci_u32_e64 v156, null, s11, v7, vcc_lo
	v_add_co_u32 v157, vcc_lo, s8, v4
	s_wait_alu 0xfffd
	v_add_co_ci_u32_e64 v158, null, s9, v5, vcc_lo
	v_add3_u32 v9, v9, v11, v10
	v_add_co_u32 v159, vcc_lo, s10, v4
	s_wait_alu 0xfffd
	v_add_co_ci_u32_e64 v160, null, s11, v5, vcc_lo
	v_add_co_u32 v2, vcc_lo, v2, s6
	s_wait_alu 0xfffd
	v_add_co_ci_u32_e64 v3, null, s7, v3, vcc_lo
	v_lshlrev_b64_e32 v[4:5], 1, v[8:9]
	s_delay_alu instid0(VALU_DEP_2) | instskip(NEXT) | instid1(VALU_DEP_2)
	v_lshlrev_b64_e32 v[2:3], 1, v[2:3]
	v_add_co_u32 v161, vcc_lo, s8, v4
	s_wait_alu 0xfffd
	s_delay_alu instid0(VALU_DEP_3)
	v_add_co_ci_u32_e64 v162, null, s9, v5, vcc_lo
	v_add_co_u32 v163, vcc_lo, s10, v4
	s_wait_alu 0xfffd
	v_add_co_ci_u32_e64 v164, null, s11, v5, vcc_lo
	v_add_co_u32 v165, vcc_lo, s8, v2
	s_wait_alu 0xfffd
	;; [unrolled: 3-line block ×3, first 2 shown]
	v_add_co_ci_u32_e64 v168, null, s11, v3, vcc_lo
.LBB166_3:                              ; =>This Inner Loop Header: Depth=1
	s_add_nc_u64 s[30:31], s[14:15], s[24:25]
	v_add_co_u32 v36, vcc_lo, s14, v39
	s_wait_alu 0xfffe
	v_cmp_ge_i64_e64 s3, s[30:31], s[4:5]
	s_wait_alu 0xfffd
	v_add_co_ci_u32_e64 v37, null, 0, v41, vcc_lo
                                        ; implicit-def: $vgpr2_vgpr3_vgpr4_vgpr5_vgpr6_vgpr7_vgpr8_vgpr9_vgpr10_vgpr11_vgpr12_vgpr13_vgpr14_vgpr15_vgpr16_vgpr17_vgpr18_vgpr19_vgpr20_vgpr21_vgpr22_vgpr23_vgpr24_vgpr25_vgpr26_vgpr27_vgpr28_vgpr29_vgpr30_vgpr31_vgpr32_vgpr33
                                        ; implicit-def: $vgpr202
                                        ; implicit-def: $vgpr196
                                        ; implicit-def: $vgpr2
	s_and_b32 vcc_lo, exec_lo, s3
	s_mov_b32 s3, -1
	s_wait_alu 0xfffe
	s_cbranch_vccz .LBB166_71
; %bb.4:                                ;   in Loop: Header=BB166_3 Depth=1
	s_load_b32 s3, s[18:19], 0xc
	v_dual_mov_b32 v170, 0 :: v_dual_mov_b32 v171, 0
	s_wait_kmcnt 0x0
	s_and_b32 s3, s3, 0xffff
	s_wait_alu 0xfffe
	v_mad_u32_u24 v2, v38, s3, v40
	s_mov_b32 s3, exec_lo
	s_delay_alu instid0(VALU_DEP_1) | instskip(NEXT) | instid1(VALU_DEP_1)
	v_and_b32_e32 v2, 31, v2
	v_add_co_u32 v2, vcc_lo, v36, v2
	s_wait_alu 0xfffd
	v_add_co_ci_u32_e64 v3, null, 0, v37, vcc_lo
	s_delay_alu instid0(VALU_DEP_1)
	v_cmpx_gt_i64_e64 s[4:5], v[2:3]
	s_cbranch_execz .LBB166_6
; %bb.5:                                ;   in Loop: Header=BB166_3 Depth=1
	v_lshlrev_b64_e32 v[2:3], 2, v[2:3]
	s_delay_alu instid0(VALU_DEP_1) | instskip(SKIP_1) | instid1(VALU_DEP_2)
	v_add_co_u32 v2, vcc_lo, s12, v2
	s_wait_alu 0xfffd
	v_add_co_ci_u32_e64 v3, null, s13, v3, vcc_lo
	global_load_b32 v170, v[2:3], off
.LBB166_6:                              ;   in Loop: Header=BB166_3 Depth=1
	s_wait_alu 0xfffe
	s_or_b32 exec_lo, exec_lo, s3
	v_mov_b32_e32 v32, v1
	v_cmp_gt_i64_e32 vcc_lo, s[4:5], v[36:37]
	v_dual_mov_b32 v2, v1 :: v_dual_mov_b32 v3, v1
	v_dual_mov_b32 v4, v1 :: v_dual_mov_b32 v5, v1
	;; [unrolled: 1-line block ×15, first 2 shown]
	v_mov_b32_e32 v33, v32
	s_delay_alu instid0(VALU_DEP_2) | instskip(NEXT) | instid1(VALU_DEP_3)
	v_mov_b32_e32 v32, v31
	v_mov_b32_e32 v31, v30
	;; [unrolled: 1-line block ×31, first 2 shown]
	s_and_b32 s16, s2, vcc_lo
	s_delay_alu instid0(SALU_CYCLE_1)
	s_and_saveexec_b32 s3, s16
	s_cbranch_execz .LBB166_8
; %bb.7:                                ;   in Loop: Header=BB166_3 Depth=1
	v_add_co_u32 v2, vcc_lo, v42, v34
	s_wait_alu 0xfffd
	v_add_co_ci_u32_e64 v3, null, v43, v35, vcc_lo
	v_add_co_u32 v4, vcc_lo, v44, v34
	s_wait_alu 0xfffd
	v_add_co_ci_u32_e64 v5, null, v45, v35, vcc_lo
	global_load_u16 v2, v[2:3], off
	global_load_u16 v171, v[4:5], off
	v_dual_mov_b32 v3, v1 :: v_dual_mov_b32 v4, v1
	v_dual_mov_b32 v5, v1 :: v_dual_mov_b32 v6, v1
	;; [unrolled: 1-line block ×15, first 2 shown]
	v_mov_b32_e32 v33, v1
	s_wait_loadcnt 0x1
	v_cvt_f32_f16_e32 v2, v2
	s_wait_loadcnt 0x0
	v_cvt_f32_f16_e64 v171, v171
.LBB166_8:                              ;   in Loop: Header=BB166_3 Depth=1
	s_wait_alu 0xfffe
	s_or_b32 exec_lo, exec_lo, s3
	v_add_co_u32 v172, vcc_lo, v36, 1
	s_wait_alu 0xfffd
	v_add_co_ci_u32_e64 v173, null, 0, v37, vcc_lo
	s_delay_alu instid0(VALU_DEP_1) | instskip(SKIP_2) | instid1(SALU_CYCLE_1)
	v_cmp_gt_i64_e32 vcc_lo, s[4:5], v[172:173]
	v_dual_mov_b32 v172, 0 :: v_dual_mov_b32 v173, 0
	s_and_b32 s16, s2, vcc_lo
	s_and_saveexec_b32 s3, s16
	s_cbranch_execz .LBB166_10
; %bb.9:                                ;   in Loop: Header=BB166_3 Depth=1
	v_add_co_u32 v173, vcc_lo, v165, v34
	s_wait_alu 0xfffd
	v_add_co_ci_u32_e64 v174, null, v166, v35, vcc_lo
	v_add_co_u32 v175, vcc_lo, v167, v34
	s_wait_alu 0xfffd
	v_add_co_ci_u32_e64 v176, null, v168, v35, vcc_lo
	global_load_u16 v3, v[173:174], off
	global_load_u16 v173, v[175:176], off
	s_wait_loadcnt 0x1
	v_cvt_f32_f16_e32 v3, v3
	s_wait_loadcnt 0x0
	v_cvt_f32_f16_e64 v173, v173
.LBB166_10:                             ;   in Loop: Header=BB166_3 Depth=1
	s_wait_alu 0xfffe
	s_or_b32 exec_lo, exec_lo, s3
	v_add_co_u32 v174, vcc_lo, v36, 2
	s_wait_alu 0xfffd
	v_add_co_ci_u32_e64 v175, null, 0, v37, vcc_lo
	s_delay_alu instid0(VALU_DEP_1) | instskip(SKIP_1) | instid1(SALU_CYCLE_1)
	v_cmp_gt_i64_e32 vcc_lo, s[4:5], v[174:175]
	s_and_b32 s16, s2, vcc_lo
	s_and_saveexec_b32 s3, s16
	s_cbranch_execz .LBB166_12
; %bb.11:                               ;   in Loop: Header=BB166_3 Depth=1
	v_add_co_u32 v174, vcc_lo, v161, v34
	s_wait_alu 0xfffd
	v_add_co_ci_u32_e64 v175, null, v162, v35, vcc_lo
	v_add_co_u32 v176, vcc_lo, v163, v34
	s_wait_alu 0xfffd
	v_add_co_ci_u32_e64 v177, null, v164, v35, vcc_lo
	global_load_u16 v4, v[174:175], off
	global_load_u16 v172, v[176:177], off
	s_wait_loadcnt 0x1
	v_cvt_f32_f16_e32 v4, v4
	s_wait_loadcnt 0x0
	v_cvt_f32_f16_e64 v172, v172
.LBB166_12:                             ;   in Loop: Header=BB166_3 Depth=1
	s_wait_alu 0xfffe
	s_or_b32 exec_lo, exec_lo, s3
	v_add_co_u32 v174, vcc_lo, v36, 3
	s_wait_alu 0xfffd
	v_add_co_ci_u32_e64 v175, null, 0, v37, vcc_lo
	s_delay_alu instid0(VALU_DEP_1) | instskip(SKIP_2) | instid1(SALU_CYCLE_1)
	v_cmp_gt_i64_e32 vcc_lo, s[4:5], v[174:175]
	v_dual_mov_b32 v174, 0 :: v_dual_mov_b32 v175, 0
	s_and_b32 s16, s2, vcc_lo
	s_and_saveexec_b32 s3, s16
	s_cbranch_execz .LBB166_14
; %bb.13:                               ;   in Loop: Header=BB166_3 Depth=1
	v_add_co_u32 v175, vcc_lo, v157, v34
	s_wait_alu 0xfffd
	v_add_co_ci_u32_e64 v176, null, v158, v35, vcc_lo
	v_add_co_u32 v177, vcc_lo, v159, v34
	s_wait_alu 0xfffd
	v_add_co_ci_u32_e64 v178, null, v160, v35, vcc_lo
	global_load_u16 v5, v[175:176], off
	global_load_u16 v175, v[177:178], off
	s_wait_loadcnt 0x1
	v_cvt_f32_f16_e32 v5, v5
	s_wait_loadcnt 0x0
	v_cvt_f32_f16_e64 v175, v175
.LBB166_14:                             ;   in Loop: Header=BB166_3 Depth=1
	s_wait_alu 0xfffe
	s_or_b32 exec_lo, exec_lo, s3
	v_add_co_u32 v176, vcc_lo, v36, 4
	s_wait_alu 0xfffd
	v_add_co_ci_u32_e64 v177, null, 0, v37, vcc_lo
	s_delay_alu instid0(VALU_DEP_1) | instskip(SKIP_1) | instid1(SALU_CYCLE_1)
	v_cmp_gt_i64_e32 vcc_lo, s[4:5], v[176:177]
	s_and_b32 s16, s2, vcc_lo
	s_and_saveexec_b32 s3, s16
	s_cbranch_execz .LBB166_16
; %bb.15:                               ;   in Loop: Header=BB166_3 Depth=1
	v_add_co_u32 v176, vcc_lo, v153, v34
	s_wait_alu 0xfffd
	v_add_co_ci_u32_e64 v177, null, v154, v35, vcc_lo
	v_add_co_u32 v178, vcc_lo, v155, v34
	s_wait_alu 0xfffd
	v_add_co_ci_u32_e64 v179, null, v156, v35, vcc_lo
	global_load_u16 v6, v[176:177], off
	global_load_u16 v174, v[178:179], off
	s_wait_loadcnt 0x1
	v_cvt_f32_f16_e32 v6, v6
	s_wait_loadcnt 0x0
	v_cvt_f32_f16_e64 v174, v174
.LBB166_16:                             ;   in Loop: Header=BB166_3 Depth=1
	s_wait_alu 0xfffe
	s_or_b32 exec_lo, exec_lo, s3
	v_add_co_u32 v176, vcc_lo, v36, 5
	s_wait_alu 0xfffd
	v_add_co_ci_u32_e64 v177, null, 0, v37, vcc_lo
	s_delay_alu instid0(VALU_DEP_1) | instskip(SKIP_2) | instid1(SALU_CYCLE_1)
	v_cmp_gt_i64_e32 vcc_lo, s[4:5], v[176:177]
	v_dual_mov_b32 v176, 0 :: v_dual_mov_b32 v177, 0
	s_and_b32 s16, s2, vcc_lo
	s_and_saveexec_b32 s3, s16
	s_cbranch_execz .LBB166_18
; %bb.17:                               ;   in Loop: Header=BB166_3 Depth=1
	v_add_co_u32 v177, vcc_lo, v149, v34
	s_wait_alu 0xfffd
	v_add_co_ci_u32_e64 v178, null, v150, v35, vcc_lo
	v_add_co_u32 v179, vcc_lo, v151, v34
	s_wait_alu 0xfffd
	v_add_co_ci_u32_e64 v180, null, v152, v35, vcc_lo
	global_load_u16 v7, v[177:178], off
	global_load_u16 v177, v[179:180], off
	s_wait_loadcnt 0x1
	v_cvt_f32_f16_e32 v7, v7
	s_wait_loadcnt 0x0
	v_cvt_f32_f16_e64 v177, v177
.LBB166_18:                             ;   in Loop: Header=BB166_3 Depth=1
	;; [unrolled: 49-line block ×11, first 2 shown]
	s_wait_alu 0xfffe
	s_or_b32 exec_lo, exec_lo, s3
	v_add_co_u32 v196, vcc_lo, v36, 24
	s_wait_alu 0xfffd
	v_add_co_ci_u32_e64 v197, null, 0, v37, vcc_lo
	s_delay_alu instid0(VALU_DEP_1) | instskip(SKIP_1) | instid1(SALU_CYCLE_1)
	v_cmp_gt_i64_e32 vcc_lo, s[4:5], v[196:197]
	s_and_b32 s16, s2, vcc_lo
	s_and_saveexec_b32 s3, s16
	s_cbranch_execz .LBB166_56
; %bb.55:                               ;   in Loop: Header=BB166_3 Depth=1
	v_add_co_u32 v196, vcc_lo, v74, v34
	s_wait_alu 0xfffd
	v_add_co_ci_u32_e64 v197, null, v75, v35, vcc_lo
	v_add_co_u32 v198, vcc_lo, v76, v34
	s_wait_alu 0xfffd
	v_add_co_ci_u32_e64 v199, null, v77, v35, vcc_lo
	global_load_u16 v26, v[196:197], off
	global_load_u16 v194, v[198:199], off
	s_wait_loadcnt 0x1
	v_cvt_f32_f16_e32 v26, v26
	s_wait_loadcnt 0x0
	v_cvt_f32_f16_e64 v194, v194
.LBB166_56:                             ;   in Loop: Header=BB166_3 Depth=1
	s_wait_alu 0xfffe
	s_or_b32 exec_lo, exec_lo, s3
	v_add_co_u32 v196, vcc_lo, v36, 25
	s_wait_alu 0xfffd
	v_add_co_ci_u32_e64 v197, null, 0, v37, vcc_lo
	v_mov_b32_e32 v198, 0
	s_delay_alu instid0(VALU_DEP_2) | instskip(SKIP_2) | instid1(SALU_CYCLE_1)
	v_cmp_gt_i64_e32 vcc_lo, s[4:5], v[196:197]
	v_mov_b32_e32 v197, 0
	s_and_b32 s16, s2, vcc_lo
	s_and_saveexec_b32 s3, s16
	s_cbranch_execz .LBB166_58
; %bb.57:                               ;   in Loop: Header=BB166_3 Depth=1
	v_add_co_u32 v198, vcc_lo, v70, v34
	s_wait_alu 0xfffd
	v_add_co_ci_u32_e64 v199, null, v71, v35, vcc_lo
	v_add_co_u32 v200, vcc_lo, v72, v34
	s_wait_alu 0xfffd
	v_add_co_ci_u32_e64 v201, null, v73, v35, vcc_lo
	global_load_u16 v27, v[198:199], off
	global_load_u16 v196, v[200:201], off
	s_wait_loadcnt 0x1
	v_cvt_f32_f16_e32 v27, v27
	s_wait_loadcnt 0x0
	v_cvt_f32_f16_e64 v198, v196
.LBB166_58:                             ;   in Loop: Header=BB166_3 Depth=1
	s_wait_alu 0xfffe
	s_or_b32 exec_lo, exec_lo, s3
	v_add_co_u32 v199, vcc_lo, v36, 26
	s_wait_alu 0xfffd
	v_add_co_ci_u32_e64 v200, null, 0, v37, vcc_lo
	s_delay_alu instid0(VALU_DEP_1) | instskip(SKIP_1) | instid1(SALU_CYCLE_1)
	v_cmp_gt_i64_e32 vcc_lo, s[4:5], v[199:200]
	s_and_b32 s16, s2, vcc_lo
	s_and_saveexec_b32 s3, s16
	s_cbranch_execz .LBB166_60
; %bb.59:                               ;   in Loop: Header=BB166_3 Depth=1
	v_add_co_u32 v196, vcc_lo, v66, v34
	s_wait_alu 0xfffd
	v_add_co_ci_u32_e64 v197, null, v67, v35, vcc_lo
	v_add_co_u32 v199, vcc_lo, v68, v34
	s_wait_alu 0xfffd
	v_add_co_ci_u32_e64 v200, null, v69, v35, vcc_lo
	global_load_u16 v28, v[196:197], off
	global_load_u16 v196, v[199:200], off
	s_wait_loadcnt 0x1
	v_cvt_f32_f16_e32 v28, v28
	s_wait_loadcnt 0x0
	v_cvt_f32_f16_e64 v197, v196
.LBB166_60:                             ;   in Loop: Header=BB166_3 Depth=1
	s_wait_alu 0xfffe
	s_or_b32 exec_lo, exec_lo, s3
	v_add_co_u32 v199, vcc_lo, v36, 27
	s_wait_alu 0xfffd
	v_add_co_ci_u32_e64 v200, null, 0, v37, vcc_lo
	s_delay_alu instid0(VALU_DEP_1) | instskip(SKIP_2) | instid1(SALU_CYCLE_1)
	v_cmp_gt_i64_e32 vcc_lo, s[4:5], v[199:200]
	v_dual_mov_b32 v199, 0 :: v_dual_mov_b32 v200, 0
	s_and_b32 s16, s2, vcc_lo
	s_and_saveexec_b32 s3, s16
	s_cbranch_execz .LBB166_62
; %bb.61:                               ;   in Loop: Header=BB166_3 Depth=1
	v_add_co_u32 v200, vcc_lo, v62, v34
	s_wait_alu 0xfffd
	v_add_co_ci_u32_e64 v201, null, v63, v35, vcc_lo
	v_add_co_u32 v202, vcc_lo, v64, v34
	s_wait_alu 0xfffd
	v_add_co_ci_u32_e64 v203, null, v65, v35, vcc_lo
	global_load_u16 v29, v[200:201], off
	global_load_u16 v196, v[202:203], off
	s_wait_loadcnt 0x1
	v_cvt_f32_f16_e32 v29, v29
	s_wait_loadcnt 0x0
	v_cvt_f32_f16_e64 v200, v196
.LBB166_62:                             ;   in Loop: Header=BB166_3 Depth=1
	s_wait_alu 0xfffe
	s_or_b32 exec_lo, exec_lo, s3
	v_add_co_u32 v201, vcc_lo, v36, 28
	s_wait_alu 0xfffd
	v_add_co_ci_u32_e64 v202, null, 0, v37, vcc_lo
	s_delay_alu instid0(VALU_DEP_1) | instskip(SKIP_1) | instid1(SALU_CYCLE_1)
	v_cmp_gt_i64_e32 vcc_lo, s[4:5], v[201:202]
	s_and_b32 s16, s2, vcc_lo
	s_and_saveexec_b32 s3, s16
	s_cbranch_execz .LBB166_64
; %bb.63:                               ;   in Loop: Header=BB166_3 Depth=1
	v_add_co_u32 v201, vcc_lo, v58, v34
	s_wait_alu 0xfffd
	v_add_co_ci_u32_e64 v202, null, v59, v35, vcc_lo
	v_add_co_u32 v203, vcc_lo, v60, v34
	s_wait_alu 0xfffd
	v_add_co_ci_u32_e64 v204, null, v61, v35, vcc_lo
	global_load_u16 v30, v[201:202], off
	global_load_u16 v196, v[203:204], off
	s_wait_loadcnt 0x1
	v_cvt_f32_f16_e32 v30, v30
	s_wait_loadcnt 0x0
	v_cvt_f32_f16_e64 v199, v196
.LBB166_64:                             ;   in Loop: Header=BB166_3 Depth=1
	s_wait_alu 0xfffe
	s_or_b32 exec_lo, exec_lo, s3
	v_add_co_u32 v201, vcc_lo, v36, 29
	s_wait_alu 0xfffd
	v_add_co_ci_u32_e64 v202, null, 0, v37, vcc_lo
	v_mov_b32_e32 v203, 0
	s_delay_alu instid0(VALU_DEP_2) | instskip(SKIP_2) | instid1(SALU_CYCLE_1)
	v_cmp_gt_i64_e32 vcc_lo, s[4:5], v[201:202]
	v_mov_b32_e32 v201, 0
	s_and_b32 s16, s2, vcc_lo
	s_and_saveexec_b32 s3, s16
	s_cbranch_execz .LBB166_66
; %bb.65:                               ;   in Loop: Header=BB166_3 Depth=1
	v_add_co_u32 v202, vcc_lo, v54, v34
	s_wait_alu 0xfffd
	v_add_co_ci_u32_e64 v203, null, v55, v35, vcc_lo
	v_add_co_u32 v204, vcc_lo, v56, v34
	s_wait_alu 0xfffd
	v_add_co_ci_u32_e64 v205, null, v57, v35, vcc_lo
	global_load_u16 v31, v[202:203], off
	global_load_u16 v196, v[204:205], off
	s_wait_loadcnt 0x1
	v_cvt_f32_f16_e32 v31, v31
	s_wait_loadcnt 0x0
	v_cvt_f32_f16_e64 v203, v196
.LBB166_66:                             ;   in Loop: Header=BB166_3 Depth=1
	s_wait_alu 0xfffe
	s_or_b32 exec_lo, exec_lo, s3
	v_add_co_u32 v204, vcc_lo, v36, 30
	s_wait_alu 0xfffd
	v_add_co_ci_u32_e64 v205, null, 0, v37, vcc_lo
	s_delay_alu instid0(VALU_DEP_1) | instskip(SKIP_1) | instid1(SALU_CYCLE_1)
	v_cmp_gt_i64_e32 vcc_lo, s[4:5], v[204:205]
	s_and_b32 s16, s2, vcc_lo
	s_and_saveexec_b32 s3, s16
	s_cbranch_execz .LBB166_68
; %bb.67:                               ;   in Loop: Header=BB166_3 Depth=1
	v_add_co_u32 v201, vcc_lo, v50, v34
	s_wait_alu 0xfffd
	v_add_co_ci_u32_e64 v202, null, v51, v35, vcc_lo
	v_add_co_u32 v204, vcc_lo, v52, v34
	s_wait_alu 0xfffd
	v_add_co_ci_u32_e64 v205, null, v53, v35, vcc_lo
	global_load_u16 v32, v[201:202], off
	global_load_u16 v196, v[204:205], off
	s_wait_loadcnt 0x1
	v_cvt_f32_f16_e32 v32, v32
	s_wait_loadcnt 0x0
	v_cvt_f32_f16_e64 v201, v196
.LBB166_68:                             ;   in Loop: Header=BB166_3 Depth=1
	s_wait_alu 0xfffe
	s_or_b32 exec_lo, exec_lo, s3
	v_add_co_u32 v204, vcc_lo, v36, 31
	s_wait_alu 0xfffd
	v_add_co_ci_u32_e64 v205, null, 0, v37, vcc_lo
	v_mov_b32_e32 v196, 0
	s_delay_alu instid0(VALU_DEP_2) | instskip(SKIP_1) | instid1(SALU_CYCLE_1)
	v_cmp_gt_i64_e32 vcc_lo, s[4:5], v[204:205]
	s_and_b32 s16, s2, vcc_lo
	s_and_saveexec_b32 s3, s16
	s_cbranch_execz .LBB166_70
; %bb.69:                               ;   in Loop: Header=BB166_3 Depth=1
	v_add_co_u32 v204, vcc_lo, v46, v34
	s_wait_alu 0xfffd
	v_add_co_ci_u32_e64 v205, null, v47, v35, vcc_lo
	v_add_co_u32 v206, vcc_lo, v48, v34
	s_wait_alu 0xfffd
	v_add_co_ci_u32_e64 v207, null, v49, v35, vcc_lo
	global_load_u16 v33, v[204:205], off
	global_load_u16 v196, v[206:207], off
	s_wait_loadcnt 0x1
	v_cvt_f32_f16_e32 v33, v33
	s_wait_loadcnt 0x0
	v_cvt_f32_f16_e64 v196, v196
.LBB166_70:                             ;   in Loop: Header=BB166_3 Depth=1
	s_wait_alu 0xfffe
	s_or_b32 exec_lo, exec_lo, s3
	s_wait_loadcnt 0x0
	ds_bpermute_b32 v202, v1, v170
	ds_bpermute_b32 v204, v1, v170 offset:4
	ds_bpermute_b32 v205, v1, v170 offset:8
	v_dual_mul_f32 v2, v171, v2 :: v_dual_mul_f32 v3, v173, v3
	ds_bpermute_b32 v171, v1, v170 offset:12
	ds_bpermute_b32 v173, v1, v170 offset:16
	s_mov_b32 s3, 0
	s_wait_dscnt 0x4
	v_fma_f32 v202, v2, v202, v169
	v_mul_f32_e32 v2, v172, v4
	ds_bpermute_b32 v4, v1, v170 offset:20
	s_wait_dscnt 0x4
	v_fmac_f32_e32 v202, v3, v204
	v_mul_f32_e32 v3, v175, v5
	ds_bpermute_b32 v5, v1, v170 offset:24
	s_wait_dscnt 0x4
	v_fmac_f32_e32 v202, v2, v205
	;; [unrolled: 4-line block ×6, first 2 shown]
	v_mul_f32_e32 v2, v178, v10
	ds_bpermute_b32 v5, v1, v170 offset:44
	s_wait_dscnt 0x4
	v_dual_fmac_f32 v202, v3, v6 :: v_dual_mul_f32 v3, v181, v11
	ds_bpermute_b32 v6, v1, v170 offset:48
	s_wait_dscnt 0x4
	v_fmac_f32_e32 v202, v2, v7
	v_mul_f32_e32 v2, v180, v12
	ds_bpermute_b32 v7, v1, v170 offset:52
	s_wait_dscnt 0x4
	v_fmac_f32_e32 v202, v3, v8
	v_mul_f32_e32 v3, v183, v13
	ds_bpermute_b32 v8, v1, v170 offset:56
	s_wait_dscnt 0x4
	v_fmac_f32_e32 v202, v2, v4
	v_mul_f32_e32 v2, v182, v14
	ds_bpermute_b32 v4, v1, v170 offset:60
	s_wait_dscnt 0x4
	v_dual_fmac_f32 v202, v3, v5 :: v_dual_mul_f32 v3, v185, v15
	ds_bpermute_b32 v5, v1, v170 offset:64
	s_wait_dscnt 0x4
	v_fmac_f32_e32 v202, v2, v6
	v_mul_f32_e32 v2, v184, v16
	ds_bpermute_b32 v6, v1, v170 offset:68
	s_wait_dscnt 0x4
	v_fmac_f32_e32 v202, v3, v7
	v_mul_f32_e32 v3, v187, v17
	ds_bpermute_b32 v7, v1, v170 offset:72
	s_wait_dscnt 0x4
	v_fmac_f32_e32 v202, v2, v8
	;; [unrolled: 15-line block ×4, first 2 shown]
	v_mul_f32_e32 v2, v194, v26
	ds_bpermute_b32 v6, v1, v170 offset:108
	s_wait_dscnt 0x4
	v_fmac_f32_e32 v202, v3, v7
	v_mul_f32_e32 v3, v198, v27
	ds_bpermute_b32 v7, v1, v170 offset:112
	s_wait_dscnt 0x4
	v_fmac_f32_e32 v202, v2, v8
	v_mul_f32_e32 v2, v197, v28
	ds_bpermute_b32 v8, v1, v170 offset:116
	s_wait_dscnt 0x4
	v_dual_fmac_f32 v202, v3, v4 :: v_dual_mul_f32 v3, v200, v29
	ds_bpermute_b32 v4, v1, v170 offset:120
	s_wait_dscnt 0x4
	v_dual_fmac_f32 v202, v2, v5 :: v_dual_mul_f32 v5, v199, v30
	ds_bpermute_b32 v2, v1, v170 offset:124
	s_wait_dscnt 0x4
	v_fmac_f32_e32 v202, v3, v6
	v_mul_f32_e32 v3, v203, v31
	s_wait_dscnt 0x3
	s_delay_alu instid0(VALU_DEP_2) | instskip(SKIP_1) | instid1(VALU_DEP_1)
	v_fmac_f32_e32 v202, v5, v7
	s_wait_dscnt 0x2
	v_fmac_f32_e32 v202, v3, v8
	v_mul_f32_e32 v3, v201, v32
	s_wait_dscnt 0x1
	s_delay_alu instid0(VALU_DEP_1)
	v_fmac_f32_e32 v202, v3, v4
.LBB166_71:                             ;   in Loop: Header=BB166_3 Depth=1
	s_wait_alu 0xfffe
	s_and_b32 vcc_lo, exec_lo, s3
	s_wait_alu 0xfffe
	s_cbranch_vccz .LBB166_137
; %bb.72:                               ;   in Loop: Header=BB166_3 Depth=1
	s_load_b32 s3, s[18:19], 0x0
	s_wait_kmcnt 0x0
	s_cmp_lt_u32 ttmp9, s3
	s_cselect_b32 s16, 12, 18
	s_delay_alu instid0(SALU_CYCLE_1)
	s_add_nc_u64 s[30:31], s[18:19], s[16:17]
	s_load_u16 s3, s[30:31], 0x0
	s_wait_dscnt 0x0
	s_wait_kmcnt 0x0
	v_mad_u32_u24 v2, v38, s3, v40
	s_mov_b32 s3, exec_lo
	s_delay_alu instid0(VALU_DEP_1) | instskip(NEXT) | instid1(VALU_DEP_1)
	v_and_b32_e32 v2, 31, v2
	v_add_co_u32 v2, vcc_lo, v36, v2
	s_wait_alu 0xfffd
	v_add_co_ci_u32_e64 v3, null, 0, v37, vcc_lo
	v_dual_mov_b32 v37, 0 :: v_dual_mov_b32 v36, 0
	s_delay_alu instid0(VALU_DEP_2)
	v_cmpx_gt_i64_e64 s[4:5], v[2:3]
	s_cbranch_execz .LBB166_74
; %bb.73:                               ;   in Loop: Header=BB166_3 Depth=1
	v_lshlrev_b64_e32 v[2:3], 2, v[2:3]
	s_delay_alu instid0(VALU_DEP_1) | instskip(SKIP_1) | instid1(VALU_DEP_2)
	v_add_co_u32 v2, vcc_lo, s12, v2
	s_wait_alu 0xfffd
	v_add_co_ci_u32_e64 v3, null, s13, v3, vcc_lo
	global_load_b32 v36, v[2:3], off
.LBB166_74:                             ;   in Loop: Header=BB166_3 Depth=1
	s_wait_alu 0xfffe
	s_or_b32 exec_lo, exec_lo, s3
	v_mov_b32_e32 v32, v1
	v_dual_mov_b32 v2, v1 :: v_dual_mov_b32 v3, v1
	v_dual_mov_b32 v4, v1 :: v_dual_mov_b32 v5, v1
	;; [unrolled: 1-line block ×15, first 2 shown]
	v_mov_b32_e32 v33, v32
	s_delay_alu instid0(VALU_DEP_2) | instskip(NEXT) | instid1(VALU_DEP_3)
	v_mov_b32_e32 v32, v31
	v_mov_b32_e32 v31, v30
	;; [unrolled: 1-line block ×31, first 2 shown]
	s_and_saveexec_b32 s3, s2
	s_cbranch_execz .LBB166_76
; %bb.75:                               ;   in Loop: Header=BB166_3 Depth=1
	v_add_co_u32 v2, vcc_lo, v42, v34
	s_wait_alu 0xfffd
	v_add_co_ci_u32_e64 v3, null, v43, v35, vcc_lo
	v_add_co_u32 v4, vcc_lo, v44, v34
	s_wait_alu 0xfffd
	v_add_co_ci_u32_e64 v5, null, v45, v35, vcc_lo
	global_load_u16 v2, v[2:3], off
	global_load_u16 v37, v[4:5], off
	v_dual_mov_b32 v3, v1 :: v_dual_mov_b32 v4, v1
	v_dual_mov_b32 v5, v1 :: v_dual_mov_b32 v6, v1
	;; [unrolled: 1-line block ×15, first 2 shown]
	v_mov_b32_e32 v33, v1
	s_wait_loadcnt 0x1
	v_cvt_f32_f16_e32 v2, v2
	s_wait_loadcnt 0x0
	v_cvt_f32_f16_e32 v37, v37
.LBB166_76:                             ;   in Loop: Header=BB166_3 Depth=1
	s_wait_alu 0xfffe
	s_or_b32 exec_lo, exec_lo, s3
	v_dual_mov_b32 v170, 0 :: v_dual_mov_b32 v171, 0
	s_and_saveexec_b32 s3, s2
	s_cbranch_execz .LBB166_78
; %bb.77:                               ;   in Loop: Header=BB166_3 Depth=1
	v_add_co_u32 v171, vcc_lo, v165, v34
	s_wait_alu 0xfffd
	v_add_co_ci_u32_e64 v172, null, v166, v35, vcc_lo
	v_add_co_u32 v173, vcc_lo, v167, v34
	s_wait_alu 0xfffd
	v_add_co_ci_u32_e64 v174, null, v168, v35, vcc_lo
	global_load_u16 v3, v[171:172], off
	global_load_u16 v171, v[173:174], off
	s_wait_loadcnt 0x1
	v_cvt_f32_f16_e32 v3, v3
	s_wait_loadcnt 0x0
	v_cvt_f32_f16_e64 v171, v171
.LBB166_78:                             ;   in Loop: Header=BB166_3 Depth=1
	s_wait_alu 0xfffe
	s_or_b32 exec_lo, exec_lo, s3
	s_and_saveexec_b32 s3, s2
	s_cbranch_execz .LBB166_80
; %bb.79:                               ;   in Loop: Header=BB166_3 Depth=1
	v_add_co_u32 v172, vcc_lo, v161, v34
	s_wait_alu 0xfffd
	v_add_co_ci_u32_e64 v173, null, v162, v35, vcc_lo
	v_add_co_u32 v174, vcc_lo, v163, v34
	s_wait_alu 0xfffd
	v_add_co_ci_u32_e64 v175, null, v164, v35, vcc_lo
	global_load_u16 v4, v[172:173], off
	global_load_u16 v170, v[174:175], off
	s_wait_loadcnt 0x1
	v_cvt_f32_f16_e32 v4, v4
	s_wait_loadcnt 0x0
	v_cvt_f32_f16_e64 v170, v170
.LBB166_80:                             ;   in Loop: Header=BB166_3 Depth=1
	s_wait_alu 0xfffe
	s_or_b32 exec_lo, exec_lo, s3
	v_dual_mov_b32 v172, 0 :: v_dual_mov_b32 v173, 0
	s_and_saveexec_b32 s3, s2
	s_cbranch_execz .LBB166_82
; %bb.81:                               ;   in Loop: Header=BB166_3 Depth=1
	v_add_co_u32 v173, vcc_lo, v157, v34
	s_wait_alu 0xfffd
	v_add_co_ci_u32_e64 v174, null, v158, v35, vcc_lo
	v_add_co_u32 v175, vcc_lo, v159, v34
	s_wait_alu 0xfffd
	v_add_co_ci_u32_e64 v176, null, v160, v35, vcc_lo
	global_load_u16 v5, v[173:174], off
	global_load_u16 v173, v[175:176], off
	s_wait_loadcnt 0x1
	v_cvt_f32_f16_e32 v5, v5
	s_wait_loadcnt 0x0
	v_cvt_f32_f16_e64 v173, v173
.LBB166_82:                             ;   in Loop: Header=BB166_3 Depth=1
	s_wait_alu 0xfffe
	s_or_b32 exec_lo, exec_lo, s3
	s_and_saveexec_b32 s3, s2
	s_cbranch_execz .LBB166_84
; %bb.83:                               ;   in Loop: Header=BB166_3 Depth=1
	v_add_co_u32 v174, vcc_lo, v153, v34
	s_wait_alu 0xfffd
	v_add_co_ci_u32_e64 v175, null, v154, v35, vcc_lo
	v_add_co_u32 v176, vcc_lo, v155, v34
	s_wait_alu 0xfffd
	v_add_co_ci_u32_e64 v177, null, v156, v35, vcc_lo
	global_load_u16 v6, v[174:175], off
	global_load_u16 v172, v[176:177], off
	s_wait_loadcnt 0x1
	v_cvt_f32_f16_e32 v6, v6
	s_wait_loadcnt 0x0
	v_cvt_f32_f16_e64 v172, v172
.LBB166_84:                             ;   in Loop: Header=BB166_3 Depth=1
	;; [unrolled: 37-line block ×5, first 2 shown]
	s_wait_alu 0xfffe
	s_or_b32 exec_lo, exec_lo, s3
	v_dual_mov_b32 v180, 0 :: v_dual_mov_b32 v181, 0
	s_and_saveexec_b32 s3, s2
	s_cbranch_execz .LBB166_98
; %bb.97:                               ;   in Loop: Header=BB166_3 Depth=1
	v_add_co_u32 v181, vcc_lo, v125, v34
	s_wait_alu 0xfffd
	v_add_co_ci_u32_e64 v182, null, v126, v35, vcc_lo
	v_add_co_u32 v183, vcc_lo, v127, v34
	s_wait_alu 0xfffd
	v_add_co_ci_u32_e64 v184, null, v128, v35, vcc_lo
	global_load_u16 v13, v[181:182], off
	global_load_u16 v181, v[183:184], off
	s_wait_loadcnt 0x1
	v_cvt_f32_f16_e32 v13, v13
	s_wait_loadcnt 0x0
	v_cvt_f32_f16_e64 v181, v181
.LBB166_98:                             ;   in Loop: Header=BB166_3 Depth=1
	s_wait_alu 0xfffe
	s_or_b32 exec_lo, exec_lo, s3
	s_and_saveexec_b32 s3, s2
	s_cbranch_execz .LBB166_100
; %bb.99:                               ;   in Loop: Header=BB166_3 Depth=1
	v_add_co_u32 v182, vcc_lo, v121, v34
	s_wait_alu 0xfffd
	v_add_co_ci_u32_e64 v183, null, v122, v35, vcc_lo
	v_add_co_u32 v184, vcc_lo, v123, v34
	s_wait_alu 0xfffd
	v_add_co_ci_u32_e64 v185, null, v124, v35, vcc_lo
	global_load_u16 v14, v[182:183], off
	global_load_u16 v180, v[184:185], off
	s_wait_loadcnt 0x1
	v_cvt_f32_f16_e32 v14, v14
	s_wait_loadcnt 0x0
	v_cvt_f32_f16_e64 v180, v180
.LBB166_100:                            ;   in Loop: Header=BB166_3 Depth=1
	s_wait_alu 0xfffe
	s_or_b32 exec_lo, exec_lo, s3
	v_dual_mov_b32 v182, 0 :: v_dual_mov_b32 v183, 0
	s_and_saveexec_b32 s3, s2
	s_cbranch_execz .LBB166_102
; %bb.101:                              ;   in Loop: Header=BB166_3 Depth=1
	v_add_co_u32 v183, vcc_lo, v117, v34
	s_wait_alu 0xfffd
	v_add_co_ci_u32_e64 v184, null, v118, v35, vcc_lo
	v_add_co_u32 v185, vcc_lo, v119, v34
	s_wait_alu 0xfffd
	v_add_co_ci_u32_e64 v186, null, v120, v35, vcc_lo
	global_load_u16 v15, v[183:184], off
	global_load_u16 v183, v[185:186], off
	s_wait_loadcnt 0x1
	v_cvt_f32_f16_e32 v15, v15
	s_wait_loadcnt 0x0
	v_cvt_f32_f16_e64 v183, v183
.LBB166_102:                            ;   in Loop: Header=BB166_3 Depth=1
	s_wait_alu 0xfffe
	s_or_b32 exec_lo, exec_lo, s3
	s_and_saveexec_b32 s3, s2
	s_cbranch_execz .LBB166_104
; %bb.103:                              ;   in Loop: Header=BB166_3 Depth=1
	v_add_co_u32 v184, vcc_lo, v113, v34
	s_wait_alu 0xfffd
	v_add_co_ci_u32_e64 v185, null, v114, v35, vcc_lo
	v_add_co_u32 v186, vcc_lo, v115, v34
	s_wait_alu 0xfffd
	v_add_co_ci_u32_e64 v187, null, v116, v35, vcc_lo
	global_load_u16 v16, v[184:185], off
	global_load_u16 v182, v[186:187], off
	s_wait_loadcnt 0x1
	v_cvt_f32_f16_e32 v16, v16
	s_wait_loadcnt 0x0
	v_cvt_f32_f16_e64 v182, v182
.LBB166_104:                            ;   in Loop: Header=BB166_3 Depth=1
	s_wait_alu 0xfffe
	s_or_b32 exec_lo, exec_lo, s3
	v_dual_mov_b32 v184, 0 :: v_dual_mov_b32 v185, 0
	s_and_saveexec_b32 s3, s2
	s_cbranch_execz .LBB166_106
; %bb.105:                              ;   in Loop: Header=BB166_3 Depth=1
	v_add_co_u32 v185, vcc_lo, v109, v34
	s_wait_alu 0xfffd
	v_add_co_ci_u32_e64 v186, null, v110, v35, vcc_lo
	v_add_co_u32 v187, vcc_lo, v111, v34
	s_wait_alu 0xfffd
	v_add_co_ci_u32_e64 v188, null, v112, v35, vcc_lo
	global_load_u16 v17, v[185:186], off
	global_load_u16 v185, v[187:188], off
	s_wait_loadcnt 0x1
	v_cvt_f32_f16_e32 v17, v17
	s_wait_loadcnt 0x0
	v_cvt_f32_f16_e64 v185, v185
.LBB166_106:                            ;   in Loop: Header=BB166_3 Depth=1
	s_wait_alu 0xfffe
	s_or_b32 exec_lo, exec_lo, s3
	s_and_saveexec_b32 s3, s2
	s_cbranch_execz .LBB166_108
; %bb.107:                              ;   in Loop: Header=BB166_3 Depth=1
	v_add_co_u32 v186, vcc_lo, v105, v34
	s_wait_alu 0xfffd
	v_add_co_ci_u32_e64 v187, null, v106, v35, vcc_lo
	v_add_co_u32 v188, vcc_lo, v107, v34
	s_wait_alu 0xfffd
	v_add_co_ci_u32_e64 v189, null, v108, v35, vcc_lo
	global_load_u16 v18, v[186:187], off
	global_load_u16 v184, v[188:189], off
	s_wait_loadcnt 0x1
	v_cvt_f32_f16_e32 v18, v18
	s_wait_loadcnt 0x0
	v_cvt_f32_f16_e64 v184, v184
.LBB166_108:                            ;   in Loop: Header=BB166_3 Depth=1
	;; [unrolled: 37-line block ×8, first 2 shown]
	s_wait_alu 0xfffe
	s_or_b32 exec_lo, exec_lo, s3
	v_dual_mov_b32 v199, 0 :: v_dual_mov_b32 v200, 0
	s_and_saveexec_b32 s3, s2
	s_cbranch_execnz .LBB166_139
; %bb.133:                              ;   in Loop: Header=BB166_3 Depth=1
	s_wait_alu 0xfffe
	s_or_b32 exec_lo, exec_lo, s3
	s_and_saveexec_b32 s3, s2
	s_cbranch_execnz .LBB166_140
.LBB166_134:                            ;   in Loop: Header=BB166_3 Depth=1
	s_wait_alu 0xfffe
	s_or_b32 exec_lo, exec_lo, s3
	v_mov_b32_e32 v196, 0
	s_and_saveexec_b32 s3, s2
	s_cbranch_execz .LBB166_136
.LBB166_135:                            ;   in Loop: Header=BB166_3 Depth=1
	v_add_co_u32 v201, vcc_lo, v46, v34
	s_wait_alu 0xfffd
	v_add_co_ci_u32_e64 v202, null, v47, v35, vcc_lo
	v_add_co_u32 v203, vcc_lo, v48, v34
	s_wait_alu 0xfffd
	v_add_co_ci_u32_e64 v204, null, v49, v35, vcc_lo
	global_load_u16 v33, v[201:202], off
	global_load_u16 v196, v[203:204], off
	s_wait_loadcnt 0x1
	v_cvt_f32_f16_e32 v33, v33
	s_wait_loadcnt 0x0
	v_cvt_f32_f16_e64 v196, v196
.LBB166_136:                            ;   in Loop: Header=BB166_3 Depth=1
	s_wait_alu 0xfffe
	s_or_b32 exec_lo, exec_lo, s3
	s_wait_loadcnt 0x0
	ds_bpermute_b32 v201, v1, v36
	ds_bpermute_b32 v202, v1, v36 offset:4
	ds_bpermute_b32 v203, v1, v36 offset:8
	v_dual_mul_f32 v2, v37, v2 :: v_dual_mul_f32 v3, v171, v3
	ds_bpermute_b32 v37, v1, v36 offset:12
	ds_bpermute_b32 v171, v1, v36 offset:16
	s_wait_dscnt 0x4
	v_fmac_f32_e32 v169, v2, v201
	v_mul_f32_e32 v2, v170, v4
	ds_bpermute_b32 v4, v1, v36 offset:20
	s_wait_dscnt 0x4
	v_fmac_f32_e32 v169, v3, v202
	v_mul_f32_e32 v3, v173, v5
	ds_bpermute_b32 v5, v1, v36 offset:24
	s_wait_dscnt 0x4
	v_dual_fmac_f32 v169, v2, v203 :: v_dual_mul_f32 v2, v172, v6
	ds_bpermute_b32 v6, v1, v36 offset:28
	s_wait_dscnt 0x4
	v_fmac_f32_e32 v169, v3, v37
	v_mul_f32_e32 v3, v175, v7
	ds_bpermute_b32 v7, v1, v36 offset:32
	s_wait_dscnt 0x4
	v_fmac_f32_e32 v169, v2, v171
	v_mul_f32_e32 v2, v174, v8
	ds_bpermute_b32 v8, v1, v36 offset:36
	s_wait_dscnt 0x4
	v_fmac_f32_e32 v169, v3, v4
	v_mul_f32_e32 v3, v177, v9
	ds_bpermute_b32 v4, v1, v36 offset:40
	s_wait_dscnt 0x4
	v_dual_fmac_f32 v169, v2, v5 :: v_dual_mul_f32 v2, v176, v10
	ds_bpermute_b32 v5, v1, v36 offset:44
	s_wait_dscnt 0x4
	v_fmac_f32_e32 v169, v3, v6
	v_mul_f32_e32 v3, v179, v11
	;; [unrolled: 15-line block ×5, first 2 shown]
	ds_bpermute_b32 v8, v1, v36 offset:96
	s_wait_dscnt 0x4
	v_fmac_f32_e32 v169, v2, v4
	v_mul_f32_e32 v2, v190, v24
	ds_bpermute_b32 v4, v1, v36 offset:100
	s_wait_dscnt 0x4
	v_fmac_f32_e32 v169, v3, v5
	v_mul_f32_e32 v3, v193, v25
	;; [unrolled: 4-line block ×6, first 2 shown]
	ds_bpermute_b32 v4, v1, v36 offset:120
	s_wait_dscnt 0x4
	v_dual_fmac_f32 v169, v2, v5 :: v_dual_mul_f32 v2, v197, v30
	s_wait_dscnt 0x3
	s_delay_alu instid0(VALU_DEP_1) | instskip(SKIP_2) | instid1(VALU_DEP_2)
	v_fmac_f32_e32 v169, v3, v6
	v_mul_f32_e32 v3, v200, v31
	s_wait_dscnt 0x2
	v_fmac_f32_e32 v169, v2, v7
	ds_bpermute_b32 v2, v1, v36 offset:124
	s_wait_dscnt 0x2
	v_fmac_f32_e32 v169, v3, v8
	v_mul_f32_e32 v3, v199, v32
	s_wait_dscnt 0x1
	s_delay_alu instid0(VALU_DEP_1) | instskip(NEXT) | instid1(VALU_DEP_1)
	v_fmac_f32_e32 v169, v3, v4
	v_mov_b32_e32 v202, v169
.LBB166_137:                            ;   in Loop: Header=BB166_3 Depth=1
	v_add_co_u32 v42, vcc_lo, v42, s22
	s_wait_alu 0xfffd
	v_add_co_ci_u32_e64 v43, null, s23, v43, vcc_lo
	v_add_co_u32 v44, vcc_lo, v44, s22
	s_wait_alu 0xfffd
	v_add_co_ci_u32_e64 v45, null, s23, v45, vcc_lo
	;; [unrolled: 3-line block ×62, first 2 shown]
	v_add_co_u32 v165, vcc_lo, v165, s22
	v_mul_f32_e32 v3, v196, v33
	s_add_nc_u64 s[26:27], s[26:27], s[20:21]
	s_wait_alu 0xfffd
	v_add_co_ci_u32_e64 v166, null, s23, v166, vcc_lo
	v_add_co_u32 v167, vcc_lo, v167, s22
	s_wait_alu 0xfffe
	v_cmp_lt_i64_e64 s3, s[26:27], s[4:5]
	s_wait_alu 0xfffd
	v_add_co_ci_u32_e64 v168, null, s23, v168, vcc_lo
	v_add_co_u32 v39, vcc_lo, v39, s20
	s_wait_dscnt 0x0
	v_fmac_f32_e32 v202, v3, v2
	s_wait_alu 0xfffd
	v_add_co_ci_u32_e64 v41, null, 0, v41, vcc_lo
	s_and_b32 vcc_lo, exec_lo, s3
	s_add_nc_u64 s[24:25], s[24:25], s[20:21]
	s_wait_alu 0xfffe
	s_cbranch_vccz .LBB166_142
; %bb.138:                              ;   in Loop: Header=BB166_3 Depth=1
	v_mov_b32_e32 v169, v202
	s_branch .LBB166_3
.LBB166_139:                            ;   in Loop: Header=BB166_3 Depth=1
	v_add_co_u32 v200, vcc_lo, v54, v34
	s_wait_alu 0xfffd
	v_add_co_ci_u32_e64 v201, null, v55, v35, vcc_lo
	v_add_co_u32 v202, vcc_lo, v56, v34
	s_wait_alu 0xfffd
	v_add_co_ci_u32_e64 v203, null, v57, v35, vcc_lo
	global_load_u16 v31, v[200:201], off
	global_load_u16 v196, v[202:203], off
	s_wait_loadcnt 0x1
	v_cvt_f32_f16_e32 v31, v31
	s_wait_loadcnt 0x0
	v_cvt_f32_f16_e64 v200, v196
	s_wait_alu 0xfffe
	s_or_b32 exec_lo, exec_lo, s3
	s_and_saveexec_b32 s3, s2
	s_cbranch_execz .LBB166_134
.LBB166_140:                            ;   in Loop: Header=BB166_3 Depth=1
	v_add_co_u32 v201, vcc_lo, v50, v34
	s_wait_alu 0xfffd
	v_add_co_ci_u32_e64 v202, null, v51, v35, vcc_lo
	v_add_co_u32 v203, vcc_lo, v52, v34
	s_wait_alu 0xfffd
	v_add_co_ci_u32_e64 v204, null, v53, v35, vcc_lo
	global_load_u16 v32, v[201:202], off
	global_load_u16 v196, v[203:204], off
	s_wait_loadcnt 0x1
	v_cvt_f32_f16_e32 v32, v32
	s_wait_loadcnt 0x0
	v_cvt_f32_f16_e64 v199, v196
	s_wait_alu 0xfffe
	s_or_b32 exec_lo, exec_lo, s3
	v_mov_b32_e32 v196, 0
	s_and_saveexec_b32 s3, s2
	s_cbranch_execnz .LBB166_135
	s_branch .LBB166_136
.LBB166_141:
                                        ; implicit-def: $vgpr202
	s_load_b64 s[2:3], s[0:1], 0x30
	s_branch .LBB166_143
.LBB166_142:
	s_load_b64 s[2:3], s[0:1], 0x30
	s_cbranch_execnz .LBB166_220
.LBB166_143:
	v_mov_b32_e32 v202, 0
	s_and_not1_b32 vcc_lo, exec_lo, s29
	s_wait_alu 0xfffe
	s_cbranch_vccnz .LBB166_220
; %bb.144:
	v_bfe_u32 v202, v208, 10, 10
	s_lshl_b64 s[16:17], s[14:15], 1
	s_mov_b64 s[20:21], 31
	s_mov_b64 s[22:23], s[14:15]
	scratch_store_b32 off, v208, off offset:308 ; 4-byte Folded Spill
	v_lshlrev_b32_e32 v1, 6, v202
	v_lshlrev_b32_e32 v220, 5, v202
	scratch_store_b32 off, v202, off offset:300 ; 4-byte Folded Spill
	v_mov_b32_e32 v204, 0
	v_add_co_u32 v3, s16, v1, s16
	s_wait_alu 0xf1ff
	v_add_co_ci_u32_e64 v4, null, 0, s17, s16
	v_add_co_u32 v0, s18, v220, s14
	s_delay_alu instid0(VALU_DEP_3) | instskip(SKIP_1) | instid1(VALU_DEP_3)
	v_add_co_u32 v7, vcc_lo, v3, 2
	s_wait_alu 0xfffd
	v_add_co_ci_u32_e64 v8, null, 0, v4, vcc_lo
	v_add_co_ci_u32_e64 v9, null, 0, 0, s18
	s_delay_alu instid0(VALU_DEP_3) | instskip(SKIP_1) | instid1(VALU_DEP_4)
	v_mad_co_u64_u32 v[13:14], null, s6, v7, s[8:9]
	v_mul_lo_u32 v10, s7, v7
	v_mul_lo_u32 v8, s6, v8
	;; [unrolled: 1-line block ×4, first 2 shown]
	v_mad_co_u64_u32 v[1:2], null, s6, v0, 0
	v_add_co_u32 v11, vcc_lo, v3, 4
	s_wait_alu 0xfffd
	v_add_co_ci_u32_e64 v12, null, 0, v4, vcc_lo
	v_add3_u32 v14, v10, v14, v8
	v_mad_co_u64_u32 v[42:43], null, s6, v7, s[10:11]
	v_add3_u32 v2, v2, v6, v5
	v_add_co_u32 v5, vcc_lo, v3, 6
	scratch_store_b64 off, v[13:14], off    ; 8-byte Folded Spill
	s_wait_alu 0xfffd
	v_add_co_ci_u32_e64 v6, null, 0, v4, vcc_lo
	v_add_co_u32 v14, vcc_lo, v3, 8
	s_wait_alu 0xfffd
	v_add_co_ci_u32_e64 v16, null, 0, v4, vcc_lo
	v_add_co_u32 v17, vcc_lo, v3, 10
	s_delay_alu instid0(VALU_DEP_3) | instskip(NEXT) | instid1(VALU_DEP_3)
	v_mad_co_u64_u32 v[40:41], null, s6, v14, s[8:9]
	v_mul_lo_u32 v16, s6, v16
	v_mul_lo_u32 v7, s7, v14
	v_mad_co_u64_u32 v[50:51], null, s6, v14, s[10:11]
	v_mad_co_u64_u32 v[38:39], null, s6, v5, s[8:9]
	v_mul_lo_u32 v15, s7, v5
	s_wait_alu 0xfffd
	v_add_co_ci_u32_e64 v18, null, 0, v4, vcc_lo
	v_mad_co_u64_u32 v[48:49], null, s6, v5, s[10:11]
	v_add_co_u32 v5, vcc_lo, v3, 12
	v_mul_lo_u32 v6, s6, v6
	v_add3_u32 v43, v10, v43, v8
	s_wait_alu 0xfffd
	v_add_co_ci_u32_e64 v8, null, 0, v4, vcc_lo
	v_mad_co_u64_u32 v[52:53], null, s6, v5, s[8:9]
	v_add3_u32 v41, v7, v41, v16
	v_add3_u32 v51, v7, v51, v16
	v_mul_lo_u32 v7, s7, v5
	v_mad_co_u64_u32 v[56:57], null, s6, v5, s[10:11]
	v_add_co_u32 v5, vcc_lo, v3, 14
	v_add3_u32 v39, v15, v39, v6
	v_add3_u32 v49, v15, v49, v6
	v_mul_lo_u32 v6, s6, v8
	s_wait_alu 0xfffd
	v_add_co_ci_u32_e64 v8, null, 0, v4, vcc_lo
	v_mad_co_u64_u32 v[58:59], null, s6, v5, s[8:9]
	v_mul_lo_u32 v10, s7, v5
	v_mad_co_u64_u32 v[60:61], null, s6, v5, s[10:11]
	v_add_co_u32 v5, vcc_lo, v3, 16
	v_mad_co_u64_u32 v[20:21], null, s6, v11, s[8:9]
	v_mul_lo_u32 v13, s7, v11
	v_mad_co_u64_u32 v[46:47], null, s6, v11, s[10:11]
	s_wait_alu 0xfffd
	v_add_co_ci_u32_e64 v11, null, 0, v4, vcc_lo
	v_add3_u32 v53, v7, v53, v6
	v_add3_u32 v57, v7, v57, v6
	v_mul_lo_u32 v7, s7, v5
	s_delay_alu instid0(VALU_DEP_4)
	v_mul_lo_u32 v6, s6, v11
	v_mad_co_u64_u32 v[62:63], null, s6, v5, s[8:9]
	v_mad_co_u64_u32 v[64:65], null, s6, v5, s[10:11]
	v_add_co_u32 v5, vcc_lo, v3, 18
	v_mul_lo_u32 v8, s6, v8
	v_mul_lo_u32 v12, s6, v12
	v_add3_u32 v63, v7, v63, v6
	s_delay_alu instid0(VALU_DEP_4)
	v_mad_co_u64_u32 v[66:67], null, s6, v5, s[8:9]
	v_add3_u32 v65, v7, v65, v6
	s_wait_alu 0xfffd
	v_add_co_ci_u32_e64 v6, null, 0, v4, vcc_lo
	v_mul_lo_u32 v7, s7, v5
	v_mad_co_u64_u32 v[68:69], null, s6, v5, s[10:11]
	s_delay_alu instid0(VALU_DEP_3) | instskip(SKIP_4) | instid1(VALU_DEP_4)
	v_mul_lo_u32 v6, s6, v6
	v_add_co_u32 v5, vcc_lo, v3, 20
	v_add3_u32 v59, v10, v59, v8
	v_add3_u32 v61, v10, v61, v8
	;; [unrolled: 1-line block ×3, first 2 shown]
	v_mad_co_u64_u32 v[70:71], null, s6, v5, s[8:9]
	v_add3_u32 v67, v7, v67, v6
	v_add3_u32 v69, v7, v69, v6
	s_wait_alu 0xfffd
	v_add_co_ci_u32_e64 v6, null, 0, v4, vcc_lo
	v_mul_lo_u32 v7, s7, v5
	v_mad_co_u64_u32 v[72:73], null, s6, v5, s[10:11]
	s_delay_alu instid0(VALU_DEP_3) | instskip(SKIP_3) | instid1(VALU_DEP_3)
	v_mul_lo_u32 v6, s6, v6
	v_add_co_u32 v5, vcc_lo, v3, 22
	v_add3_u32 v47, v13, v47, v12
	v_mad_co_u64_u32 v[44:45], null, s6, v17, s[8:9]
	v_mad_co_u64_u32 v[74:75], null, s6, v5, s[8:9]
	v_add3_u32 v71, v7, v71, v6
	v_add3_u32 v73, v7, v73, v6
	s_wait_alu 0xfffd
	v_add_co_ci_u32_e64 v6, null, 0, v4, vcc_lo
	v_mul_lo_u32 v7, s7, v5
	v_mad_co_u64_u32 v[76:77], null, s6, v5, s[10:11]
	s_delay_alu instid0(VALU_DEP_3) | instskip(SKIP_3) | instid1(VALU_DEP_3)
	v_mul_lo_u32 v6, s6, v6
	v_add_co_u32 v5, vcc_lo, v3, 24
	v_mul_lo_u32 v19, s7, v17
	v_mad_co_u64_u32 v[54:55], null, s6, v17, s[10:11]
	v_mad_co_u64_u32 v[78:79], null, s6, v5, s[8:9]
	v_add3_u32 v75, v7, v75, v6
	v_add3_u32 v77, v7, v77, v6
	s_wait_alu 0xfffd
	v_add_co_ci_u32_e64 v6, null, 0, v4, vcc_lo
	v_mul_lo_u32 v7, s7, v5
	v_mad_co_u64_u32 v[80:81], null, s6, v5, s[10:11]
	s_delay_alu instid0(VALU_DEP_3)
	v_mul_lo_u32 v6, s6, v6
	v_add_co_u32 v5, vcc_lo, v3, 26
	v_mul_lo_u32 v18, s6, v18
	scratch_store_b64 off, v[20:21], off offset:8 ; 8-byte Folded Spill
	s_add_nc_u64 s[16:17], s[0:1], 64
	v_mad_co_u64_u32 v[82:83], null, s6, v5, s[8:9]
	v_add3_u32 v79, v7, v79, v6
	v_add3_u32 v81, v7, v81, v6
	s_wait_alu 0xfffd
	v_add_co_ci_u32_e64 v6, null, 0, v4, vcc_lo
	v_mul_lo_u32 v7, s7, v5
	v_mad_co_u64_u32 v[84:85], null, s6, v5, s[10:11]
	s_delay_alu instid0(VALU_DEP_3) | instskip(SKIP_3) | instid1(VALU_DEP_3)
	v_mul_lo_u32 v6, s6, v6
	v_add_co_u32 v5, vcc_lo, v3, 28
	v_add3_u32 v45, v19, v45, v18
	v_add3_u32 v55, v19, v55, v18
	v_mad_co_u64_u32 v[86:87], null, s6, v5, s[8:9]
	v_add3_u32 v83, v7, v83, v6
	v_add3_u32 v85, v7, v85, v6
	s_wait_alu 0xfffd
	v_add_co_ci_u32_e64 v6, null, 0, v4, vcc_lo
	v_mul_lo_u32 v7, s7, v5
	v_mad_co_u64_u32 v[88:89], null, s6, v5, s[10:11]
	s_delay_alu instid0(VALU_DEP_3) | instskip(SKIP_1) | instid1(VALU_DEP_1)
	v_mul_lo_u32 v6, s6, v6
	v_add_co_u32 v5, vcc_lo, v3, 30
	v_mad_co_u64_u32 v[90:91], null, s6, v5, s[8:9]
	s_delay_alu instid0(VALU_DEP_3)
	v_add3_u32 v87, v7, v87, v6
	v_add3_u32 v89, v7, v89, v6
	s_wait_alu 0xfffd
	v_add_co_ci_u32_e64 v6, null, 0, v4, vcc_lo
	v_mul_lo_u32 v7, s7, v5
	v_mad_co_u64_u32 v[92:93], null, s6, v5, s[10:11]
	s_delay_alu instid0(VALU_DEP_3) | instskip(SKIP_1) | instid1(VALU_DEP_1)
	v_mul_lo_u32 v6, s6, v6
	v_add_co_u32 v5, vcc_lo, v3, 32
	v_mad_co_u64_u32 v[94:95], null, s6, v5, s[8:9]
	s_delay_alu instid0(VALU_DEP_3)
	;; [unrolled: 11-line block ×16, first 2 shown]
	v_add3_u32 v147, v7, v147, v6
	v_add3_u32 v149, v7, v149, v6
	s_wait_alu 0xfffd
	v_add_co_ci_u32_e64 v6, null, 0, v4, vcc_lo
	v_add_co_u32 v3, vcc_lo, v3, 62
	s_wait_alu 0xfffd
	v_add_co_ci_u32_e64 v4, null, 0, v4, vcc_lo
	v_mul_lo_u32 v7, s7, v5
	v_mad_co_u64_u32 v[152:153], null, s6, v5, s[10:11]
	s_delay_alu instid0(VALU_DEP_3)
	v_mul_lo_u32 v4, s6, v4
	v_mul_lo_u32 v5, s7, v3
	v_mad_co_u64_u32 v[154:155], null, s6, v3, s[8:9]
	v_mad_co_u64_u32 v[156:157], null, s6, v3, s[10:11]
	v_mul_lo_u32 v6, s6, v6
	v_add_co_u32 v3, vcc_lo, v0, 31
	s_delay_alu instid0(VALU_DEP_4) | instskip(NEXT) | instid1(VALU_DEP_4)
	v_add3_u32 v155, v5, v155, v4
	v_add3_u32 v157, v5, v157, v4
	s_wait_alu 0xfffd
	v_add_co_ci_u32_e64 v4, null, 0, v9, vcc_lo
	v_add3_u32 v151, v7, v151, v6
	v_add3_u32 v153, v7, v153, v6
	v_mul_lo_u32 v6, s7, v3
	s_delay_alu instid0(VALU_DEP_4) | instskip(SKIP_1) | instid1(VALU_DEP_1)
	v_mul_lo_u32 v5, s6, v4
	v_mad_co_u64_u32 v[3:4], null, s6, v3, 0
	v_add3_u32 v4, v4, v5, v6
	v_add_co_u32 v5, vcc_lo, v0, 30
	s_wait_alu 0xfffd
	v_add_co_ci_u32_e64 v6, null, 0, v9, vcc_lo
	s_delay_alu instid0(VALU_DEP_2) | instskip(NEXT) | instid1(VALU_DEP_2)
	v_mul_lo_u32 v8, s7, v5
	v_mul_lo_u32 v7, s6, v6
	v_mad_co_u64_u32 v[5:6], null, s6, v5, 0
	s_delay_alu instid0(VALU_DEP_1) | instskip(SKIP_3) | instid1(VALU_DEP_2)
	v_add3_u32 v6, v6, v7, v8
	v_add_co_u32 v7, vcc_lo, v0, 29
	s_wait_alu 0xfffd
	v_add_co_ci_u32_e64 v8, null, 0, v9, vcc_lo
	v_mul_lo_u32 v11, s7, v7
	s_delay_alu instid0(VALU_DEP_2) | instskip(SKIP_1) | instid1(VALU_DEP_1)
	v_mul_lo_u32 v10, s6, v8
	v_mad_co_u64_u32 v[7:8], null, s6, v7, 0
	v_add3_u32 v8, v8, v10, v11
	v_add_co_u32 v10, vcc_lo, v0, 28
	s_wait_alu 0xfffd
	v_add_co_ci_u32_e64 v11, null, 0, v9, vcc_lo
	s_delay_alu instid0(VALU_DEP_2) | instskip(NEXT) | instid1(VALU_DEP_2)
	v_mul_lo_u32 v13, s7, v10
	v_mul_lo_u32 v12, s6, v11
	v_mad_co_u64_u32 v[10:11], null, s6, v10, 0
	s_delay_alu instid0(VALU_DEP_1) | instskip(SKIP_3) | instid1(VALU_DEP_2)
	v_add3_u32 v11, v11, v12, v13
	v_add_co_u32 v12, vcc_lo, v0, 27
	s_wait_alu 0xfffd
	v_add_co_ci_u32_e64 v13, null, 0, v9, vcc_lo
	v_mul_lo_u32 v15, s7, v12
	s_delay_alu instid0(VALU_DEP_2) | instskip(SKIP_1) | instid1(VALU_DEP_1)
	;; [unrolled: 17-line block ×8, first 2 shown]
	v_mul_lo_u32 v162, s6, v161
	v_mad_co_u64_u32 v[160:161], null, s6, v160, 0
	v_add3_u32 v161, v161, v162, v163
	v_add_co_u32 v162, vcc_lo, v0, 14
	s_wait_alu 0xfffd
	v_add_co_ci_u32_e64 v163, null, 0, v9, vcc_lo
	s_delay_alu instid0(VALU_DEP_2) | instskip(NEXT) | instid1(VALU_DEP_2)
	v_mul_lo_u32 v165, s7, v162
	v_mul_lo_u32 v164, s6, v163
	v_mad_co_u64_u32 v[162:163], null, s6, v162, 0
	s_delay_alu instid0(VALU_DEP_1) | instskip(SKIP_3) | instid1(VALU_DEP_2)
	v_add3_u32 v163, v163, v164, v165
	v_add_co_u32 v164, vcc_lo, v0, 13
	s_wait_alu 0xfffd
	v_add_co_ci_u32_e64 v165, null, 0, v9, vcc_lo
	v_mul_lo_u32 v166, s7, v164
	v_mad_co_u64_u32 v[168:169], null, s6, v164, 0
	s_delay_alu instid0(VALU_DEP_3) | instskip(SKIP_1) | instid1(VALU_DEP_1)
	v_mul_lo_u32 v165, s6, v165
	v_add_co_u32 v164, vcc_lo, v0, 12
	v_mad_co_u64_u32 v[170:171], null, s6, v164, 0
	s_delay_alu instid0(VALU_DEP_3) | instskip(SKIP_4) | instid1(VALU_DEP_3)
	v_add3_u32 v169, v169, v165, v166
	s_wait_alu 0xfffd
	v_add_co_ci_u32_e64 v165, null, 0, v9, vcc_lo
	v_mul_lo_u32 v166, s7, v164
	v_add_co_u32 v164, vcc_lo, v0, 11
	v_mul_lo_u32 v165, s6, v165
	s_delay_alu instid0(VALU_DEP_2) | instskip(NEXT) | instid1(VALU_DEP_2)
	v_mad_co_u64_u32 v[172:173], null, s6, v164, 0
	v_add3_u32 v171, v171, v165, v166
	s_wait_alu 0xfffd
	v_add_co_ci_u32_e64 v165, null, 0, v9, vcc_lo
	v_mul_lo_u32 v166, s7, v164
	v_add_co_u32 v164, vcc_lo, v0, 10
	s_delay_alu instid0(VALU_DEP_3) | instskip(NEXT) | instid1(VALU_DEP_2)
	v_mul_lo_u32 v165, s6, v165
	v_mad_co_u64_u32 v[174:175], null, s6, v164, 0
	s_delay_alu instid0(VALU_DEP_2) | instskip(SKIP_4) | instid1(VALU_DEP_3)
	v_add3_u32 v173, v173, v165, v166
	s_wait_alu 0xfffd
	v_add_co_ci_u32_e64 v165, null, 0, v9, vcc_lo
	v_mul_lo_u32 v166, s7, v164
	v_add_co_u32 v164, vcc_lo, v0, 9
	v_mul_lo_u32 v165, s6, v165
	s_delay_alu instid0(VALU_DEP_2) | instskip(NEXT) | instid1(VALU_DEP_2)
	v_mad_co_u64_u32 v[176:177], null, s6, v164, 0
	v_add3_u32 v175, v175, v165, v166
	s_wait_alu 0xfffd
	v_add_co_ci_u32_e64 v165, null, 0, v9, vcc_lo
	v_mul_lo_u32 v166, s7, v164
	v_add_co_u32 v164, vcc_lo, v0, 8
	s_delay_alu instid0(VALU_DEP_3) | instskip(NEXT) | instid1(VALU_DEP_2)
	v_mul_lo_u32 v165, s6, v165
	v_mad_co_u64_u32 v[178:179], null, s6, v164, 0
	s_delay_alu instid0(VALU_DEP_2) | instskip(SKIP_4) | instid1(VALU_DEP_3)
	;; [unrolled: 17-line block ×4, first 2 shown]
	v_add3_u32 v185, v185, v165, v166
	s_wait_alu 0xfffd
	v_add_co_ci_u32_e64 v165, null, 0, v9, vcc_lo
	v_mul_lo_u32 v166, s7, v164
	v_add_co_u32 v164, vcc_lo, v0, 3
	v_mul_lo_u32 v165, s6, v165
	s_delay_alu instid0(VALU_DEP_2) | instskip(NEXT) | instid1(VALU_DEP_2)
	v_mad_co_u64_u32 v[189:190], null, s6, v164, 0
	v_add3_u32 v187, v187, v165, v166
	s_wait_alu 0xfffd
	v_add_co_ci_u32_e64 v165, null, 0, v9, vcc_lo
	v_add_co_u32 v0, vcc_lo, v0, 2
	s_wait_alu 0xfffd
	v_add_co_ci_u32_e64 v9, null, 0, v9, vcc_lo
	v_mul_lo_u32 v166, s7, v164
	s_delay_alu instid0(VALU_DEP_3) | instskip(SKIP_1) | instid1(VALU_DEP_4)
	v_mul_lo_u32 v164, s7, v0
	v_mad_co_u64_u32 v[193:194], null, s6, v0, 0
	v_mul_lo_u32 v9, s6, v9
	v_mul_lo_u32 v165, s6, v165
	v_add_co_u32 v197, vcc_lo, v1, s6
	v_lshlrev_b64_e32 v[0:1], 1, v[1:2]
	s_wait_alu 0xfffd
	v_add_co_ci_u32_e64 v198, null, s7, v2, vcc_lo
	v_add3_u32 v194, v194, v9, v164
	v_add3_u32 v190, v190, v165, v166
	s_delay_alu instid0(VALU_DEP_4)
	v_add_co_u32 v164, vcc_lo, s8, v0
	s_wait_alu 0xfffd
	v_add_co_ci_u32_e64 v165, null, s9, v1, vcc_lo
	v_add_co_u32 v166, vcc_lo, s10, v0
	s_wait_alu 0xfffd
	v_add_co_ci_u32_e64 v167, null, s11, v1, vcc_lo
	v_lshlrev_b64_e32 v[0:1], 1, v[3:4]
	s_delay_alu instid0(VALU_DEP_1) | instskip(SKIP_1) | instid1(VALU_DEP_2)
	v_add_co_u32 v222, vcc_lo, s8, v0
	s_wait_alu 0xfffd
	v_add_co_ci_u32_e64 v223, null, s9, v1, vcc_lo
	v_add_co_u32 v224, vcc_lo, s10, v0
	s_wait_alu 0xfffd
	v_add_co_ci_u32_e64 v225, null, s11, v1, vcc_lo
	v_lshlrev_b64_e32 v[0:1], 1, v[5:6]
	s_delay_alu instid0(VALU_DEP_1) | instskip(SKIP_1) | instid1(VALU_DEP_2)
	;; [unrolled: 8-line block ×17, first 2 shown]
	v_add_co_u32 v195, vcc_lo, s8, v0
	s_wait_alu 0xfffd
	v_add_co_ci_u32_e64 v196, null, s9, v1, vcc_lo
	v_add_co_u32 v29, vcc_lo, s10, v0
	s_wait_alu 0xfffd
	v_add_co_ci_u32_e64 v30, null, s11, v1, vcc_lo
	v_lshlrev_b64_e32 v[0:1], 1, v[162:163]
	v_dual_mov_b32 v162, v2 :: v_dual_mov_b32 v163, v4
	s_delay_alu instid0(VALU_DEP_2) | instskip(SKIP_1) | instid1(VALU_DEP_3)
	v_add_co_u32 v199, vcc_lo, s8, v0
	s_wait_alu 0xfffd
	v_add_co_ci_u32_e64 v200, null, s9, v1, vcc_lo
	v_add_co_u32 v221, vcc_lo, s10, v0
	s_wait_alu 0xfffd
	v_add_co_ci_u32_e64 v0, null, s11, v1, vcc_lo
	scratch_store_b32 off, v0, off offset:16 ; 4-byte Folded Spill
	v_lshlrev_b64_e32 v[0:1], 1, v[168:169]
	v_dual_mov_b32 v169, v6 :: v_dual_mov_b32 v168, v5
	s_delay_alu instid0(VALU_DEP_2)
	v_add_co_u32 v2, vcc_lo, s8, v0
	scratch_store_b32 off, v2, off offset:20 ; 4-byte Folded Spill
	s_wait_alu 0xfffd
	v_add_co_ci_u32_e64 v2, null, s9, v1, vcc_lo
	v_add_co_u32 v0, vcc_lo, s10, v0
	s_clause 0x1
	scratch_store_b32 off, v2, off offset:24
	scratch_store_b32 off, v0, off offset:28
	s_wait_alu 0xfffd
	v_add_co_ci_u32_e64 v0, null, s11, v1, vcc_lo
	scratch_store_b32 off, v0, off offset:32 ; 4-byte Folded Spill
	v_lshlrev_b64_e32 v[0:1], 1, v[170:171]
	v_dual_mov_b32 v171, v8 :: v_dual_mov_b32 v170, v7
	s_delay_alu instid0(VALU_DEP_2)
	v_add_co_u32 v2, vcc_lo, s8, v0
	scratch_store_b32 off, v2, off offset:36 ; 4-byte Folded Spill
	s_wait_alu 0xfffd
	v_add_co_ci_u32_e64 v2, null, s9, v1, vcc_lo
	v_add_co_u32 v0, vcc_lo, s10, v0
	s_clause 0x1
	scratch_store_b32 off, v2, off offset:40
	scratch_store_b32 off, v0, off offset:44
	;; [unrolled: 14-line block ×3, first 2 shown]
	s_wait_alu 0xfffd
	v_add_co_ci_u32_e64 v0, null, s11, v1, vcc_lo
	scratch_store_b32 off, v0, off offset:64 ; 4-byte Folded Spill
	v_lshlrev_b64_e32 v[0:1], 1, v[174:175]
	v_dual_mov_b32 v175, v12 :: v_dual_mov_b32 v174, v11
	s_delay_alu instid0(VALU_DEP_2)
	v_add_co_u32 v2, vcc_lo, s8, v0
	scratch_store_b32 off, v2, off offset:68 ; 4-byte Folded Spill
	s_wait_alu 0xfffd
	v_add_co_ci_u32_e64 v2, null, s9, v1, vcc_lo
	v_add_co_u32 v0, vcc_lo, s10, v0
	s_wait_alu 0xfffd
	v_add_co_ci_u32_e64 v1, null, s11, v1, vcc_lo
	s_clause 0x1
	scratch_store_b32 off, v2, off offset:72
	scratch_store_b32 off, v0, off offset:76
	v_mov_b32_e32 v0, v3
	scratch_store_b32 off, v1, off offset:80 ; 4-byte Folded Spill
	v_lshlrev_b64_e32 v[1:2], 1, v[176:177]
	v_dual_mov_b32 v177, v14 :: v_dual_mov_b32 v176, v13
	s_delay_alu instid0(VALU_DEP_2)
	v_add_co_u32 v3, vcc_lo, s8, v1
	scratch_store_b32 off, v3, off offset:84 ; 4-byte Folded Spill
	s_wait_alu 0xfffd
	v_add_co_ci_u32_e64 v3, null, s9, v2, vcc_lo
	v_add_co_u32 v1, vcc_lo, s10, v1
	s_clause 0x1
	scratch_store_b32 off, v3, off offset:88
	scratch_store_b32 off, v1, off offset:92
	s_wait_alu 0xfffd
	v_add_co_ci_u32_e64 v1, null, s11, v2, vcc_lo
	scratch_store_b32 off, v1, off offset:96 ; 4-byte Folded Spill
	v_lshlrev_b64_e32 v[1:2], 1, v[178:179]
	v_dual_mov_b32 v179, v16 :: v_dual_mov_b32 v178, v15
	s_delay_alu instid0(VALU_DEP_2)
	v_add_co_u32 v3, vcc_lo, s8, v1
	scratch_store_b32 off, v3, off offset:100 ; 4-byte Folded Spill
	s_wait_alu 0xfffd
	v_add_co_ci_u32_e64 v3, null, s9, v2, vcc_lo
	v_add_co_u32 v1, vcc_lo, s10, v1
	s_clause 0x1
	scratch_store_b32 off, v3, off offset:104
	scratch_store_b32 off, v1, off offset:108
	s_wait_alu 0xfffd
	v_add_co_ci_u32_e64 v1, null, s11, v2, vcc_lo
	;; [unrolled: 14-line block ×8, first 2 shown]
	scratch_store_b32 off, v1, off offset:208 ; 4-byte Folded Spill
	v_lshlrev_b64_e32 v[1:2], 1, v[197:198]
	v_dual_mov_b32 v198, v30 :: v_dual_mov_b32 v197, v29
	s_delay_alu instid0(VALU_DEP_2)
	v_add_co_u32 v3, vcc_lo, s8, v1
	s_load_b32 s8, s[0:1], 0x44
	scratch_store_b32 off, v3, off offset:212 ; 4-byte Folded Spill
	v_add_co_ci_u32_e64 v3, null, s9, v2, vcc_lo
	v_add_co_u32 v1, vcc_lo, s10, v1
	s_mov_b32 s9, 0
	s_clause 0x1
	scratch_store_b32 off, v3, off offset:216
	scratch_store_b32 off, v1, off offset:220
	s_wait_alu 0xfffd
	v_add_co_ci_u32_e64 v1, null, s11, v2, vcc_lo
	s_wait_alu 0xfffe
	s_mov_b32 s11, s9
	scratch_store_b32 off, v1, off offset:224 ; 4-byte Folded Spill
	v_and_b32_e32 v1, 0x3ff, v208
	s_wait_kmcnt 0x0
	s_lshl_b32 s10, s8, 5
	s_wait_alu 0xfffe
	s_mul_u64 s[18:19], s[6:7], s[10:11]
	scratch_store_b32 off, v1, off offset:304 ; 4-byte Folded Spill
	v_dual_mov_b32 v1, 0 :: v_dual_add_nc_u32 v2, s28, v1
	s_wait_alu 0xfffe
	s_lshl_b64 s[18:19], s[18:19], 1
	s_delay_alu instid0(VALU_DEP_1) | instskip(SKIP_1) | instid1(VALU_DEP_2)
	v_mov_b32_e32 v3, v1
	v_mov_b32_e32 v201, v1
	v_lshlrev_b64_e32 v[158:159], 1, v[2:3]
.LBB166_145:                            ; =>This Inner Loop Header: Depth=1
	s_add_nc_u64 s[24:25], s[14:15], s[20:21]
	v_add_co_u32 v160, vcc_lo, s14, v220
	s_wait_alu 0xfffe
	v_cmp_ge_i64_e64 s8, s[24:25], s[4:5]
	s_wait_alu 0xfffd
	v_add_co_ci_u32_e64 v161, null, 0, v201, vcc_lo
                                        ; implicit-def: $vgpr202
	s_and_b32 vcc_lo, exec_lo, s8
	s_mov_b32 s8, -1
	s_wait_alu 0xfffe
	s_cbranch_vccz .LBB166_213
; %bb.146:                              ;   in Loop: Header=BB166_145 Depth=1
	s_load_b32 s8, s[16:17], 0xc
	s_clause 0x1
	scratch_load_b32 v2, off, off offset:300
	scratch_load_b32 v3, off, off offset:304
	v_dual_mov_b32 v4, 0 :: v_dual_mov_b32 v203, 0
	scratch_store_b32 off, v4, off offset:228 ; 4-byte Folded Spill
	s_wait_kmcnt 0x0
	s_and_b32 s8, s8, 0xffff
	s_wait_loadcnt 0x0
	s_wait_alu 0xfffe
	v_mad_u32_u24 v2, v2, s8, v3
	s_mov_b32 s8, exec_lo
	s_delay_alu instid0(VALU_DEP_1) | instskip(NEXT) | instid1(VALU_DEP_1)
	v_and_b32_e32 v2, 31, v2
	v_add_co_u32 v2, vcc_lo, v160, v2
	s_wait_alu 0xfffd
	v_add_co_ci_u32_e64 v3, null, 0, v161, vcc_lo
	s_delay_alu instid0(VALU_DEP_1)
	v_cmpx_gt_i64_e64 s[4:5], v[2:3]
	s_cbranch_execz .LBB166_148
; %bb.147:                              ;   in Loop: Header=BB166_145 Depth=1
	v_lshlrev_b64_e32 v[2:3], 2, v[2:3]
	s_delay_alu instid0(VALU_DEP_1) | instskip(SKIP_1) | instid1(VALU_DEP_2)
	v_add_co_u32 v2, vcc_lo, s12, v2
	s_wait_alu 0xfffd
	v_add_co_ci_u32_e64 v3, null, s13, v3, vcc_lo
	global_load_b32 v203, v[2:3], off
.LBB166_148:                            ;   in Loop: Header=BB166_145 Depth=1
	s_wait_alu 0xfffe
	s_or_b32 exec_lo, exec_lo, s8
	v_mov_b32_e32 v32, v1
	v_dual_mov_b32 v2, v1 :: v_dual_mov_b32 v3, v1
	v_dual_mov_b32 v4, v1 :: v_dual_mov_b32 v5, v1
	;; [unrolled: 1-line block ×15, first 2 shown]
	v_mov_b32_e32 v33, v32
	s_delay_alu instid0(VALU_DEP_2) | instskip(NEXT) | instid1(VALU_DEP_3)
	v_mov_b32_e32 v32, v31
	v_mov_b32_e32 v31, v30
	;; [unrolled: 1-line block ×31, first 2 shown]
	s_mov_b32 s8, exec_lo
	v_cmpx_gt_i64_e64 s[4:5], v[160:161]
	s_cbranch_execz .LBB166_150
; %bb.149:                              ;   in Loop: Header=BB166_145 Depth=1
	v_add_co_u32 v2, vcc_lo, v164, v158
	s_wait_alu 0xfffd
	v_add_co_ci_u32_e64 v3, null, v165, v159, vcc_lo
	v_dual_mov_b32 v5, v1 :: v_dual_mov_b32 v6, v1
	v_dual_mov_b32 v7, v1 :: v_dual_mov_b32 v8, v1
	global_load_u16 v4, v[2:3], off
	v_add_co_u32 v2, vcc_lo, v166, v158
	s_wait_alu 0xfffd
	v_add_co_ci_u32_e64 v3, null, v167, v159, vcc_lo
	v_dual_mov_b32 v9, v1 :: v_dual_mov_b32 v10, v1
	v_dual_mov_b32 v11, v1 :: v_dual_mov_b32 v12, v1
	global_load_u16 v202, v[2:3], off
	v_mov_b32_e32 v3, v1
	v_dual_mov_b32 v13, v1 :: v_dual_mov_b32 v14, v1
	v_dual_mov_b32 v15, v1 :: v_dual_mov_b32 v16, v1
	;; [unrolled: 1-line block ×10, first 2 shown]
	v_mov_b32_e32 v33, v1
	s_wait_loadcnt 0x1
	v_cvt_f32_f16_e32 v2, v4
	v_mov_b32_e32 v4, v1
	s_wait_loadcnt 0x0
	v_cvt_f32_f16_e64 v202, v202
	scratch_store_b32 off, v202, off offset:228 ; 4-byte Folded Spill
.LBB166_150:                            ;   in Loop: Header=BB166_145 Depth=1
	s_wait_alu 0xfffe
	s_or_b32 exec_lo, exec_lo, s8
	v_mov_b32_e32 v202, 0
	v_add_co_u32 v205, vcc_lo, v160, 1
	s_wait_alu 0xfffd
	v_add_co_ci_u32_e64 v206, null, 0, v161, vcc_lo
	scratch_store_b32 off, v202, off offset:232 ; 4-byte Folded Spill
	v_mov_b32_e32 v202, 0
	s_mov_b32 s8, exec_lo
	scratch_store_b32 off, v202, off offset:236 ; 4-byte Folded Spill
	v_cmpx_gt_i64_e64 s[4:5], v[205:206]
	s_cbranch_execz .LBB166_152
; %bb.151:                              ;   in Loop: Header=BB166_145 Depth=1
	scratch_load_b32 v3, off, off offset:220 ; 4-byte Folded Reload
	s_wait_loadcnt 0x0
	v_add_co_u32 v205, vcc_lo, v3, v158
	scratch_load_b32 v3, off, off offset:224 ; 4-byte Folded Reload
	s_wait_loadcnt 0x0
	s_wait_alu 0xfffd
	v_add_co_ci_u32_e64 v206, null, v3, v159, vcc_lo
	scratch_load_b32 v3, off, off offset:212 ; 4-byte Folded Reload
	s_wait_loadcnt 0x0
	v_add_co_u32 v207, vcc_lo, v3, v158
	scratch_load_b32 v3, off, off offset:216 ; 4-byte Folded Reload
	s_wait_loadcnt 0x0
	s_wait_alu 0xfffd
	v_add_co_ci_u32_e64 v208, null, v3, v159, vcc_lo
	global_load_u16 v3, v[205:206], off
	global_load_u16 v202, v[207:208], off
	s_wait_loadcnt 0x1
	v_cvt_f32_f16_e32 v3, v3
	scratch_store_b32 off, v3, off offset:236 ; 4-byte Folded Spill
	s_wait_loadcnt 0x0
	v_cvt_f32_f16_e64 v3, v202
.LBB166_152:                            ;   in Loop: Header=BB166_145 Depth=1
	s_wait_alu 0xfffe
	s_or_b32 exec_lo, exec_lo, s8
	v_add_co_u32 v205, vcc_lo, v160, 2
	s_wait_alu 0xfffd
	v_add_co_ci_u32_e64 v206, null, 0, v161, vcc_lo
	s_mov_b32 s8, exec_lo
	v_cmpx_gt_i64_e64 s[4:5], v[205:206]
	s_cbranch_execz .LBB166_154
; %bb.153:                              ;   in Loop: Header=BB166_145 Depth=1
	scratch_load_b32 v4, off, off offset:204 ; 4-byte Folded Reload
	s_wait_loadcnt 0x0
	v_add_co_u32 v205, vcc_lo, v4, v158
	scratch_load_b32 v4, off, off offset:208 ; 4-byte Folded Reload
	s_wait_loadcnt 0x0
	s_wait_alu 0xfffd
	v_add_co_ci_u32_e64 v206, null, v4, v159, vcc_lo
	scratch_load_b32 v4, off, off offset:196 ; 4-byte Folded Reload
	s_wait_loadcnt 0x0
	v_add_co_u32 v207, vcc_lo, v4, v158
	scratch_load_b32 v4, off, off offset:200 ; 4-byte Folded Reload
	s_wait_loadcnt 0x0
	s_wait_alu 0xfffd
	v_add_co_ci_u32_e64 v208, null, v4, v159, vcc_lo
	global_load_u16 v4, v[205:206], off
	global_load_u16 v202, v[207:208], off
	s_wait_loadcnt 0x1
	v_cvt_f32_f16_e32 v4, v4
	scratch_store_b32 off, v4, off offset:232 ; 4-byte Folded Spill
	s_wait_loadcnt 0x0
	v_cvt_f32_f16_e64 v4, v202
.LBB166_154:                            ;   in Loop: Header=BB166_145 Depth=1
	s_wait_alu 0xfffe
	s_or_b32 exec_lo, exec_lo, s8
	v_mov_b32_e32 v202, 0
	v_add_co_u32 v205, vcc_lo, v160, 3
	s_wait_alu 0xfffd
	v_add_co_ci_u32_e64 v206, null, 0, v161, vcc_lo
	scratch_store_b32 off, v202, off offset:240 ; 4-byte Folded Spill
	v_mov_b32_e32 v202, 0
	s_mov_b32 s8, exec_lo
	scratch_store_b32 off, v202, off offset:244 ; 4-byte Folded Spill
	v_cmpx_gt_i64_e64 s[4:5], v[205:206]
	s_cbranch_execz .LBB166_156
; %bb.155:                              ;   in Loop: Header=BB166_145 Depth=1
	scratch_load_b32 v5, off, off offset:188 ; 4-byte Folded Reload
	s_wait_loadcnt 0x0
	v_add_co_u32 v205, vcc_lo, v5, v158
	scratch_load_b32 v5, off, off offset:192 ; 4-byte Folded Reload
	s_wait_loadcnt 0x0
	s_wait_alu 0xfffd
	v_add_co_ci_u32_e64 v206, null, v5, v159, vcc_lo
	scratch_load_b32 v5, off, off offset:180 ; 4-byte Folded Reload
	s_wait_loadcnt 0x0
	v_add_co_u32 v207, vcc_lo, v5, v158
	scratch_load_b32 v5, off, off offset:184 ; 4-byte Folded Reload
	s_wait_loadcnt 0x0
	s_wait_alu 0xfffd
	v_add_co_ci_u32_e64 v208, null, v5, v159, vcc_lo
	global_load_u16 v5, v[205:206], off
	global_load_u16 v202, v[207:208], off
	s_wait_loadcnt 0x1
	v_cvt_f32_f16_e32 v5, v5
	scratch_store_b32 off, v5, off offset:244 ; 4-byte Folded Spill
	s_wait_loadcnt 0x0
	v_cvt_f32_f16_e64 v5, v202
.LBB166_156:                            ;   in Loop: Header=BB166_145 Depth=1
	s_wait_alu 0xfffe
	s_or_b32 exec_lo, exec_lo, s8
	v_add_co_u32 v205, vcc_lo, v160, 4
	s_wait_alu 0xfffd
	v_add_co_ci_u32_e64 v206, null, 0, v161, vcc_lo
	s_mov_b32 s8, exec_lo
	v_cmpx_gt_i64_e64 s[4:5], v[205:206]
	s_cbranch_execz .LBB166_158
; %bb.157:                              ;   in Loop: Header=BB166_145 Depth=1
	scratch_load_b32 v6, off, off offset:172 ; 4-byte Folded Reload
	s_wait_loadcnt 0x0
	v_add_co_u32 v205, vcc_lo, v6, v158
	scratch_load_b32 v6, off, off offset:176 ; 4-byte Folded Reload
	s_wait_loadcnt 0x0
	s_wait_alu 0xfffd
	v_add_co_ci_u32_e64 v206, null, v6, v159, vcc_lo
	scratch_load_b32 v6, off, off offset:164 ; 4-byte Folded Reload
	s_wait_loadcnt 0x0
	v_add_co_u32 v207, vcc_lo, v6, v158
	scratch_load_b32 v6, off, off offset:168 ; 4-byte Folded Reload
	s_wait_loadcnt 0x0
	s_wait_alu 0xfffd
	v_add_co_ci_u32_e64 v208, null, v6, v159, vcc_lo
	global_load_u16 v6, v[205:206], off
	global_load_u16 v202, v[207:208], off
	s_wait_loadcnt 0x1
	v_cvt_f32_f16_e32 v6, v6
	scratch_store_b32 off, v6, off offset:240 ; 4-byte Folded Spill
	s_wait_loadcnt 0x0
	v_cvt_f32_f16_e64 v6, v202
.LBB166_158:                            ;   in Loop: Header=BB166_145 Depth=1
	s_wait_alu 0xfffe
	s_or_b32 exec_lo, exec_lo, s8
	v_mov_b32_e32 v202, 0
	v_add_co_u32 v205, vcc_lo, v160, 5
	s_wait_alu 0xfffd
	v_add_co_ci_u32_e64 v206, null, 0, v161, vcc_lo
	scratch_store_b32 off, v202, off offset:248 ; 4-byte Folded Spill
	v_mov_b32_e32 v202, 0
	s_mov_b32 s8, exec_lo
	scratch_store_b32 off, v202, off offset:252 ; 4-byte Folded Spill
	v_cmpx_gt_i64_e64 s[4:5], v[205:206]
	s_cbranch_execz .LBB166_160
; %bb.159:                              ;   in Loop: Header=BB166_145 Depth=1
	scratch_load_b32 v7, off, off offset:156 ; 4-byte Folded Reload
	s_wait_loadcnt 0x0
	v_add_co_u32 v205, vcc_lo, v7, v158
	scratch_load_b32 v7, off, off offset:160 ; 4-byte Folded Reload
	s_wait_loadcnt 0x0
	s_wait_alu 0xfffd
	v_add_co_ci_u32_e64 v206, null, v7, v159, vcc_lo
	scratch_load_b32 v7, off, off offset:148 ; 4-byte Folded Reload
	s_wait_loadcnt 0x0
	v_add_co_u32 v207, vcc_lo, v7, v158
	scratch_load_b32 v7, off, off offset:152 ; 4-byte Folded Reload
	s_wait_loadcnt 0x0
	s_wait_alu 0xfffd
	v_add_co_ci_u32_e64 v208, null, v7, v159, vcc_lo
	global_load_u16 v7, v[205:206], off
	global_load_u16 v202, v[207:208], off
	s_wait_loadcnt 0x1
	v_cvt_f32_f16_e32 v7, v7
	scratch_store_b32 off, v7, off offset:252 ; 4-byte Folded Spill
	s_wait_loadcnt 0x0
	v_cvt_f32_f16_e64 v7, v202
.LBB166_160:                            ;   in Loop: Header=BB166_145 Depth=1
	s_wait_alu 0xfffe
	s_or_b32 exec_lo, exec_lo, s8
	v_add_co_u32 v205, vcc_lo, v160, 6
	s_wait_alu 0xfffd
	v_add_co_ci_u32_e64 v206, null, 0, v161, vcc_lo
	s_mov_b32 s8, exec_lo
	v_cmpx_gt_i64_e64 s[4:5], v[205:206]
	s_cbranch_execz .LBB166_162
; %bb.161:                              ;   in Loop: Header=BB166_145 Depth=1
	scratch_load_b32 v8, off, off offset:140 ; 4-byte Folded Reload
	s_wait_loadcnt 0x0
	v_add_co_u32 v205, vcc_lo, v8, v158
	scratch_load_b32 v8, off, off offset:144 ; 4-byte Folded Reload
	s_wait_loadcnt 0x0
	s_wait_alu 0xfffd
	v_add_co_ci_u32_e64 v206, null, v8, v159, vcc_lo
	scratch_load_b32 v8, off, off offset:132 ; 4-byte Folded Reload
	s_wait_loadcnt 0x0
	v_add_co_u32 v207, vcc_lo, v8, v158
	scratch_load_b32 v8, off, off offset:136 ; 4-byte Folded Reload
	s_wait_loadcnt 0x0
	s_wait_alu 0xfffd
	v_add_co_ci_u32_e64 v208, null, v8, v159, vcc_lo
	global_load_u16 v8, v[205:206], off
	global_load_u16 v202, v[207:208], off
	s_wait_loadcnt 0x1
	v_cvt_f32_f16_e32 v8, v8
	scratch_store_b32 off, v8, off offset:248 ; 4-byte Folded Spill
	s_wait_loadcnt 0x0
	v_cvt_f32_f16_e64 v8, v202
.LBB166_162:                            ;   in Loop: Header=BB166_145 Depth=1
	s_wait_alu 0xfffe
	s_or_b32 exec_lo, exec_lo, s8
	v_mov_b32_e32 v202, 0
	v_add_co_u32 v205, vcc_lo, v160, 7
	s_wait_alu 0xfffd
	v_add_co_ci_u32_e64 v206, null, 0, v161, vcc_lo
	scratch_store_b32 off, v202, off offset:256 ; 4-byte Folded Spill
	v_mov_b32_e32 v202, 0
	s_mov_b32 s8, exec_lo
	scratch_store_b32 off, v202, off offset:260 ; 4-byte Folded Spill
	v_cmpx_gt_i64_e64 s[4:5], v[205:206]
	s_cbranch_execz .LBB166_164
; %bb.163:                              ;   in Loop: Header=BB166_145 Depth=1
	scratch_load_b32 v9, off, off offset:124 ; 4-byte Folded Reload
	s_wait_loadcnt 0x0
	v_add_co_u32 v205, vcc_lo, v9, v158
	scratch_load_b32 v9, off, off offset:128 ; 4-byte Folded Reload
	s_wait_loadcnt 0x0
	s_wait_alu 0xfffd
	v_add_co_ci_u32_e64 v206, null, v9, v159, vcc_lo
	scratch_load_b32 v9, off, off offset:116 ; 4-byte Folded Reload
	s_wait_loadcnt 0x0
	v_add_co_u32 v207, vcc_lo, v9, v158
	scratch_load_b32 v9, off, off offset:120 ; 4-byte Folded Reload
	s_wait_loadcnt 0x0
	s_wait_alu 0xfffd
	v_add_co_ci_u32_e64 v208, null, v9, v159, vcc_lo
	global_load_u16 v9, v[205:206], off
	global_load_u16 v202, v[207:208], off
	s_wait_loadcnt 0x1
	v_cvt_f32_f16_e32 v9, v9
	scratch_store_b32 off, v9, off offset:260 ; 4-byte Folded Spill
	s_wait_loadcnt 0x0
	v_cvt_f32_f16_e64 v9, v202
.LBB166_164:                            ;   in Loop: Header=BB166_145 Depth=1
	s_wait_alu 0xfffe
	s_or_b32 exec_lo, exec_lo, s8
	v_add_co_u32 v205, vcc_lo, v160, 8
	s_wait_alu 0xfffd
	v_add_co_ci_u32_e64 v206, null, 0, v161, vcc_lo
	s_mov_b32 s8, exec_lo
	v_cmpx_gt_i64_e64 s[4:5], v[205:206]
	s_cbranch_execz .LBB166_166
; %bb.165:                              ;   in Loop: Header=BB166_145 Depth=1
	scratch_load_b32 v10, off, off offset:108 ; 4-byte Folded Reload
	s_wait_loadcnt 0x0
	v_add_co_u32 v205, vcc_lo, v10, v158
	scratch_load_b32 v10, off, off offset:112 ; 4-byte Folded Reload
	s_wait_loadcnt 0x0
	s_wait_alu 0xfffd
	v_add_co_ci_u32_e64 v206, null, v10, v159, vcc_lo
	scratch_load_b32 v10, off, off offset:100 ; 4-byte Folded Reload
	s_wait_loadcnt 0x0
	v_add_co_u32 v207, vcc_lo, v10, v158
	scratch_load_b32 v10, off, off offset:104 ; 4-byte Folded Reload
	s_wait_loadcnt 0x0
	s_wait_alu 0xfffd
	v_add_co_ci_u32_e64 v208, null, v10, v159, vcc_lo
	global_load_u16 v10, v[205:206], off
	global_load_u16 v202, v[207:208], off
	s_wait_loadcnt 0x1
	v_cvt_f32_f16_e32 v10, v10
	scratch_store_b32 off, v10, off offset:256 ; 4-byte Folded Spill
	s_wait_loadcnt 0x0
	v_cvt_f32_f16_e64 v10, v202
.LBB166_166:                            ;   in Loop: Header=BB166_145 Depth=1
	s_wait_alu 0xfffe
	s_or_b32 exec_lo, exec_lo, s8
	v_mov_b32_e32 v202, 0
	v_add_co_u32 v205, vcc_lo, v160, 9
	s_wait_alu 0xfffd
	v_add_co_ci_u32_e64 v206, null, 0, v161, vcc_lo
	scratch_store_b32 off, v202, off offset:264 ; 4-byte Folded Spill
	v_mov_b32_e32 v202, 0
	s_mov_b32 s8, exec_lo
	scratch_store_b32 off, v202, off offset:268 ; 4-byte Folded Spill
	v_cmpx_gt_i64_e64 s[4:5], v[205:206]
	s_cbranch_execz .LBB166_168
; %bb.167:                              ;   in Loop: Header=BB166_145 Depth=1
	scratch_load_b32 v11, off, off offset:92 ; 4-byte Folded Reload
	s_wait_loadcnt 0x0
	v_add_co_u32 v205, vcc_lo, v11, v158
	scratch_load_b32 v11, off, off offset:96 ; 4-byte Folded Reload
	s_wait_loadcnt 0x0
	s_wait_alu 0xfffd
	v_add_co_ci_u32_e64 v206, null, v11, v159, vcc_lo
	scratch_load_b32 v11, off, off offset:84 ; 4-byte Folded Reload
	s_wait_loadcnt 0x0
	v_add_co_u32 v207, vcc_lo, v11, v158
	scratch_load_b32 v11, off, off offset:88 ; 4-byte Folded Reload
	s_wait_loadcnt 0x0
	s_wait_alu 0xfffd
	v_add_co_ci_u32_e64 v208, null, v11, v159, vcc_lo
	global_load_u16 v11, v[205:206], off
	global_load_u16 v202, v[207:208], off
	s_wait_loadcnt 0x1
	v_cvt_f32_f16_e32 v11, v11
	scratch_store_b32 off, v11, off offset:268 ; 4-byte Folded Spill
	s_wait_loadcnt 0x0
	v_cvt_f32_f16_e64 v11, v202
.LBB166_168:                            ;   in Loop: Header=BB166_145 Depth=1
	s_wait_alu 0xfffe
	s_or_b32 exec_lo, exec_lo, s8
	v_add_co_u32 v205, vcc_lo, v160, 10
	s_wait_alu 0xfffd
	v_add_co_ci_u32_e64 v206, null, 0, v161, vcc_lo
	s_mov_b32 s8, exec_lo
	v_cmpx_gt_i64_e64 s[4:5], v[205:206]
	s_cbranch_execz .LBB166_170
; %bb.169:                              ;   in Loop: Header=BB166_145 Depth=1
	scratch_load_b32 v12, off, off offset:76 ; 4-byte Folded Reload
	s_wait_loadcnt 0x0
	v_add_co_u32 v205, vcc_lo, v12, v158
	scratch_load_b32 v12, off, off offset:80 ; 4-byte Folded Reload
	s_wait_loadcnt 0x0
	s_wait_alu 0xfffd
	v_add_co_ci_u32_e64 v206, null, v12, v159, vcc_lo
	scratch_load_b32 v12, off, off offset:68 ; 4-byte Folded Reload
	s_wait_loadcnt 0x0
	v_add_co_u32 v207, vcc_lo, v12, v158
	scratch_load_b32 v12, off, off offset:72 ; 4-byte Folded Reload
	s_wait_loadcnt 0x0
	s_wait_alu 0xfffd
	v_add_co_ci_u32_e64 v208, null, v12, v159, vcc_lo
	global_load_u16 v12, v[205:206], off
	global_load_u16 v202, v[207:208], off
	s_wait_loadcnt 0x1
	v_cvt_f32_f16_e32 v12, v12
	scratch_store_b32 off, v12, off offset:264 ; 4-byte Folded Spill
	s_wait_loadcnt 0x0
	v_cvt_f32_f16_e64 v12, v202
.LBB166_170:                            ;   in Loop: Header=BB166_145 Depth=1
	s_wait_alu 0xfffe
	s_or_b32 exec_lo, exec_lo, s8
	v_mov_b32_e32 v202, 0
	v_add_co_u32 v205, vcc_lo, v160, 11
	s_wait_alu 0xfffd
	v_add_co_ci_u32_e64 v206, null, 0, v161, vcc_lo
	scratch_store_b32 off, v202, off offset:272 ; 4-byte Folded Spill
	v_mov_b32_e32 v202, 0
	s_mov_b32 s8, exec_lo
	scratch_store_b32 off, v202, off offset:276 ; 4-byte Folded Spill
	v_cmpx_gt_i64_e64 s[4:5], v[205:206]
	s_cbranch_execz .LBB166_172
; %bb.171:                              ;   in Loop: Header=BB166_145 Depth=1
	scratch_load_b32 v13, off, off offset:60 ; 4-byte Folded Reload
	s_wait_loadcnt 0x0
	v_add_co_u32 v205, vcc_lo, v13, v158
	scratch_load_b32 v13, off, off offset:64 ; 4-byte Folded Reload
	s_wait_loadcnt 0x0
	s_wait_alu 0xfffd
	v_add_co_ci_u32_e64 v206, null, v13, v159, vcc_lo
	scratch_load_b32 v13, off, off offset:52 ; 4-byte Folded Reload
	s_wait_loadcnt 0x0
	v_add_co_u32 v207, vcc_lo, v13, v158
	scratch_load_b32 v13, off, off offset:56 ; 4-byte Folded Reload
	s_wait_loadcnt 0x0
	s_wait_alu 0xfffd
	v_add_co_ci_u32_e64 v208, null, v13, v159, vcc_lo
	global_load_u16 v13, v[205:206], off
	global_load_u16 v202, v[207:208], off
	s_wait_loadcnt 0x1
	v_cvt_f32_f16_e32 v13, v13
	scratch_store_b32 off, v13, off offset:276 ; 4-byte Folded Spill
	s_wait_loadcnt 0x0
	v_cvt_f32_f16_e64 v13, v202
.LBB166_172:                            ;   in Loop: Header=BB166_145 Depth=1
	s_wait_alu 0xfffe
	s_or_b32 exec_lo, exec_lo, s8
	v_add_co_u32 v205, vcc_lo, v160, 12
	s_wait_alu 0xfffd
	v_add_co_ci_u32_e64 v206, null, 0, v161, vcc_lo
	s_mov_b32 s8, exec_lo
	v_cmpx_gt_i64_e64 s[4:5], v[205:206]
	s_cbranch_execz .LBB166_174
; %bb.173:                              ;   in Loop: Header=BB166_145 Depth=1
	scratch_load_b32 v14, off, off offset:44 ; 4-byte Folded Reload
	s_wait_loadcnt 0x0
	v_add_co_u32 v205, vcc_lo, v14, v158
	scratch_load_b32 v14, off, off offset:48 ; 4-byte Folded Reload
	s_wait_loadcnt 0x0
	s_wait_alu 0xfffd
	v_add_co_ci_u32_e64 v206, null, v14, v159, vcc_lo
	scratch_load_b32 v14, off, off offset:36 ; 4-byte Folded Reload
	s_wait_loadcnt 0x0
	v_add_co_u32 v207, vcc_lo, v14, v158
	scratch_load_b32 v14, off, off offset:40 ; 4-byte Folded Reload
	s_wait_loadcnt 0x0
	s_wait_alu 0xfffd
	v_add_co_ci_u32_e64 v208, null, v14, v159, vcc_lo
	global_load_u16 v14, v[205:206], off
	global_load_u16 v202, v[207:208], off
	s_wait_loadcnt 0x1
	v_cvt_f32_f16_e32 v14, v14
	scratch_store_b32 off, v14, off offset:272 ; 4-byte Folded Spill
	s_wait_loadcnt 0x0
	v_cvt_f32_f16_e64 v14, v202
.LBB166_174:                            ;   in Loop: Header=BB166_145 Depth=1
	s_wait_alu 0xfffe
	s_or_b32 exec_lo, exec_lo, s8
	v_mov_b32_e32 v202, 0
	v_add_co_u32 v205, vcc_lo, v160, 13
	s_wait_alu 0xfffd
	v_add_co_ci_u32_e64 v206, null, 0, v161, vcc_lo
	scratch_store_b32 off, v202, off offset:280 ; 4-byte Folded Spill
	v_mov_b32_e32 v202, 0
	s_mov_b32 s8, exec_lo
	scratch_store_b32 off, v202, off offset:284 ; 4-byte Folded Spill
	v_cmpx_gt_i64_e64 s[4:5], v[205:206]
	s_cbranch_execz .LBB166_176
; %bb.175:                              ;   in Loop: Header=BB166_145 Depth=1
	scratch_load_b32 v15, off, off offset:28 ; 4-byte Folded Reload
	s_wait_loadcnt 0x0
	v_add_co_u32 v205, vcc_lo, v15, v158
	scratch_load_b32 v15, off, off offset:32 ; 4-byte Folded Reload
	s_wait_loadcnt 0x0
	s_wait_alu 0xfffd
	v_add_co_ci_u32_e64 v206, null, v15, v159, vcc_lo
	scratch_load_b32 v15, off, off offset:20 ; 4-byte Folded Reload
	s_wait_loadcnt 0x0
	v_add_co_u32 v207, vcc_lo, v15, v158
	scratch_load_b32 v15, off, off offset:24 ; 4-byte Folded Reload
	s_wait_loadcnt 0x0
	s_wait_alu 0xfffd
	v_add_co_ci_u32_e64 v208, null, v15, v159, vcc_lo
	global_load_u16 v15, v[205:206], off
	global_load_u16 v202, v[207:208], off
	s_wait_loadcnt 0x1
	v_cvt_f32_f16_e32 v15, v15
	scratch_store_b32 off, v15, off offset:284 ; 4-byte Folded Spill
	s_wait_loadcnt 0x0
	v_cvt_f32_f16_e64 v15, v202
.LBB166_176:                            ;   in Loop: Header=BB166_145 Depth=1
	s_wait_alu 0xfffe
	s_or_b32 exec_lo, exec_lo, s8
	v_add_co_u32 v205, vcc_lo, v160, 14
	s_wait_alu 0xfffd
	v_add_co_ci_u32_e64 v206, null, 0, v161, vcc_lo
	s_mov_b32 s8, exec_lo
	v_cmpx_gt_i64_e64 s[4:5], v[205:206]
	s_cbranch_execz .LBB166_178
; %bb.177:                              ;   in Loop: Header=BB166_145 Depth=1
	scratch_load_b32 v16, off, off offset:16 ; 4-byte Folded Reload
	v_add_co_u32 v205, vcc_lo, v221, v158
	s_wait_loadcnt 0x0
	s_wait_alu 0xfffd
	v_add_co_ci_u32_e64 v206, null, v16, v159, vcc_lo
	v_add_co_u32 v207, vcc_lo, v199, v158
	s_wait_alu 0xfffd
	v_add_co_ci_u32_e64 v208, null, v200, v159, vcc_lo
	global_load_u16 v16, v[205:206], off
	global_load_u16 v202, v[207:208], off
	s_wait_loadcnt 0x1
	v_cvt_f32_f16_e32 v16, v16
	scratch_store_b32 off, v16, off offset:280 ; 4-byte Folded Spill
	s_wait_loadcnt 0x0
	v_cvt_f32_f16_e64 v16, v202
.LBB166_178:                            ;   in Loop: Header=BB166_145 Depth=1
	s_wait_alu 0xfffe
	s_or_b32 exec_lo, exec_lo, s8
	v_mov_b32_e32 v202, 0
	v_add_co_u32 v205, vcc_lo, v160, 15
	s_wait_alu 0xfffd
	v_add_co_ci_u32_e64 v206, null, 0, v161, vcc_lo
	scratch_store_b32 off, v202, off offset:288 ; 4-byte Folded Spill
	v_mov_b32_e32 v202, 0
	s_mov_b32 s8, exec_lo
	scratch_store_b32 off, v202, off offset:292 ; 4-byte Folded Spill
	v_cmpx_gt_i64_e64 s[4:5], v[205:206]
	s_cbranch_execz .LBB166_180
; %bb.179:                              ;   in Loop: Header=BB166_145 Depth=1
	v_add_co_u32 v205, vcc_lo, v197, v158
	s_wait_alu 0xfffd
	v_add_co_ci_u32_e64 v206, null, v198, v159, vcc_lo
	v_add_co_u32 v207, vcc_lo, v195, v158
	s_wait_alu 0xfffd
	v_add_co_ci_u32_e64 v208, null, v196, v159, vcc_lo
	global_load_u16 v17, v[205:206], off
	global_load_u16 v202, v[207:208], off
	s_wait_loadcnt 0x1
	v_cvt_f32_f16_e32 v17, v17
	scratch_store_b32 off, v17, off offset:292 ; 4-byte Folded Spill
	s_wait_loadcnt 0x0
	v_cvt_f32_f16_e64 v17, v202
.LBB166_180:                            ;   in Loop: Header=BB166_145 Depth=1
	s_wait_alu 0xfffe
	s_or_b32 exec_lo, exec_lo, s8
	v_add_co_u32 v205, vcc_lo, v160, 16
	s_wait_alu 0xfffd
	v_add_co_ci_u32_e64 v206, null, 0, v161, vcc_lo
	s_mov_b32 s8, exec_lo
	v_cmpx_gt_i64_e64 s[4:5], v[205:206]
	s_cbranch_execz .LBB166_182
; %bb.181:                              ;   in Loop: Header=BB166_145 Depth=1
	v_add_co_u32 v205, vcc_lo, v193, v158
	s_wait_alu 0xfffd
	v_add_co_ci_u32_e64 v206, null, v194, v159, vcc_lo
	v_add_co_u32 v207, vcc_lo, v191, v158
	s_wait_alu 0xfffd
	v_add_co_ci_u32_e64 v208, null, v192, v159, vcc_lo
	global_load_u16 v18, v[205:206], off
	global_load_u16 v202, v[207:208], off
	s_wait_loadcnt 0x1
	v_cvt_f32_f16_e32 v18, v18
	scratch_store_b32 off, v18, off offset:288 ; 4-byte Folded Spill
	s_wait_loadcnt 0x0
	v_cvt_f32_f16_e64 v18, v202
.LBB166_182:                            ;   in Loop: Header=BB166_145 Depth=1
	s_wait_alu 0xfffe
	s_or_b32 exec_lo, exec_lo, s8
	v_add_co_u32 v205, vcc_lo, v160, 17
	s_wait_alu 0xfffd
	v_add_co_ci_u32_e64 v206, null, 0, v161, vcc_lo
	v_mov_b32_e32 v202, 0
	s_delay_alu instid0(VALU_DEP_2)
	v_cmp_gt_i64_e32 vcc_lo, s[4:5], v[205:206]
	v_mov_b32_e32 v205, 0
	s_and_saveexec_b32 s8, vcc_lo
	s_cbranch_execz .LBB166_184
; %bb.183:                              ;   in Loop: Header=BB166_145 Depth=1
	v_add_co_u32 v205, vcc_lo, v189, v158
	s_wait_alu 0xfffd
	v_add_co_ci_u32_e64 v206, null, v190, v159, vcc_lo
	v_add_co_u32 v207, vcc_lo, v187, v158
	s_wait_alu 0xfffd
	v_add_co_ci_u32_e64 v208, null, v188, v159, vcc_lo
	global_load_u16 v19, v[205:206], off
	v_mov_b32_e32 v205, 0
	global_load_u16 v206, v[207:208], off
	s_wait_loadcnt 0x1
	v_cvt_f32_f16_e64 v202, v19
	s_wait_loadcnt 0x0
	v_cvt_f32_f16_e64 v19, v206
.LBB166_184:                            ;   in Loop: Header=BB166_145 Depth=1
	s_wait_alu 0xfffe
	s_or_b32 exec_lo, exec_lo, s8
	v_add_co_u32 v206, vcc_lo, v160, 18
	s_wait_alu 0xfffd
	v_add_co_ci_u32_e64 v207, null, 0, v161, vcc_lo
	s_mov_b32 s8, exec_lo
	v_cmpx_gt_i64_e64 s[4:5], v[206:207]
	s_cbranch_execz .LBB166_186
; %bb.185:                              ;   in Loop: Header=BB166_145 Depth=1
	v_add_co_u32 v206, vcc_lo, v185, v158
	s_wait_alu 0xfffd
	v_add_co_ci_u32_e64 v207, null, v186, v159, vcc_lo
	v_add_co_u32 v208, vcc_lo, v183, v158
	s_wait_alu 0xfffd
	v_add_co_ci_u32_e64 v209, null, v184, v159, vcc_lo
	global_load_u16 v20, v[206:207], off
	global_load_u16 v206, v[208:209], off
	s_wait_loadcnt 0x1
	v_cvt_f32_f16_e64 v205, v20
	s_wait_loadcnt 0x0
	v_cvt_f32_f16_e64 v20, v206
.LBB166_186:                            ;   in Loop: Header=BB166_145 Depth=1
	s_wait_alu 0xfffe
	s_or_b32 exec_lo, exec_lo, s8
	v_add_co_u32 v206, vcc_lo, v160, 19
	s_wait_alu 0xfffd
	v_add_co_ci_u32_e64 v207, null, 0, v161, vcc_lo
	s_delay_alu instid0(VALU_DEP_1)
	v_cmp_gt_i64_e32 vcc_lo, s[4:5], v[206:207]
	v_dual_mov_b32 v206, 0 :: v_dual_mov_b32 v207, 0
	scratch_store_b32 off, v207, off offset:296 ; 4-byte Folded Spill
	s_and_saveexec_b32 s8, vcc_lo
	s_cbranch_execz .LBB166_188
; %bb.187:                              ;   in Loop: Header=BB166_145 Depth=1
	v_add_co_u32 v207, vcc_lo, v181, v158
	s_wait_alu 0xfffd
	v_add_co_ci_u32_e64 v208, null, v182, v159, vcc_lo
	v_add_co_u32 v209, vcc_lo, v179, v158
	s_wait_alu 0xfffd
	v_add_co_ci_u32_e64 v210, null, v180, v159, vcc_lo
	global_load_u16 v21, v[207:208], off
	global_load_u16 v208, v[209:210], off
	s_wait_loadcnt 0x1
	v_cvt_f32_f16_e32 v21, v21
	scratch_store_b32 off, v21, off offset:296 ; 4-byte Folded Spill
	s_wait_loadcnt 0x0
	v_cvt_f32_f16_e64 v21, v208
.LBB166_188:                            ;   in Loop: Header=BB166_145 Depth=1
	s_wait_alu 0xfffe
	s_or_b32 exec_lo, exec_lo, s8
	v_add_co_u32 v208, vcc_lo, v160, 20
	s_wait_alu 0xfffd
	v_add_co_ci_u32_e64 v209, null, 0, v161, vcc_lo
	s_mov_b32 s8, exec_lo
	v_cmpx_gt_i64_e64 s[4:5], v[208:209]
	s_cbranch_execz .LBB166_190
; %bb.189:                              ;   in Loop: Header=BB166_145 Depth=1
	v_add_co_u32 v208, vcc_lo, v177, v158
	s_wait_alu 0xfffd
	v_add_co_ci_u32_e64 v209, null, v178, v159, vcc_lo
	v_add_co_u32 v210, vcc_lo, v175, v158
	s_wait_alu 0xfffd
	v_add_co_ci_u32_e64 v211, null, v176, v159, vcc_lo
	global_load_u16 v22, v[208:209], off
	global_load_u16 v208, v[210:211], off
	s_wait_loadcnt 0x1
	v_cvt_f32_f16_e64 v206, v22
	s_wait_loadcnt 0x0
	v_cvt_f32_f16_e64 v22, v208
.LBB166_190:                            ;   in Loop: Header=BB166_145 Depth=1
	s_wait_alu 0xfffe
	s_or_b32 exec_lo, exec_lo, s8
	v_add_co_u32 v208, vcc_lo, v160, 21
	s_wait_alu 0xfffd
	v_add_co_ci_u32_e64 v209, null, 0, v161, vcc_lo
	s_delay_alu instid0(VALU_DEP_1)
	v_cmp_gt_i64_e32 vcc_lo, s[4:5], v[208:209]
	v_dual_mov_b32 v208, 0 :: v_dual_mov_b32 v209, 0
	s_and_saveexec_b32 s8, vcc_lo
	s_cbranch_execz .LBB166_192
; %bb.191:                              ;   in Loop: Header=BB166_145 Depth=1
	v_add_co_u32 v209, vcc_lo, v173, v158
	s_wait_alu 0xfffd
	v_add_co_ci_u32_e64 v210, null, v174, v159, vcc_lo
	v_add_co_u32 v211, vcc_lo, v171, v158
	s_wait_alu 0xfffd
	v_add_co_ci_u32_e64 v212, null, v172, v159, vcc_lo
	global_load_u16 v23, v[209:210], off
	global_load_u16 v210, v[211:212], off
	s_wait_loadcnt 0x1
	v_cvt_f32_f16_e64 v209, v23
	s_wait_loadcnt 0x0
	v_cvt_f32_f16_e64 v23, v210
.LBB166_192:                            ;   in Loop: Header=BB166_145 Depth=1
	s_wait_alu 0xfffe
	s_or_b32 exec_lo, exec_lo, s8
	v_add_co_u32 v210, vcc_lo, v160, 22
	s_wait_alu 0xfffd
	v_add_co_ci_u32_e64 v211, null, 0, v161, vcc_lo
	s_mov_b32 s8, exec_lo
	v_cmpx_gt_i64_e64 s[4:5], v[210:211]
	s_cbranch_execz .LBB166_194
; %bb.193:                              ;   in Loop: Header=BB166_145 Depth=1
	v_add_co_u32 v210, vcc_lo, v169, v158
	s_wait_alu 0xfffd
	v_add_co_ci_u32_e64 v211, null, v170, v159, vcc_lo
	v_add_co_u32 v212, vcc_lo, v163, v158
	s_wait_alu 0xfffd
	v_add_co_ci_u32_e64 v213, null, v168, v159, vcc_lo
	global_load_u16 v24, v[210:211], off
	global_load_u16 v210, v[212:213], off
	s_wait_loadcnt 0x1
	v_cvt_f32_f16_e64 v208, v24
	s_wait_loadcnt 0x0
	v_cvt_f32_f16_e64 v24, v210
.LBB166_194:                            ;   in Loop: Header=BB166_145 Depth=1
	s_wait_alu 0xfffe
	s_or_b32 exec_lo, exec_lo, s8
	v_add_co_u32 v210, vcc_lo, v160, 23
	s_wait_alu 0xfffd
	v_add_co_ci_u32_e64 v211, null, 0, v161, vcc_lo
	s_delay_alu instid0(VALU_DEP_1)
	v_cmp_gt_i64_e32 vcc_lo, s[4:5], v[210:211]
	v_dual_mov_b32 v210, 0 :: v_dual_mov_b32 v211, 0
	s_and_saveexec_b32 s8, vcc_lo
	s_cbranch_execz .LBB166_196
; %bb.195:                              ;   in Loop: Header=BB166_145 Depth=1
	v_add_co_u32 v211, vcc_lo, v162, v158
	s_wait_alu 0xfffd
	v_add_co_ci_u32_e64 v212, null, v0, v159, vcc_lo
	v_add_co_u32 v213, vcc_lo, v254, v158
	s_wait_alu 0xfffd
	v_add_co_ci_u32_e64 v214, null, v255, v159, vcc_lo
	global_load_u16 v25, v[211:212], off
	global_load_u16 v212, v[213:214], off
	s_wait_loadcnt 0x1
	v_cvt_f32_f16_e64 v211, v25
	s_wait_loadcnt 0x0
	v_cvt_f32_f16_e64 v25, v212
.LBB166_196:                            ;   in Loop: Header=BB166_145 Depth=1
	s_wait_alu 0xfffe
	s_or_b32 exec_lo, exec_lo, s8
	v_add_co_u32 v212, vcc_lo, v160, 24
	s_wait_alu 0xfffd
	v_add_co_ci_u32_e64 v213, null, 0, v161, vcc_lo
	s_mov_b32 s8, exec_lo
	v_cmpx_gt_i64_e64 s[4:5], v[212:213]
	s_cbranch_execz .LBB166_198
; %bb.197:                              ;   in Loop: Header=BB166_145 Depth=1
	v_add_co_u32 v212, vcc_lo, v252, v158
	s_wait_alu 0xfffd
	v_add_co_ci_u32_e64 v213, null, v253, v159, vcc_lo
	v_add_co_u32 v214, vcc_lo, v250, v158
	s_wait_alu 0xfffd
	v_add_co_ci_u32_e64 v215, null, v251, v159, vcc_lo
	global_load_u16 v26, v[212:213], off
	global_load_u16 v212, v[214:215], off
	s_wait_loadcnt 0x1
	v_cvt_f32_f16_e64 v210, v26
	s_wait_loadcnt 0x0
	v_cvt_f32_f16_e64 v26, v212
.LBB166_198:                            ;   in Loop: Header=BB166_145 Depth=1
	s_wait_alu 0xfffe
	s_or_b32 exec_lo, exec_lo, s8
	v_add_co_u32 v212, vcc_lo, v160, 25
	s_wait_alu 0xfffd
	v_add_co_ci_u32_e64 v213, null, 0, v161, vcc_lo
	v_mov_b32_e32 v37, 0
	s_delay_alu instid0(VALU_DEP_2)
	v_cmp_gt_i64_e32 vcc_lo, s[4:5], v[212:213]
	v_mov_b32_e32 v212, 0
	s_and_saveexec_b32 s8, vcc_lo
	s_cbranch_execz .LBB166_200
; %bb.199:                              ;   in Loop: Header=BB166_145 Depth=1
	v_add_co_u32 v213, vcc_lo, v248, v158
	s_wait_alu 0xfffd
	v_add_co_ci_u32_e64 v214, null, v249, v159, vcc_lo
	v_add_co_u32 v215, vcc_lo, v246, v158
	s_wait_alu 0xfffd
	v_add_co_ci_u32_e64 v216, null, v247, v159, vcc_lo
	global_load_u16 v27, v[213:214], off
	global_load_u16 v214, v[215:216], off
	s_wait_loadcnt 0x1
	v_cvt_f32_f16_e32 v37, v27
	s_wait_loadcnt 0x0
	v_cvt_f32_f16_e64 v27, v214
.LBB166_200:                            ;   in Loop: Header=BB166_145 Depth=1
	s_wait_alu 0xfffe
	s_or_b32 exec_lo, exec_lo, s8
	v_add_co_u32 v214, vcc_lo, v160, 26
	s_wait_alu 0xfffd
	v_add_co_ci_u32_e64 v215, null, 0, v161, vcc_lo
	s_mov_b32 s8, exec_lo
	v_cmpx_gt_i64_e64 s[4:5], v[214:215]
	s_cbranch_execz .LBB166_202
; %bb.201:                              ;   in Loop: Header=BB166_145 Depth=1
	v_add_co_u32 v214, vcc_lo, v244, v158
	s_wait_alu 0xfffd
	v_add_co_ci_u32_e64 v215, null, v245, v159, vcc_lo
	v_add_co_u32 v216, vcc_lo, v242, v158
	s_wait_alu 0xfffd
	v_add_co_ci_u32_e64 v217, null, v243, v159, vcc_lo
	global_load_u16 v28, v[214:215], off
	global_load_u16 v214, v[216:217], off
	s_wait_loadcnt 0x1
	v_cvt_f32_f16_e64 v212, v28
	s_wait_loadcnt 0x0
	v_cvt_f32_f16_e64 v28, v214
.LBB166_202:                            ;   in Loop: Header=BB166_145 Depth=1
	s_wait_alu 0xfffe
	s_or_b32 exec_lo, exec_lo, s8
	v_add_co_u32 v214, vcc_lo, v160, 27
	s_wait_alu 0xfffd
	v_add_co_ci_u32_e64 v215, null, 0, v161, vcc_lo
	v_dual_mov_b32 v105, 0 :: v_dual_mov_b32 v36, 0
	s_mov_b32 s8, exec_lo
	s_delay_alu instid0(VALU_DEP_2)
	v_cmpx_gt_i64_e64 s[4:5], v[214:215]
	s_cbranch_execz .LBB166_204
; %bb.203:                              ;   in Loop: Header=BB166_145 Depth=1
	v_add_co_u32 v215, vcc_lo, v240, v158
	s_wait_alu 0xfffd
	v_add_co_ci_u32_e64 v216, null, v241, v159, vcc_lo
	v_add_co_u32 v217, vcc_lo, v238, v158
	s_wait_alu 0xfffd
	v_add_co_ci_u32_e64 v218, null, v239, v159, vcc_lo
	global_load_u16 v29, v[215:216], off
	global_load_u16 v216, v[217:218], off
	s_wait_loadcnt 0x1
	v_cvt_f32_f16_e32 v36, v29
	s_wait_loadcnt 0x0
	v_cvt_f32_f16_e64 v29, v216
.LBB166_204:                            ;   in Loop: Header=BB166_145 Depth=1
	s_wait_alu 0xfffe
	s_or_b32 exec_lo, exec_lo, s8
	v_add_co_u32 v216, vcc_lo, v160, 28
	s_wait_alu 0xfffd
	v_add_co_ci_u32_e64 v217, null, 0, v161, vcc_lo
	s_mov_b32 s8, exec_lo
	v_cmpx_gt_i64_e64 s[4:5], v[216:217]
	s_cbranch_execz .LBB166_206
; %bb.205:                              ;   in Loop: Header=BB166_145 Depth=1
	v_add_co_u32 v216, vcc_lo, v236, v158
	s_wait_alu 0xfffd
	v_add_co_ci_u32_e64 v217, null, v237, v159, vcc_lo
	v_add_co_u32 v218, vcc_lo, v234, v158
	s_wait_alu 0xfffd
	v_add_co_ci_u32_e64 v219, null, v235, v159, vcc_lo
	global_load_u16 v30, v[216:217], off
	global_load_u16 v216, v[218:219], off
	s_wait_loadcnt 0x1
	v_cvt_f32_f16_e32 v105, v30
	s_wait_loadcnt 0x0
	v_cvt_f32_f16_e64 v30, v216
.LBB166_206:                            ;   in Loop: Header=BB166_145 Depth=1
	s_wait_alu 0xfffe
	s_or_b32 exec_lo, exec_lo, s8
	v_add_co_u32 v216, vcc_lo, v160, 29
	s_wait_alu 0xfffd
	v_add_co_ci_u32_e64 v217, null, 0, v161, vcc_lo
	v_mov_b32_e32 v207, v202
	s_delay_alu instid0(VALU_DEP_2)
	v_cmp_gt_i64_e32 vcc_lo, s[4:5], v[216:217]
	v_dual_mov_b32 v216, 0 :: v_dual_mov_b32 v217, 0
	s_and_saveexec_b32 s8, vcc_lo
	s_cbranch_execz .LBB166_208
; %bb.207:                              ;   in Loop: Header=BB166_145 Depth=1
	v_add_co_u32 v217, vcc_lo, v232, v158
	s_wait_alu 0xfffd
	v_add_co_ci_u32_e64 v218, null, v233, v159, vcc_lo
	v_add_co_u32 v219, vcc_lo, v230, v158
	v_dual_mov_b32 v202, v221 :: v_dual_mov_b32 v221, v223
	v_dual_mov_b32 v223, v222 :: v_dual_mov_b32 v222, v220
	s_wait_alu 0xfffd
	v_add_co_ci_u32_e64 v220, null, v231, v159, vcc_lo
	global_load_u16 v31, v[217:218], off
	global_load_u16 v218, v[219:220], off
	v_mov_b32_e32 v220, v222
	v_dual_mov_b32 v222, v223 :: v_dual_mov_b32 v223, v221
	v_mov_b32_e32 v221, v202
	s_wait_loadcnt 0x1
	v_cvt_f32_f16_e64 v217, v31
	s_wait_loadcnt 0x0
	v_cvt_f32_f16_e64 v31, v218
.LBB166_208:                            ;   in Loop: Header=BB166_145 Depth=1
	s_wait_alu 0xfffe
	s_or_b32 exec_lo, exec_lo, s8
	v_add_co_u32 v218, vcc_lo, v160, 30
	s_wait_alu 0xfffd
	v_add_co_ci_u32_e64 v219, null, 0, v161, vcc_lo
	s_mov_b32 s8, exec_lo
	v_cmpx_gt_i64_e64 s[4:5], v[218:219]
	s_cbranch_execz .LBB166_210
; %bb.209:                              ;   in Loop: Header=BB166_145 Depth=1
	v_add_co_u32 v218, vcc_lo, v228, v158
	s_wait_alu 0xfffd
	v_add_co_ci_u32_e64 v219, null, v229, v159, vcc_lo
	v_mov_b32_e32 v202, v221
	v_mov_b32_e32 v216, v220
	v_add_co_u32 v220, vcc_lo, v226, v158
	s_wait_alu 0xfffd
	v_add_co_ci_u32_e64 v221, null, v227, v159, vcc_lo
	global_load_u16 v32, v[218:219], off
	global_load_u16 v218, v[220:221], off
	v_dual_mov_b32 v221, v202 :: v_dual_mov_b32 v220, v216
	s_wait_loadcnt 0x1
	v_cvt_f32_f16_e64 v216, v32
	s_wait_loadcnt 0x0
	v_cvt_f32_f16_e64 v32, v218
.LBB166_210:                            ;   in Loop: Header=BB166_145 Depth=1
	s_wait_alu 0xfffe
	s_or_b32 exec_lo, exec_lo, s8
	v_add_co_u32 v218, vcc_lo, v160, 31
	s_wait_alu 0xfffd
	v_add_co_ci_u32_e64 v219, null, 0, v161, vcc_lo
	s_delay_alu instid0(VALU_DEP_1)
	v_cmp_gt_i64_e32 vcc_lo, s[4:5], v[218:219]
	v_mov_b32_e32 v218, 0
	s_and_saveexec_b32 s8, vcc_lo
	s_cbranch_execz .LBB166_212
; %bb.211:                              ;   in Loop: Header=BB166_145 Depth=1
	v_dual_mov_b32 v202, v167 :: v_dual_mov_b32 v167, v166
	v_dual_mov_b32 v166, v165 :: v_dual_mov_b32 v165, v164
	v_mov_b32_e32 v164, v200
	v_dual_mov_b32 v200, v199 :: v_dual_mov_b32 v199, v198
	v_dual_mov_b32 v198, v197 :: v_dual_mov_b32 v197, v196
	;; [unrolled: 1-line block ×17, first 2 shown]
	v_mov_b32_e32 v0, v162
	v_dual_mov_b32 v162, v255 :: v_dual_mov_b32 v255, v254
	v_dual_mov_b32 v254, v253 :: v_dual_mov_b32 v253, v252
	;; [unrolled: 1-line block ×15, first 2 shown]
	v_add_co_u32 v218, vcc_lo, v224, v158
	v_mov_b32_e32 v214, v156
	v_dual_mov_b32 v156, v155 :: v_dual_mov_b32 v227, v226
	v_dual_mov_b32 v226, v225 :: v_dual_mov_b32 v155, v154
	v_mov_b32_e32 v154, v153
	s_wait_alu 0xfffd
	v_add_co_ci_u32_e64 v219, null, v225, v159, vcc_lo
	v_dual_mov_b32 v225, v224 :: v_dual_mov_b32 v224, v220
	v_dual_mov_b32 v153, v152 :: v_dual_mov_b32 v152, v151
	;; [unrolled: 1-line block ×30, first 2 shown]
	v_mov_b32_e32 v96, v95
	v_dual_mov_b32 v95, v94 :: v_dual_mov_b32 v94, v93
	v_dual_mov_b32 v93, v92 :: v_dual_mov_b32 v92, v91
	v_dual_mov_b32 v91, v90 :: v_dual_mov_b32 v90, v89
	v_dual_mov_b32 v89, v88 :: v_dual_mov_b32 v88, v87
	v_dual_mov_b32 v87, v86 :: v_dual_mov_b32 v86, v85
	v_dual_mov_b32 v85, v84 :: v_dual_mov_b32 v84, v83
	v_dual_mov_b32 v83, v82 :: v_dual_mov_b32 v82, v81
	v_dual_mov_b32 v81, v80 :: v_dual_mov_b32 v80, v79
	v_dual_mov_b32 v79, v78 :: v_dual_mov_b32 v78, v77
	v_dual_mov_b32 v77, v76 :: v_dual_mov_b32 v76, v75
	v_dual_mov_b32 v75, v74 :: v_dual_mov_b32 v74, v73
	v_dual_mov_b32 v73, v72 :: v_dual_mov_b32 v72, v71
	v_dual_mov_b32 v71, v70 :: v_dual_mov_b32 v70, v69
	v_dual_mov_b32 v69, v68 :: v_dual_mov_b32 v68, v67
	v_dual_mov_b32 v67, v66 :: v_dual_mov_b32 v66, v65
	v_dual_mov_b32 v65, v64 :: v_dual_mov_b32 v64, v63
	v_dual_mov_b32 v63, v62 :: v_dual_mov_b32 v62, v61
	v_dual_mov_b32 v61, v60 :: v_dual_mov_b32 v60, v59
	v_dual_mov_b32 v59, v58 :: v_dual_mov_b32 v58, v57
	v_dual_mov_b32 v57, v56 :: v_dual_mov_b32 v56, v55
	v_dual_mov_b32 v55, v54 :: v_dual_mov_b32 v54, v53
	v_dual_mov_b32 v53, v52 :: v_dual_mov_b32 v52, v51
	v_dual_mov_b32 v51, v50 :: v_dual_mov_b32 v50, v49
	v_dual_mov_b32 v49, v48 :: v_dual_mov_b32 v48, v47
	v_dual_mov_b32 v47, v46 :: v_dual_mov_b32 v46, v45
	v_add_co_u32 v220, vcc_lo, v222, v158
	v_dual_mov_b32 v34, v211 :: v_dual_mov_b32 v211, v210
	v_dual_mov_b32 v45, v44 :: v_dual_mov_b32 v44, v43
	v_dual_mov_b32 v210, v209 :: v_dual_mov_b32 v209, v208
	v_dual_mov_b32 v43, v42 :: v_dual_mov_b32 v42, v41
	v_dual_mov_b32 v208, v201 :: v_dual_mov_b32 v201, v206
	v_dual_mov_b32 v41, v40 :: v_dual_mov_b32 v40, v39
	v_dual_mov_b32 v206, v205 :: v_dual_mov_b32 v205, v221
	s_wait_alu 0xfffd
	v_add_co_ci_u32_e64 v221, null, v223, v159, vcc_lo
	global_load_u16 v33, v[218:219], off
	global_load_u16 v219, v[220:221], off
	v_mov_b32_e32 v39, v38
	v_mov_b32_e32 v221, v205
	v_dual_mov_b32 v205, v206 :: v_dual_mov_b32 v206, v201
	s_delay_alu instid0(VALU_DEP_3)
	v_dual_mov_b32 v201, v208 :: v_dual_mov_b32 v38, v39
	v_dual_mov_b32 v208, v209 :: v_dual_mov_b32 v39, v40
	;; [unrolled: 1-line block ×4, first 2 shown]
	v_mov_b32_e32 v42, v43
	v_dual_mov_b32 v43, v44 :: v_dual_mov_b32 v44, v45
	v_dual_mov_b32 v45, v46 :: v_dual_mov_b32 v46, v47
	;; [unrolled: 1-line block ×27, first 2 shown]
	v_mov_b32_e32 v211, v34
	v_dual_mov_b32 v97, v98 :: v_dual_mov_b32 v98, v99
	v_dual_mov_b32 v34, v212 :: v_dual_mov_b32 v99, v100
	;; [unrolled: 1-line block ×3, first 2 shown]
	v_mov_b32_e32 v212, v106
	v_dual_mov_b32 v106, v107 :: v_dual_mov_b32 v101, v102
	v_dual_mov_b32 v102, v103 :: v_dual_mov_b32 v107, v108
	v_mov_b32_e32 v108, v109
	v_dual_mov_b32 v109, v110 :: v_dual_mov_b32 v110, v111
	v_dual_mov_b32 v111, v112 :: v_dual_mov_b32 v112, v113
	;; [unrolled: 1-line block ×22, first 2 shown]
	v_mov_b32_e32 v220, v224
	v_dual_mov_b32 v224, v225 :: v_dual_mov_b32 v225, v226
	v_dual_mov_b32 v153, v154 :: v_dual_mov_b32 v154, v155
	;; [unrolled: 1-line block ×4, first 2 shown]
	v_mov_b32_e32 v103, v104
	v_dual_mov_b32 v157, v215 :: v_dual_mov_b32 v228, v229
	v_dual_mov_b32 v229, v230 :: v_dual_mov_b32 v230, v231
	;; [unrolled: 1-line block ×32, first 2 shown]
	v_mov_b32_e32 v200, v164
	v_dual_mov_b32 v164, v165 :: v_dual_mov_b32 v165, v166
	v_dual_mov_b32 v166, v167 :: v_dual_mov_b32 v167, v202
	s_wait_loadcnt 0x1
	v_cvt_f32_f16_e64 v218, v33
	s_wait_loadcnt 0x0
	v_cvt_f32_f16_e64 v33, v219
.LBB166_212:                            ;   in Loop: Header=BB166_145 Depth=1
	s_wait_alu 0xfffe
	s_or_b32 exec_lo, exec_lo, s8
	scratch_load_b32 v202, off, off offset:228 th:TH_LOAD_LU ; 4-byte Folded Reload
	v_mul_f32_e32 v22, v206, v22
	v_mul_f32_e32 v26, v210, v26
	s_mov_b32 s8, 0
	v_dual_mul_f32 v19, v207, v19 :: v_dual_mul_f32 v20, v205, v20
	v_dual_mul_f32 v23, v209, v23 :: v_dual_mul_f32 v24, v208, v24
	;; [unrolled: 1-line block ×3, first 2 shown]
	v_mul_f32_e32 v27, v37, v27
	v_dual_mul_f32 v30, v105, v30 :: v_dual_mul_f32 v29, v36, v29
	v_dual_mul_f32 v32, v216, v32 :: v_dual_mul_f32 v31, v217, v31
	s_wait_loadcnt 0x0
	v_mul_f32_e32 v2, v202, v2
	scratch_load_b32 v202, off, off offset:236 th:TH_LOAD_LU ; 4-byte Folded Reload
	s_wait_loadcnt 0x0
	v_mul_f32_e32 v3, v202, v3
	scratch_load_b32 v202, off, off offset:232 th:TH_LOAD_LU ; 4-byte Folded Reload
	;; [unrolled: 3-line block ×17, first 2 shown]
	s_wait_loadcnt 0x0
	v_mul_f32_e32 v21, v202, v21
	ds_bpermute_b32 v202, v1, v203
	s_wait_dscnt 0x0
	v_fma_f32 v202, v2, v202, v204
	ds_bpermute_b32 v2, v1, v203 offset:4
	s_wait_dscnt 0x0
	v_fmac_f32_e32 v202, v3, v2
	ds_bpermute_b32 v2, v1, v203 offset:8
	ds_bpermute_b32 v3, v1, v203 offset:104
	s_wait_dscnt 0x1
	v_fmac_f32_e32 v202, v4, v2
	ds_bpermute_b32 v2, v1, v203 offset:12
	ds_bpermute_b32 v4, v1, v203 offset:112
	s_wait_dscnt 0x1
	v_fmac_f32_e32 v202, v5, v2
	ds_bpermute_b32 v2, v1, v203 offset:16
	ds_bpermute_b32 v5, v1, v203 offset:120
	s_wait_dscnt 0x1
	v_fmac_f32_e32 v202, v6, v2
	ds_bpermute_b32 v2, v1, v203 offset:20
	s_wait_dscnt 0x0
	v_fmac_f32_e32 v202, v7, v2
	ds_bpermute_b32 v2, v1, v203 offset:24
	s_wait_dscnt 0x0
	v_dual_mul_f32 v33, v218, v33 :: v_dual_fmac_f32 v202, v8, v2
	ds_bpermute_b32 v2, v1, v203 offset:28
	s_wait_dscnt 0x0
	v_fmac_f32_e32 v202, v9, v2
	ds_bpermute_b32 v2, v1, v203 offset:32
	s_wait_dscnt 0x0
	v_fmac_f32_e32 v202, v10, v2
	;; [unrolled: 3-line block ×19, first 2 shown]
	ds_bpermute_b32 v2, v1, v203 offset:108
	v_fmac_f32_e32 v202, v28, v3
	ds_bpermute_b32 v3, v1, v203 offset:116
	s_wait_dscnt 0x1
	v_fmac_f32_e32 v202, v29, v2
	ds_bpermute_b32 v2, v1, v203 offset:124
	v_fmac_f32_e32 v202, v30, v4
	s_wait_dscnt 0x1
	s_delay_alu instid0(VALU_DEP_1) | instskip(NEXT) | instid1(VALU_DEP_1)
	v_fmac_f32_e32 v202, v31, v3
	v_fmac_f32_e32 v202, v32, v5
	s_wait_dscnt 0x0
	s_delay_alu instid0(VALU_DEP_1)
	v_fmac_f32_e32 v202, v33, v2
.LBB166_213:                            ;   in Loop: Header=BB166_145 Depth=1
	s_wait_alu 0xfffe
	s_and_b32 vcc_lo, exec_lo, s8
	s_wait_alu 0xfffe
	s_cbranch_vccz .LBB166_217
; %bb.214:                              ;   in Loop: Header=BB166_145 Depth=1
	s_load_b32 s8, s[16:17], 0x0
	v_mov_b32_e32 v4, 0
	s_wait_kmcnt 0x0
	s_cmp_lt_u32 ttmp9, s8
	s_cselect_b32 s8, 12, 18
	s_wait_alu 0xfffe
	s_add_nc_u64 s[24:25], s[16:17], s[8:9]
	s_load_u16 s8, s[24:25], 0x0
	s_clause 0x1
	scratch_load_b32 v2, off, off offset:300
	scratch_load_b32 v3, off, off offset:304
	s_wait_loadcnt 0x0
	s_wait_kmcnt 0x0
	v_mad_u32_u24 v2, v2, s8, v3
	s_mov_b32 s8, exec_lo
	s_delay_alu instid0(VALU_DEP_1) | instskip(NEXT) | instid1(VALU_DEP_1)
	v_and_b32_e32 v2, 31, v2
	v_add_co_u32 v2, vcc_lo, v160, v2
	s_wait_alu 0xfffd
	v_add_co_ci_u32_e64 v3, null, 0, v161, vcc_lo
	s_delay_alu instid0(VALU_DEP_1)
	v_cmpx_gt_i64_e64 s[4:5], v[2:3]
	s_cbranch_execz .LBB166_216
; %bb.215:                              ;   in Loop: Header=BB166_145 Depth=1
	v_lshlrev_b64_e32 v[2:3], 2, v[2:3]
	s_delay_alu instid0(VALU_DEP_1) | instskip(SKIP_1) | instid1(VALU_DEP_2)
	v_add_co_u32 v2, vcc_lo, s12, v2
	s_wait_alu 0xfffd
	v_add_co_ci_u32_e64 v3, null, s13, v3, vcc_lo
	global_load_b32 v4, v[2:3], off
.LBB166_216:                            ;   in Loop: Header=BB166_145 Depth=1
	s_wait_alu 0xfffe
	s_or_b32 exec_lo, exec_lo, s8
	v_add_co_u32 v2, vcc_lo, v164, v158
	s_wait_alu 0xfffd
	v_add_co_ci_u32_e64 v3, null, v165, v159, vcc_lo
	global_load_u16 v5, v[2:3], off
	v_add_co_u32 v2, vcc_lo, v166, v158
	s_wait_alu 0xfffd
	v_add_co_ci_u32_e64 v3, null, v167, v159, vcc_lo
	global_load_u16 v2, v[2:3], off
	s_wait_loadcnt 0x1
	v_cvt_f32_f16_e32 v3, v5
	s_wait_loadcnt 0x0
	v_cvt_f32_f16_e32 v2, v2
	s_delay_alu instid0(VALU_DEP_1)
	v_mul_f32_e32 v2, v3, v2
	ds_bpermute_b32 v3, v1, v4
	s_wait_dscnt 0x0
	v_fmac_f32_e32 v204, v2, v3
	scratch_load_b64 v[2:3], off, off       ; 8-byte Folded Reload
	s_wait_loadcnt 0x0
	v_add_co_u32 v2, vcc_lo, v2, v158
	s_wait_alu 0xfffd
	v_add_co_ci_u32_e64 v3, null, v3, v159, vcc_lo
	global_load_u16 v5, v[2:3], off
	v_add_co_u32 v2, vcc_lo, v42, v158
	s_wait_alu 0xfffd
	v_add_co_ci_u32_e64 v3, null, v43, v159, vcc_lo
	global_load_u16 v2, v[2:3], off
	s_wait_loadcnt 0x1
	v_cvt_f32_f16_e32 v3, v5
	s_wait_loadcnt 0x0
	v_cvt_f32_f16_e32 v2, v2
	s_delay_alu instid0(VALU_DEP_1)
	v_mul_f32_e32 v2, v3, v2
	ds_bpermute_b32 v3, v1, v4 offset:4
	s_wait_dscnt 0x0
	v_fmac_f32_e32 v204, v2, v3
	scratch_load_b64 v[2:3], off, off offset:8 ; 8-byte Folded Reload
	s_wait_loadcnt 0x0
	v_add_co_u32 v2, vcc_lo, v2, v158
	s_wait_alu 0xfffd
	v_add_co_ci_u32_e64 v3, null, v3, v159, vcc_lo
	global_load_u16 v5, v[2:3], off
	v_add_co_u32 v2, vcc_lo, v46, v158
	s_wait_alu 0xfffd
	v_add_co_ci_u32_e64 v3, null, v47, v159, vcc_lo
	global_load_u16 v2, v[2:3], off
	s_wait_loadcnt 0x1
	v_cvt_f32_f16_e32 v3, v5
	s_wait_loadcnt 0x0
	v_cvt_f32_f16_e32 v2, v2
	s_delay_alu instid0(VALU_DEP_1)
	v_mul_f32_e32 v2, v3, v2
	ds_bpermute_b32 v3, v1, v4 offset:8
	s_wait_dscnt 0x0
	v_fmac_f32_e32 v204, v2, v3
	v_add_co_u32 v2, vcc_lo, v38, v158
	s_wait_alu 0xfffd
	v_add_co_ci_u32_e64 v3, null, v39, v159, vcc_lo
	global_load_u16 v5, v[2:3], off
	v_add_co_u32 v2, vcc_lo, v48, v158
	s_wait_alu 0xfffd
	v_add_co_ci_u32_e64 v3, null, v49, v159, vcc_lo
	global_load_u16 v2, v[2:3], off
	s_wait_loadcnt 0x1
	v_cvt_f32_f16_e32 v3, v5
	s_wait_loadcnt 0x0
	v_cvt_f32_f16_e32 v2, v2
	s_delay_alu instid0(VALU_DEP_1)
	v_mul_f32_e32 v2, v3, v2
	ds_bpermute_b32 v3, v1, v4 offset:12
	s_wait_dscnt 0x0
	v_fmac_f32_e32 v204, v2, v3
	;; [unrolled: 17-line block ×29, first 2 shown]
	v_add_co_u32 v2, vcc_lo, v154, v158
	s_wait_alu 0xfffd
	v_add_co_ci_u32_e64 v3, null, v155, v159, vcc_lo
	global_load_u16 v5, v[2:3], off
	v_add_co_u32 v2, vcc_lo, v156, v158
	s_wait_alu 0xfffd
	v_add_co_ci_u32_e64 v3, null, v157, v159, vcc_lo
	global_load_u16 v2, v[2:3], off
	s_wait_loadcnt 0x1
	v_cvt_f32_f16_e32 v3, v5
	s_wait_loadcnt 0x0
	v_cvt_f32_f16_e32 v2, v2
	s_delay_alu instid0(VALU_DEP_1) | instskip(SKIP_3) | instid1(VALU_DEP_1)
	v_mul_f32_e32 v2, v3, v2
	ds_bpermute_b32 v3, v1, v4 offset:124
	s_wait_dscnt 0x0
	v_fmac_f32_e32 v204, v2, v3
	v_mov_b32_e32 v202, v204
.LBB166_217:                            ;   in Loop: Header=BB166_145 Depth=1
	scratch_load_b64 v[2:3], off, off th:TH_LOAD_LU ; 8-byte Folded Reload
	v_add_co_u32 v164, vcc_lo, v164, s18
	s_wait_alu 0xfffd
	v_add_co_ci_u32_e64 v165, null, s19, v165, vcc_lo
	v_add_co_u32 v166, vcc_lo, v166, s18
	s_wait_alu 0xfffd
	v_add_co_ci_u32_e64 v167, null, s19, v167, vcc_lo
	s_add_nc_u64 s[22:23], s[22:23], s[10:11]
	s_add_nc_u64 s[20:21], s[20:21], s[10:11]
	s_wait_alu 0xfffe
	v_cmp_ge_i64_e64 s8, s[22:23], s[4:5]
	s_wait_loadcnt 0x0
	v_add_co_u32 v2, vcc_lo, v2, s18
	s_wait_alu 0xfffd
	v_add_co_ci_u32_e64 v3, null, s19, v3, vcc_lo
	scratch_store_b64 off, v[2:3], off      ; 8-byte Folded Spill
	scratch_load_b64 v[2:3], off, off offset:8 th:TH_LOAD_LU ; 8-byte Folded Reload
	s_wait_loadcnt 0x0
	v_add_co_u32 v2, vcc_lo, v2, s18
	s_wait_alu 0xfffd
	v_add_co_ci_u32_e64 v3, null, s19, v3, vcc_lo
	v_add_co_u32 v38, vcc_lo, v38, s18
	s_wait_alu 0xfffd
	v_add_co_ci_u32_e64 v39, null, s19, v39, vcc_lo
	scratch_store_b64 off, v[2:3], off offset:8 ; 8-byte Folded Spill
	scratch_load_b32 v2, off, off offset:16 ; 4-byte Folded Reload
	v_add_co_u32 v40, vcc_lo, v40, s18
	s_wait_alu 0xfffd
	v_add_co_ci_u32_e64 v41, null, s19, v41, vcc_lo
	v_add_co_u32 v44, vcc_lo, v44, s18
	s_wait_alu 0xfffd
	v_add_co_ci_u32_e64 v45, null, s19, v45, vcc_lo
	;; [unrolled: 3-line block ×95, first 2 shown]
	v_add_co_u32 v221, vcc_lo, v221, s18
	s_wait_loadcnt 0x0
	s_wait_alu 0xfffd
	v_add_co_ci_u32_e64 v2, null, s19, v2, vcc_lo
	scratch_store_b32 off, v2, off offset:16 ; 4-byte Folded Spill
	scratch_load_b32 v2, off, off offset:20 ; 4-byte Folded Reload
	s_wait_loadcnt 0x0
	v_add_co_u32 v2, vcc_lo, v2, s18
	scratch_store_b32 off, v2, off offset:20 ; 4-byte Folded Spill
	scratch_load_b32 v2, off, off offset:24 ; 4-byte Folded Reload
	s_wait_loadcnt 0x0
	s_wait_alu 0xfffd
	v_add_co_ci_u32_e64 v2, null, s19, v2, vcc_lo
	scratch_store_b32 off, v2, off offset:24 ; 4-byte Folded Spill
	scratch_load_b32 v2, off, off offset:28 ; 4-byte Folded Reload
	s_wait_loadcnt 0x0
	v_add_co_u32 v2, vcc_lo, v2, s18
	scratch_store_b32 off, v2, off offset:28 ; 4-byte Folded Spill
	scratch_load_b32 v2, off, off offset:32 ; 4-byte Folded Reload
	s_wait_loadcnt 0x0
	s_wait_alu 0xfffd
	v_add_co_ci_u32_e64 v2, null, s19, v2, vcc_lo
	scratch_store_b32 off, v2, off offset:32 ; 4-byte Folded Spill
	scratch_load_b32 v2, off, off offset:36 ; 4-byte Folded Reload
	s_wait_loadcnt 0x0
	v_add_co_u32 v2, vcc_lo, v2, s18
	scratch_store_b32 off, v2, off offset:36 ; 4-byte Folded Spill
	scratch_load_b32 v2, off, off offset:40 ; 4-byte Folded Reload
	s_wait_loadcnt 0x0
	s_wait_alu 0xfffd
	v_add_co_ci_u32_e64 v2, null, s19, v2, vcc_lo
	scratch_store_b32 off, v2, off offset:40 ; 4-byte Folded Spill
	scratch_load_b32 v2, off, off offset:44 ; 4-byte Folded Reload
	s_wait_loadcnt 0x0
	v_add_co_u32 v2, vcc_lo, v2, s18
	scratch_store_b32 off, v2, off offset:44 ; 4-byte Folded Spill
	scratch_load_b32 v2, off, off offset:48 ; 4-byte Folded Reload
	s_wait_loadcnt 0x0
	s_wait_alu 0xfffd
	v_add_co_ci_u32_e64 v2, null, s19, v2, vcc_lo
	scratch_store_b32 off, v2, off offset:48 ; 4-byte Folded Spill
	scratch_load_b32 v2, off, off offset:52 ; 4-byte Folded Reload
	s_wait_loadcnt 0x0
	v_add_co_u32 v2, vcc_lo, v2, s18
	scratch_store_b32 off, v2, off offset:52 ; 4-byte Folded Spill
	scratch_load_b32 v2, off, off offset:56 ; 4-byte Folded Reload
	s_wait_loadcnt 0x0
	s_wait_alu 0xfffd
	v_add_co_ci_u32_e64 v2, null, s19, v2, vcc_lo
	scratch_store_b32 off, v2, off offset:56 ; 4-byte Folded Spill
	scratch_load_b32 v2, off, off offset:60 ; 4-byte Folded Reload
	s_wait_loadcnt 0x0
	v_add_co_u32 v2, vcc_lo, v2, s18
	scratch_store_b32 off, v2, off offset:60 ; 4-byte Folded Spill
	scratch_load_b32 v2, off, off offset:64 ; 4-byte Folded Reload
	s_wait_loadcnt 0x0
	s_wait_alu 0xfffd
	v_add_co_ci_u32_e64 v2, null, s19, v2, vcc_lo
	scratch_store_b32 off, v2, off offset:64 ; 4-byte Folded Spill
	scratch_load_b32 v2, off, off offset:68 ; 4-byte Folded Reload
	s_wait_loadcnt 0x0
	v_add_co_u32 v2, vcc_lo, v2, s18
	scratch_store_b32 off, v2, off offset:68 ; 4-byte Folded Spill
	scratch_load_b32 v2, off, off offset:72 ; 4-byte Folded Reload
	s_wait_loadcnt 0x0
	s_wait_alu 0xfffd
	v_add_co_ci_u32_e64 v2, null, s19, v2, vcc_lo
	scratch_store_b32 off, v2, off offset:72 ; 4-byte Folded Spill
	scratch_load_b32 v2, off, off offset:76 ; 4-byte Folded Reload
	s_wait_loadcnt 0x0
	v_add_co_u32 v2, vcc_lo, v2, s18
	scratch_store_b32 off, v2, off offset:76 ; 4-byte Folded Spill
	scratch_load_b32 v2, off, off offset:80 ; 4-byte Folded Reload
	s_wait_loadcnt 0x0
	s_wait_alu 0xfffd
	v_add_co_ci_u32_e64 v2, null, s19, v2, vcc_lo
	scratch_store_b32 off, v2, off offset:80 ; 4-byte Folded Spill
	scratch_load_b32 v2, off, off offset:84 ; 4-byte Folded Reload
	s_wait_loadcnt 0x0
	v_add_co_u32 v2, vcc_lo, v2, s18
	scratch_store_b32 off, v2, off offset:84 ; 4-byte Folded Spill
	scratch_load_b32 v2, off, off offset:88 ; 4-byte Folded Reload
	s_wait_loadcnt 0x0
	s_wait_alu 0xfffd
	v_add_co_ci_u32_e64 v2, null, s19, v2, vcc_lo
	scratch_store_b32 off, v2, off offset:88 ; 4-byte Folded Spill
	scratch_load_b32 v2, off, off offset:92 ; 4-byte Folded Reload
	s_wait_loadcnt 0x0
	v_add_co_u32 v2, vcc_lo, v2, s18
	scratch_store_b32 off, v2, off offset:92 ; 4-byte Folded Spill
	scratch_load_b32 v2, off, off offset:96 ; 4-byte Folded Reload
	s_wait_loadcnt 0x0
	s_wait_alu 0xfffd
	v_add_co_ci_u32_e64 v2, null, s19, v2, vcc_lo
	scratch_store_b32 off, v2, off offset:96 ; 4-byte Folded Spill
	scratch_load_b32 v2, off, off offset:100 ; 4-byte Folded Reload
	s_wait_loadcnt 0x0
	v_add_co_u32 v2, vcc_lo, v2, s18
	scratch_store_b32 off, v2, off offset:100 ; 4-byte Folded Spill
	scratch_load_b32 v2, off, off offset:104 ; 4-byte Folded Reload
	s_wait_loadcnt 0x0
	s_wait_alu 0xfffd
	v_add_co_ci_u32_e64 v2, null, s19, v2, vcc_lo
	scratch_store_b32 off, v2, off offset:104 ; 4-byte Folded Spill
	scratch_load_b32 v2, off, off offset:108 ; 4-byte Folded Reload
	s_wait_loadcnt 0x0
	v_add_co_u32 v2, vcc_lo, v2, s18
	scratch_store_b32 off, v2, off offset:108 ; 4-byte Folded Spill
	scratch_load_b32 v2, off, off offset:112 ; 4-byte Folded Reload
	s_wait_loadcnt 0x0
	s_wait_alu 0xfffd
	v_add_co_ci_u32_e64 v2, null, s19, v2, vcc_lo
	scratch_store_b32 off, v2, off offset:112 ; 4-byte Folded Spill
	scratch_load_b32 v2, off, off offset:116 ; 4-byte Folded Reload
	s_wait_loadcnt 0x0
	v_add_co_u32 v2, vcc_lo, v2, s18
	scratch_store_b32 off, v2, off offset:116 ; 4-byte Folded Spill
	scratch_load_b32 v2, off, off offset:120 ; 4-byte Folded Reload
	s_wait_loadcnt 0x0
	s_wait_alu 0xfffd
	v_add_co_ci_u32_e64 v2, null, s19, v2, vcc_lo
	scratch_store_b32 off, v2, off offset:120 ; 4-byte Folded Spill
	scratch_load_b32 v2, off, off offset:124 ; 4-byte Folded Reload
	s_wait_loadcnt 0x0
	v_add_co_u32 v2, vcc_lo, v2, s18
	scratch_store_b32 off, v2, off offset:124 ; 4-byte Folded Spill
	scratch_load_b32 v2, off, off offset:128 ; 4-byte Folded Reload
	s_wait_loadcnt 0x0
	s_wait_alu 0xfffd
	v_add_co_ci_u32_e64 v2, null, s19, v2, vcc_lo
	scratch_store_b32 off, v2, off offset:128 ; 4-byte Folded Spill
	scratch_load_b32 v2, off, off offset:132 ; 4-byte Folded Reload
	s_wait_loadcnt 0x0
	v_add_co_u32 v2, vcc_lo, v2, s18
	scratch_store_b32 off, v2, off offset:132 ; 4-byte Folded Spill
	scratch_load_b32 v2, off, off offset:136 ; 4-byte Folded Reload
	s_wait_loadcnt 0x0
	s_wait_alu 0xfffd
	v_add_co_ci_u32_e64 v2, null, s19, v2, vcc_lo
	scratch_store_b32 off, v2, off offset:136 ; 4-byte Folded Spill
	scratch_load_b32 v2, off, off offset:140 ; 4-byte Folded Reload
	s_wait_loadcnt 0x0
	v_add_co_u32 v2, vcc_lo, v2, s18
	scratch_store_b32 off, v2, off offset:140 ; 4-byte Folded Spill
	scratch_load_b32 v2, off, off offset:144 ; 4-byte Folded Reload
	s_wait_loadcnt 0x0
	s_wait_alu 0xfffd
	v_add_co_ci_u32_e64 v2, null, s19, v2, vcc_lo
	scratch_store_b32 off, v2, off offset:144 ; 4-byte Folded Spill
	scratch_load_b32 v2, off, off offset:148 ; 4-byte Folded Reload
	s_wait_loadcnt 0x0
	v_add_co_u32 v2, vcc_lo, v2, s18
	scratch_store_b32 off, v2, off offset:148 ; 4-byte Folded Spill
	scratch_load_b32 v2, off, off offset:152 ; 4-byte Folded Reload
	s_wait_loadcnt 0x0
	s_wait_alu 0xfffd
	v_add_co_ci_u32_e64 v2, null, s19, v2, vcc_lo
	scratch_store_b32 off, v2, off offset:152 ; 4-byte Folded Spill
	scratch_load_b32 v2, off, off offset:156 ; 4-byte Folded Reload
	s_wait_loadcnt 0x0
	v_add_co_u32 v2, vcc_lo, v2, s18
	scratch_store_b32 off, v2, off offset:156 ; 4-byte Folded Spill
	scratch_load_b32 v2, off, off offset:160 ; 4-byte Folded Reload
	s_wait_loadcnt 0x0
	s_wait_alu 0xfffd
	v_add_co_ci_u32_e64 v2, null, s19, v2, vcc_lo
	scratch_store_b32 off, v2, off offset:160 ; 4-byte Folded Spill
	scratch_load_b32 v2, off, off offset:164 ; 4-byte Folded Reload
	s_wait_loadcnt 0x0
	v_add_co_u32 v2, vcc_lo, v2, s18
	scratch_store_b32 off, v2, off offset:164 ; 4-byte Folded Spill
	scratch_load_b32 v2, off, off offset:168 ; 4-byte Folded Reload
	s_wait_loadcnt 0x0
	s_wait_alu 0xfffd
	v_add_co_ci_u32_e64 v2, null, s19, v2, vcc_lo
	scratch_store_b32 off, v2, off offset:168 ; 4-byte Folded Spill
	scratch_load_b32 v2, off, off offset:172 ; 4-byte Folded Reload
	s_wait_loadcnt 0x0
	v_add_co_u32 v2, vcc_lo, v2, s18
	scratch_store_b32 off, v2, off offset:172 ; 4-byte Folded Spill
	scratch_load_b32 v2, off, off offset:176 ; 4-byte Folded Reload
	s_wait_loadcnt 0x0
	s_wait_alu 0xfffd
	v_add_co_ci_u32_e64 v2, null, s19, v2, vcc_lo
	scratch_store_b32 off, v2, off offset:176 ; 4-byte Folded Spill
	scratch_load_b32 v2, off, off offset:180 ; 4-byte Folded Reload
	s_wait_loadcnt 0x0
	v_add_co_u32 v2, vcc_lo, v2, s18
	scratch_store_b32 off, v2, off offset:180 ; 4-byte Folded Spill
	scratch_load_b32 v2, off, off offset:184 ; 4-byte Folded Reload
	s_wait_loadcnt 0x0
	s_wait_alu 0xfffd
	v_add_co_ci_u32_e64 v2, null, s19, v2, vcc_lo
	scratch_store_b32 off, v2, off offset:184 ; 4-byte Folded Spill
	scratch_load_b32 v2, off, off offset:188 ; 4-byte Folded Reload
	s_wait_loadcnt 0x0
	v_add_co_u32 v2, vcc_lo, v2, s18
	scratch_store_b32 off, v2, off offset:188 ; 4-byte Folded Spill
	scratch_load_b32 v2, off, off offset:192 ; 4-byte Folded Reload
	s_wait_loadcnt 0x0
	s_wait_alu 0xfffd
	v_add_co_ci_u32_e64 v2, null, s19, v2, vcc_lo
	scratch_store_b32 off, v2, off offset:192 ; 4-byte Folded Spill
	scratch_load_b32 v2, off, off offset:196 ; 4-byte Folded Reload
	s_wait_loadcnt 0x0
	v_add_co_u32 v2, vcc_lo, v2, s18
	scratch_store_b32 off, v2, off offset:196 ; 4-byte Folded Spill
	scratch_load_b32 v2, off, off offset:200 ; 4-byte Folded Reload
	s_wait_loadcnt 0x0
	s_wait_alu 0xfffd
	v_add_co_ci_u32_e64 v2, null, s19, v2, vcc_lo
	scratch_store_b32 off, v2, off offset:200 ; 4-byte Folded Spill
	scratch_load_b32 v2, off, off offset:204 ; 4-byte Folded Reload
	s_wait_loadcnt 0x0
	v_add_co_u32 v2, vcc_lo, v2, s18
	scratch_store_b32 off, v2, off offset:204 ; 4-byte Folded Spill
	scratch_load_b32 v2, off, off offset:208 ; 4-byte Folded Reload
	s_wait_loadcnt 0x0
	s_wait_alu 0xfffd
	v_add_co_ci_u32_e64 v2, null, s19, v2, vcc_lo
	scratch_store_b32 off, v2, off offset:208 ; 4-byte Folded Spill
	scratch_load_b32 v2, off, off offset:212 ; 4-byte Folded Reload
	s_wait_loadcnt 0x0
	v_add_co_u32 v2, vcc_lo, v2, s18
	scratch_store_b32 off, v2, off offset:212 ; 4-byte Folded Spill
	scratch_load_b32 v2, off, off offset:216 ; 4-byte Folded Reload
	s_wait_loadcnt 0x0
	s_wait_alu 0xfffd
	v_add_co_ci_u32_e64 v2, null, s19, v2, vcc_lo
	scratch_store_b32 off, v2, off offset:216 ; 4-byte Folded Spill
	scratch_load_b32 v2, off, off offset:220 ; 4-byte Folded Reload
	s_wait_loadcnt 0x0
	v_add_co_u32 v2, vcc_lo, v2, s18
	scratch_store_b32 off, v2, off offset:220 ; 4-byte Folded Spill
	scratch_load_b32 v2, off, off offset:224 ; 4-byte Folded Reload
	s_wait_loadcnt 0x0
	s_wait_alu 0xfffd
	v_add_co_ci_u32_e64 v2, null, s19, v2, vcc_lo
	s_and_b32 vcc_lo, exec_lo, s8
	scratch_store_b32 off, v2, off offset:224 ; 4-byte Folded Spill
	s_wait_alu 0xfffe
	s_cbranch_vccnz .LBB166_219
; %bb.218:                              ;   in Loop: Header=BB166_145 Depth=1
	v_mov_b32_e32 v204, v202
	s_branch .LBB166_145
.LBB166_219:
	scratch_load_b32 v208, off, off offset:308 ; 4-byte Folded Reload
.LBB166_220:
	s_mov_b32 s4, ttmp9
	s_mov_b32 s5, 0
	s_wait_alu 0xfffe
	s_lshl_b64 s[4:5], s[4:5], 6
	s_wait_kmcnt 0x0
	s_cmp_lg_u64 s[2:3], 0
	s_wait_loadcnt 0x0
	s_wait_alu 0xfffe
	v_and_or_b32 v1, 0x3ff, v208, s4
	v_mov_b32_e32 v2, s5
	s_cselect_b32 s4, -1, 0
	s_delay_alu instid0(VALU_DEP_1)
	v_cmp_gt_i64_e32 vcc_lo, s[6:7], v[1:2]
	s_wait_alu 0xfffe
	s_and_b32 s4, vcc_lo, s4
	s_wait_alu 0xfffe
	s_and_saveexec_b32 s5, s4
	s_cbranch_execz .LBB166_222
; %bb.221:
	s_load_u16 s0, s[0:1], 0x4e
	v_bfe_u32 v3, v208, 10, 10
	v_mov_b32_e32 v4, 0
	s_wait_kmcnt 0x0
	s_delay_alu instid0(VALU_DEP_1) | instskip(NEXT) | instid1(VALU_DEP_1)
	v_mad_co_u64_u32 v[3:4], null, s0, ttmp7, v[3:4]
	v_mul_lo_u32 v0, v4, s6
	s_delay_alu instid0(VALU_DEP_2) | instskip(SKIP_1) | instid1(VALU_DEP_1)
	v_mul_lo_u32 v5, v3, s7
	v_mad_co_u64_u32 v[3:4], null, v3, s6, 0
	v_add3_u32 v4, v4, v5, v0
	v_lshlrev_b64_e32 v[0:1], 1, v[1:2]
	s_delay_alu instid0(VALU_DEP_2) | instskip(NEXT) | instid1(VALU_DEP_1)
	v_lshlrev_b64_e32 v[3:4], 1, v[3:4]
	v_add_co_u32 v2, vcc_lo, s2, v3
	s_wait_alu 0xfffd
	s_delay_alu instid0(VALU_DEP_2) | instskip(SKIP_1) | instid1(VALU_DEP_3)
	v_add_co_ci_u32_e64 v3, null, s3, v4, vcc_lo
	v_cvt_f16_f32_e64 v4, v202
	v_add_co_u32 v0, vcc_lo, v2, v0
	s_wait_alu 0xfffd
	s_delay_alu instid0(VALU_DEP_3)
	v_add_co_ci_u32_e64 v1, null, v3, v1, vcc_lo
	global_store_b16 v[0:1], v4, off
.LBB166_222:
	s_nop 0
	s_sendmsg sendmsg(MSG_DEALLOC_VGPRS)
	s_endpgm
	.section	.rodata,"a",@progbits
	.p2align	6, 0x0
	.amdhsa_kernel _ZN2at6native12_GLOBAL__N_135GammaBetaBackwardCUDAKernelTemplateIN3c104HalfEfLj64ELj1ELj32ELb1ELb0ELb1EEEvllPKT_S7_PKT0_SA_PS5_SB_
		.amdhsa_group_segment_fixed_size 0
		.amdhsa_private_segment_fixed_size 316
		.amdhsa_kernarg_size 320
		.amdhsa_user_sgpr_count 2
		.amdhsa_user_sgpr_dispatch_ptr 0
		.amdhsa_user_sgpr_queue_ptr 0
		.amdhsa_user_sgpr_kernarg_segment_ptr 1
		.amdhsa_user_sgpr_dispatch_id 0
		.amdhsa_user_sgpr_private_segment_size 0
		.amdhsa_wavefront_size32 1
		.amdhsa_uses_dynamic_stack 0
		.amdhsa_enable_private_segment 1
		.amdhsa_system_sgpr_workgroup_id_x 1
		.amdhsa_system_sgpr_workgroup_id_y 1
		.amdhsa_system_sgpr_workgroup_id_z 0
		.amdhsa_system_sgpr_workgroup_info 0
		.amdhsa_system_vgpr_workitem_id 1
		.amdhsa_next_free_vgpr 256
		.amdhsa_next_free_sgpr 32
		.amdhsa_reserve_vcc 1
		.amdhsa_float_round_mode_32 0
		.amdhsa_float_round_mode_16_64 0
		.amdhsa_float_denorm_mode_32 3
		.amdhsa_float_denorm_mode_16_64 3
		.amdhsa_fp16_overflow 0
		.amdhsa_workgroup_processor_mode 1
		.amdhsa_memory_ordered 1
		.amdhsa_forward_progress 1
		.amdhsa_inst_pref_size 255
		.amdhsa_round_robin_scheduling 0
		.amdhsa_exception_fp_ieee_invalid_op 0
		.amdhsa_exception_fp_denorm_src 0
		.amdhsa_exception_fp_ieee_div_zero 0
		.amdhsa_exception_fp_ieee_overflow 0
		.amdhsa_exception_fp_ieee_underflow 0
		.amdhsa_exception_fp_ieee_inexact 0
		.amdhsa_exception_int_div_zero 0
	.end_amdhsa_kernel
	.section	.text._ZN2at6native12_GLOBAL__N_135GammaBetaBackwardCUDAKernelTemplateIN3c104HalfEfLj64ELj1ELj32ELb1ELb0ELb1EEEvllPKT_S7_PKT0_SA_PS5_SB_,"axG",@progbits,_ZN2at6native12_GLOBAL__N_135GammaBetaBackwardCUDAKernelTemplateIN3c104HalfEfLj64ELj1ELj32ELb1ELb0ELb1EEEvllPKT_S7_PKT0_SA_PS5_SB_,comdat
.Lfunc_end166:
	.size	_ZN2at6native12_GLOBAL__N_135GammaBetaBackwardCUDAKernelTemplateIN3c104HalfEfLj64ELj1ELj32ELb1ELb0ELb1EEEvllPKT_S7_PKT0_SA_PS5_SB_, .Lfunc_end166-_ZN2at6native12_GLOBAL__N_135GammaBetaBackwardCUDAKernelTemplateIN3c104HalfEfLj64ELj1ELj32ELb1ELb0ELb1EEEvllPKT_S7_PKT0_SA_PS5_SB_
                                        ; -- End function
	.set _ZN2at6native12_GLOBAL__N_135GammaBetaBackwardCUDAKernelTemplateIN3c104HalfEfLj64ELj1ELj32ELb1ELb0ELb1EEEvllPKT_S7_PKT0_SA_PS5_SB_.num_vgpr, 256
	.set _ZN2at6native12_GLOBAL__N_135GammaBetaBackwardCUDAKernelTemplateIN3c104HalfEfLj64ELj1ELj32ELb1ELb0ELb1EEEvllPKT_S7_PKT0_SA_PS5_SB_.num_agpr, 0
	.set _ZN2at6native12_GLOBAL__N_135GammaBetaBackwardCUDAKernelTemplateIN3c104HalfEfLj64ELj1ELj32ELb1ELb0ELb1EEEvllPKT_S7_PKT0_SA_PS5_SB_.numbered_sgpr, 32
	.set _ZN2at6native12_GLOBAL__N_135GammaBetaBackwardCUDAKernelTemplateIN3c104HalfEfLj64ELj1ELj32ELb1ELb0ELb1EEEvllPKT_S7_PKT0_SA_PS5_SB_.num_named_barrier, 0
	.set _ZN2at6native12_GLOBAL__N_135GammaBetaBackwardCUDAKernelTemplateIN3c104HalfEfLj64ELj1ELj32ELb1ELb0ELb1EEEvllPKT_S7_PKT0_SA_PS5_SB_.private_seg_size, 316
	.set _ZN2at6native12_GLOBAL__N_135GammaBetaBackwardCUDAKernelTemplateIN3c104HalfEfLj64ELj1ELj32ELb1ELb0ELb1EEEvllPKT_S7_PKT0_SA_PS5_SB_.uses_vcc, 1
	.set _ZN2at6native12_GLOBAL__N_135GammaBetaBackwardCUDAKernelTemplateIN3c104HalfEfLj64ELj1ELj32ELb1ELb0ELb1EEEvllPKT_S7_PKT0_SA_PS5_SB_.uses_flat_scratch, 1
	.set _ZN2at6native12_GLOBAL__N_135GammaBetaBackwardCUDAKernelTemplateIN3c104HalfEfLj64ELj1ELj32ELb1ELb0ELb1EEEvllPKT_S7_PKT0_SA_PS5_SB_.has_dyn_sized_stack, 0
	.set _ZN2at6native12_GLOBAL__N_135GammaBetaBackwardCUDAKernelTemplateIN3c104HalfEfLj64ELj1ELj32ELb1ELb0ELb1EEEvllPKT_S7_PKT0_SA_PS5_SB_.has_recursion, 0
	.set _ZN2at6native12_GLOBAL__N_135GammaBetaBackwardCUDAKernelTemplateIN3c104HalfEfLj64ELj1ELj32ELb1ELb0ELb1EEEvllPKT_S7_PKT0_SA_PS5_SB_.has_indirect_call, 0
	.section	.AMDGPU.csdata,"",@progbits
; Kernel info:
; codeLenInByte = 38132
; TotalNumSgprs: 34
; NumVgprs: 256
; ScratchSize: 316
; MemoryBound: 0
; FloatMode: 240
; IeeeMode: 1
; LDSByteSize: 0 bytes/workgroup (compile time only)
; SGPRBlocks: 0
; VGPRBlocks: 31
; NumSGPRsForWavesPerEU: 34
; NumVGPRsForWavesPerEU: 256
; Occupancy: 5
; WaveLimiterHint : 0
; COMPUTE_PGM_RSRC2:SCRATCH_EN: 1
; COMPUTE_PGM_RSRC2:USER_SGPR: 2
; COMPUTE_PGM_RSRC2:TRAP_HANDLER: 0
; COMPUTE_PGM_RSRC2:TGID_X_EN: 1
; COMPUTE_PGM_RSRC2:TGID_Y_EN: 1
; COMPUTE_PGM_RSRC2:TGID_Z_EN: 0
; COMPUTE_PGM_RSRC2:TIDIG_COMP_CNT: 1
	.section	.text._ZN2at6native12_GLOBAL__N_135GammaBetaBackwardCUDAKernelTemplateIN3c104HalfEfLj64ELj1ELj8ELb1ELb1ELb1EEEvllPKT_S7_PKT0_SA_PS5_SB_,"axG",@progbits,_ZN2at6native12_GLOBAL__N_135GammaBetaBackwardCUDAKernelTemplateIN3c104HalfEfLj64ELj1ELj8ELb1ELb1ELb1EEEvllPKT_S7_PKT0_SA_PS5_SB_,comdat
	.globl	_ZN2at6native12_GLOBAL__N_135GammaBetaBackwardCUDAKernelTemplateIN3c104HalfEfLj64ELj1ELj8ELb1ELb1ELb1EEEvllPKT_S7_PKT0_SA_PS5_SB_ ; -- Begin function _ZN2at6native12_GLOBAL__N_135GammaBetaBackwardCUDAKernelTemplateIN3c104HalfEfLj64ELj1ELj8ELb1ELb1ELb1EEEvllPKT_S7_PKT0_SA_PS5_SB_
	.p2align	8
	.type	_ZN2at6native12_GLOBAL__N_135GammaBetaBackwardCUDAKernelTemplateIN3c104HalfEfLj64ELj1ELj8ELb1ELb1ELb1EEEvllPKT_S7_PKT0_SA_PS5_SB_,@function
_ZN2at6native12_GLOBAL__N_135GammaBetaBackwardCUDAKernelTemplateIN3c104HalfEfLj64ELj1ELj8ELb1ELb1ELb1EEEvllPKT_S7_PKT0_SA_PS5_SB_: ; @_ZN2at6native12_GLOBAL__N_135GammaBetaBackwardCUDAKernelTemplateIN3c104HalfEfLj64ELj1ELj8ELb1ELb1ELb1EEEvllPKT_S7_PKT0_SA_PS5_SB_
; %bb.0:
	s_clause 0x1
	s_load_b128 s[4:7], s[0:1], 0x0
	s_load_b64 s[12:13], s[0:1], 0x30
	s_lshl_b32 s14, ttmp7, 3
	s_mov_b32 s15, 0
	v_mov_b32_e32 v3, 0
	v_bfe_u32 v1, v0, 10, 10
	v_and_b32_e32 v0, 0x3ff, v0
	s_wait_kmcnt 0x0
	v_cmp_le_i64_e64 s2, s[4:5], s[14:15]
	s_and_b32 vcc_lo, exec_lo, s2
	s_cbranch_vccnz .LBB167_8
; %bb.1:
	s_load_b32 s2, s[0:1], 0x4c
	v_dual_mov_b32 v3, 0 :: v_dual_lshlrev_b32 v2, 3, v1
	s_clause 0x2
	s_load_b32 s3, s[0:1], 0x44
	s_load_b128 s[8:11], s[0:1], 0x10
	s_load_b64 s[18:19], s[0:1], 0x28
	s_mov_b32 s17, s15
	v_dual_mov_b32 v8, 8 :: v_dual_mov_b32 v9, 4
	v_add_co_u32 v4, s16, v2, s14
	s_delay_alu instid0(VALU_DEP_1) | instskip(SKIP_1) | instid1(VALU_DEP_3)
	v_add_co_ci_u32_e64 v5, null, 0, 0, s16
	v_lshl_or_b32 v2, ttmp9, 6, v0
	v_mul_lo_u32 v16, s7, v4
	v_mad_co_u64_u32 v[6:7], null, s6, v4, 0
	s_delay_alu instid0(VALU_DEP_4) | instskip(NEXT) | instid1(VALU_DEP_4)
	v_mul_lo_u32 v17, s6, v5
	v_lshlrev_b64_e32 v[14:15], 1, v[2:3]
	v_dual_mov_b32 v10, 12 :: v_dual_mov_b32 v11, 16
	v_mov_b32_e32 v12, 20
	s_wait_kmcnt 0x0
	s_and_b32 s2, s2, 0xffff
	s_lshl_b32 s16, s3, 3
	v_mad_u32_u24 v13, v1, s2, v0
	v_add3_u32 v7, v7, v17, v16
	v_mov_b32_e32 v2, 28
	s_wait_alu 0xfffe
	s_mul_u64 s[20:21], s[6:7], s[16:17]
	s_lshl_b64 s[22:23], s[6:7], 1
	v_and_b32_e32 v18, 31, v13
	v_lshlrev_b64_e32 v[6:7], 1, v[6:7]
	v_mov_b32_e32 v13, 24
	s_lshl_b64 s[20:21], s[20:21], 1
	s_delay_alu instid0(VALU_DEP_3) | instskip(NEXT) | instid1(VALU_DEP_1)
	v_add_co_u32 v4, vcc_lo, v4, v18
	v_add_co_ci_u32_e64 v5, null, 0, v5, vcc_lo
	s_delay_alu instid0(VALU_DEP_4) | instskip(SKIP_2) | instid1(VALU_DEP_3)
	v_add_co_u32 v14, vcc_lo, v6, v14
	s_wait_alu 0xfffd
	v_add_co_ci_u32_e64 v15, null, v7, v15, vcc_lo
	v_lshlrev_b64_e32 v[16:17], 2, v[4:5]
	v_cmp_gt_u32_e64 s2, 8, v18
	s_delay_alu instid0(VALU_DEP_2) | instskip(SKIP_1) | instid1(VALU_DEP_3)
	v_add_co_u32 v6, vcc_lo, s18, v16
	s_wait_alu 0xfffd
	v_add_co_ci_u32_e64 v7, null, s19, v17, vcc_lo
	v_mov_b32_e32 v16, 0
	s_lshl_b64 s[18:19], s[16:17], 2
	s_branch .LBB167_4
.LBB167_2:                              ;   in Loop: Header=BB167_4 Depth=1
	s_or_b32 exec_lo, exec_lo, s24
.LBB167_3:                              ;   in Loop: Header=BB167_4 Depth=1
	s_wait_alu 0xfffe
	s_or_b32 exec_lo, exec_lo, s3
	v_add_co_u32 v18, vcc_lo, s8, v14
	s_wait_alu 0xfffd
	v_add_co_ci_u32_e64 v19, null, s9, v15, vcc_lo
	v_add_co_u32 v20, vcc_lo, s10, v14
	s_wait_alu 0xfffd
	v_add_co_ci_u32_e64 v21, null, s11, v15, vcc_lo
	;; [unrolled: 3-line block ×4, first 2 shown]
	global_load_u16 v28, v[18:19], off
	global_load_u16 v29, v[20:21], off
	;; [unrolled: 1-line block ×4, first 2 shown]
	v_add_co_u32 v18, vcc_lo, v22, s22
	s_wait_alu 0xfffd
	v_add_co_ci_u32_e64 v19, null, s23, v23, vcc_lo
	v_add_co_u32 v20, vcc_lo, v24, s22
	s_wait_alu 0xfffd
	v_add_co_ci_u32_e64 v21, null, s23, v25, vcc_lo
	;; [unrolled: 3-line block ×5, first 2 shown]
	global_load_u16 v32, v[18:19], off
	global_load_u16 v33, v[20:21], off
	;; [unrolled: 1-line block ×5, first 2 shown]
	v_add_co_u32 v18, vcc_lo, v24, s22
	s_wait_alu 0xfffd
	v_add_co_ci_u32_e64 v19, null, s23, v25, vcc_lo
	v_add_co_u32 v20, vcc_lo, v26, s22
	s_wait_alu 0xfffd
	v_add_co_ci_u32_e64 v21, null, s23, v27, vcc_lo
	;; [unrolled: 3-line block ×5, first 2 shown]
	global_load_u16 v37, v[18:19], off
	global_load_u16 v38, v[20:21], off
	;; [unrolled: 1-line block ×5, first 2 shown]
	v_add_co_u32 v18, vcc_lo, v24, s22
	s_wait_alu 0xfffd
	v_add_co_ci_u32_e64 v19, null, s23, v25, vcc_lo
	v_add_co_u32 v20, vcc_lo, v26, s22
	s_wait_alu 0xfffd
	v_add_co_ci_u32_e64 v21, null, s23, v27, vcc_lo
	global_load_u16 v18, v[18:19], off
	global_load_u16 v19, v[20:21], off
	s_wait_loadcnt 0x10
	ds_bpermute_b32 v20, v3, v17
	ds_bpermute_b32 v21, v9, v17
	;; [unrolled: 1-line block ×3, first 2 shown]
	v_add_co_u32 v6, vcc_lo, v6, s18
	s_add_nc_u64 s[14:15], s[14:15], s[16:17]
	s_wait_alu 0xfffd
	v_add_co_ci_u32_e64 v7, null, s19, v7, vcc_lo
	v_add_co_u32 v4, vcc_lo, v4, s16
	s_wait_alu 0xfffe
	v_cmp_lt_i64_e64 s3, s[14:15], s[4:5]
	s_wait_alu 0xfffd
	v_add_co_ci_u32_e64 v5, null, 0, v5, vcc_lo
	v_add_co_u32 v14, vcc_lo, v14, s20
	s_wait_alu 0xfffd
	v_add_co_ci_u32_e64 v15, null, s21, v15, vcc_lo
	s_and_b32 vcc_lo, exec_lo, s3
	s_wait_loadcnt 0xf
	v_cvt_f32_f16_e32 v24, v28
	s_wait_loadcnt 0xe
	v_cvt_f32_f16_e32 v25, v29
	;; [unrolled: 2-line block ×3, first 2 shown]
	ds_bpermute_b32 v28, v10, v17
	v_mul_f32_e32 v24, v24, v25
	s_wait_loadcnt 0xc
	v_cvt_f32_f16_e32 v25, v31
	s_wait_dscnt 0x3
	s_delay_alu instid0(VALU_DEP_2) | instskip(NEXT) | instid1(VALU_DEP_2)
	v_fmac_f32_e32 v16, v24, v20
	v_mul_f32_e32 v20, v27, v25
	ds_bpermute_b32 v25, v11, v17
	s_wait_dscnt 0x3
	v_fmac_f32_e32 v16, v20, v21
	s_wait_loadcnt 0xb
	v_cvt_f32_f16_e32 v29, v32
	s_wait_loadcnt 0xa
	v_cvt_f32_f16_e32 v24, v33
	;; [unrolled: 2-line block ×4, first 2 shown]
	v_mul_f32_e32 v20, v29, v24
	ds_bpermute_b32 v24, v12, v17
	s_wait_loadcnt 0x7
	v_cvt_f32_f16_e32 v29, v36
	s_wait_dscnt 0x3
	v_fmac_f32_e32 v16, v20, v26
	v_mul_f32_e32 v20, v27, v21
	ds_bpermute_b32 v26, v13, v17
	ds_bpermute_b32 v17, v2, v17
	s_wait_dscnt 0x4
	v_fmac_f32_e32 v16, v20, v28
	s_wait_loadcnt 0x6
	v_cvt_f32_f16_e32 v21, v37
	s_wait_loadcnt 0x5
	v_cvt_f32_f16_e32 v27, v38
	s_delay_alu instid0(VALU_DEP_2)
	v_mul_f32_e32 v20, v29, v21
	s_wait_loadcnt 0x4
	v_cvt_f32_f16_e32 v21, v22
	s_wait_loadcnt 0x3
	v_cvt_f32_f16_e32 v22, v23
	;; [unrolled: 2-line block ×3, first 2 shown]
	s_wait_dscnt 0x3
	v_fmac_f32_e32 v16, v20, v25
	v_mul_f32_e32 v20, v27, v21
	s_wait_loadcnt 0x1
	v_cvt_f32_f16_e32 v18, v18
	s_wait_loadcnt 0x0
	v_cvt_f32_f16_e32 v19, v19
	s_wait_dscnt 0x2
	v_fmac_f32_e32 v16, v20, v24
	v_mul_f32_e32 v20, v22, v23
	s_delay_alu instid0(VALU_DEP_3) | instskip(SKIP_1) | instid1(VALU_DEP_2)
	v_mul_f32_e32 v18, v18, v19
	s_wait_dscnt 0x1
	v_fmac_f32_e32 v16, v20, v26
	s_wait_dscnt 0x0
	s_delay_alu instid0(VALU_DEP_1)
	v_fmac_f32_e32 v16, v18, v17
	s_wait_alu 0xfffe
	s_cbranch_vccz .LBB167_7
.LBB167_4:                              ; =>This Inner Loop Header: Depth=1
	v_mov_b32_e32 v17, 0
	s_and_saveexec_b32 s3, s2
	s_cbranch_execz .LBB167_3
; %bb.5:                                ;   in Loop: Header=BB167_4 Depth=1
	v_mov_b32_e32 v17, 0
	s_mov_b32 s24, exec_lo
	v_cmpx_gt_i64_e64 s[4:5], v[4:5]
	s_cbranch_execz .LBB167_2
; %bb.6:                                ;   in Loop: Header=BB167_4 Depth=1
	global_load_b32 v17, v[6:7], off
	s_branch .LBB167_2
.LBB167_7:
	s_delay_alu instid0(VALU_DEP_1)
	v_cvt_f16_f32_e32 v3, v16
.LBB167_8:
	s_cmp_eq_u64 s[12:13], 0
	s_cbranch_scc1 .LBB167_10
; %bb.9:
	s_load_u16 s0, s[0:1], 0x4e
	v_mov_b32_e32 v2, 0
	s_mov_b32 s2, ttmp9
	s_mov_b32 s3, 0
	v_lshlrev_b32_e32 v0, 1, v0
	s_wait_kmcnt 0x0
	v_mad_co_u64_u32 v[1:2], null, s0, ttmp7, v[1:2]
	s_wait_alu 0xfffe
	s_lshl_b64 s[0:1], s[2:3], 7
	s_delay_alu instid0(VALU_DEP_1) | instskip(NEXT) | instid1(VALU_DEP_2)
	v_mul_lo_u32 v4, v2, s6
	v_mul_lo_u32 v5, v1, s7
	v_mad_co_u64_u32 v[1:2], null, v1, s6, 0
	s_delay_alu instid0(VALU_DEP_1) | instskip(NEXT) | instid1(VALU_DEP_1)
	v_add3_u32 v2, v2, v5, v4
	v_lshlrev_b64_e32 v[1:2], 1, v[1:2]
	s_delay_alu instid0(VALU_DEP_1) | instskip(SKIP_1) | instid1(VALU_DEP_2)
	v_add_co_u32 v1, vcc_lo, s12, v1
	s_wait_alu 0xfffd
	v_add_co_ci_u32_e64 v2, null, s13, v2, vcc_lo
	s_wait_alu 0xfffe
	s_delay_alu instid0(VALU_DEP_2) | instskip(SKIP_1) | instid1(VALU_DEP_2)
	v_add_co_u32 v1, vcc_lo, v1, s0
	s_wait_alu 0xfffd
	v_add_co_ci_u32_e64 v2, null, s1, v2, vcc_lo
	s_delay_alu instid0(VALU_DEP_2) | instskip(SKIP_1) | instid1(VALU_DEP_2)
	v_add_co_u32 v0, vcc_lo, v1, v0
	s_wait_alu 0xfffd
	v_add_co_ci_u32_e64 v1, null, 0, v2, vcc_lo
	global_store_b16 v[0:1], v3, off
.LBB167_10:
	s_endpgm
	.section	.rodata,"a",@progbits
	.p2align	6, 0x0
	.amdhsa_kernel _ZN2at6native12_GLOBAL__N_135GammaBetaBackwardCUDAKernelTemplateIN3c104HalfEfLj64ELj1ELj8ELb1ELb1ELb1EEEvllPKT_S7_PKT0_SA_PS5_SB_
		.amdhsa_group_segment_fixed_size 0
		.amdhsa_private_segment_fixed_size 0
		.amdhsa_kernarg_size 320
		.amdhsa_user_sgpr_count 2
		.amdhsa_user_sgpr_dispatch_ptr 0
		.amdhsa_user_sgpr_queue_ptr 0
		.amdhsa_user_sgpr_kernarg_segment_ptr 1
		.amdhsa_user_sgpr_dispatch_id 0
		.amdhsa_user_sgpr_private_segment_size 0
		.amdhsa_wavefront_size32 1
		.amdhsa_uses_dynamic_stack 0
		.amdhsa_enable_private_segment 0
		.amdhsa_system_sgpr_workgroup_id_x 1
		.amdhsa_system_sgpr_workgroup_id_y 1
		.amdhsa_system_sgpr_workgroup_id_z 0
		.amdhsa_system_sgpr_workgroup_info 0
		.amdhsa_system_vgpr_workitem_id 1
		.amdhsa_next_free_vgpr 40
		.amdhsa_next_free_sgpr 25
		.amdhsa_reserve_vcc 1
		.amdhsa_float_round_mode_32 0
		.amdhsa_float_round_mode_16_64 0
		.amdhsa_float_denorm_mode_32 3
		.amdhsa_float_denorm_mode_16_64 3
		.amdhsa_fp16_overflow 0
		.amdhsa_workgroup_processor_mode 1
		.amdhsa_memory_ordered 1
		.amdhsa_forward_progress 1
		.amdhsa_inst_pref_size 12
		.amdhsa_round_robin_scheduling 0
		.amdhsa_exception_fp_ieee_invalid_op 0
		.amdhsa_exception_fp_denorm_src 0
		.amdhsa_exception_fp_ieee_div_zero 0
		.amdhsa_exception_fp_ieee_overflow 0
		.amdhsa_exception_fp_ieee_underflow 0
		.amdhsa_exception_fp_ieee_inexact 0
		.amdhsa_exception_int_div_zero 0
	.end_amdhsa_kernel
	.section	.text._ZN2at6native12_GLOBAL__N_135GammaBetaBackwardCUDAKernelTemplateIN3c104HalfEfLj64ELj1ELj8ELb1ELb1ELb1EEEvllPKT_S7_PKT0_SA_PS5_SB_,"axG",@progbits,_ZN2at6native12_GLOBAL__N_135GammaBetaBackwardCUDAKernelTemplateIN3c104HalfEfLj64ELj1ELj8ELb1ELb1ELb1EEEvllPKT_S7_PKT0_SA_PS5_SB_,comdat
.Lfunc_end167:
	.size	_ZN2at6native12_GLOBAL__N_135GammaBetaBackwardCUDAKernelTemplateIN3c104HalfEfLj64ELj1ELj8ELb1ELb1ELb1EEEvllPKT_S7_PKT0_SA_PS5_SB_, .Lfunc_end167-_ZN2at6native12_GLOBAL__N_135GammaBetaBackwardCUDAKernelTemplateIN3c104HalfEfLj64ELj1ELj8ELb1ELb1ELb1EEEvllPKT_S7_PKT0_SA_PS5_SB_
                                        ; -- End function
	.set _ZN2at6native12_GLOBAL__N_135GammaBetaBackwardCUDAKernelTemplateIN3c104HalfEfLj64ELj1ELj8ELb1ELb1ELb1EEEvllPKT_S7_PKT0_SA_PS5_SB_.num_vgpr, 40
	.set _ZN2at6native12_GLOBAL__N_135GammaBetaBackwardCUDAKernelTemplateIN3c104HalfEfLj64ELj1ELj8ELb1ELb1ELb1EEEvllPKT_S7_PKT0_SA_PS5_SB_.num_agpr, 0
	.set _ZN2at6native12_GLOBAL__N_135GammaBetaBackwardCUDAKernelTemplateIN3c104HalfEfLj64ELj1ELj8ELb1ELb1ELb1EEEvllPKT_S7_PKT0_SA_PS5_SB_.numbered_sgpr, 25
	.set _ZN2at6native12_GLOBAL__N_135GammaBetaBackwardCUDAKernelTemplateIN3c104HalfEfLj64ELj1ELj8ELb1ELb1ELb1EEEvllPKT_S7_PKT0_SA_PS5_SB_.num_named_barrier, 0
	.set _ZN2at6native12_GLOBAL__N_135GammaBetaBackwardCUDAKernelTemplateIN3c104HalfEfLj64ELj1ELj8ELb1ELb1ELb1EEEvllPKT_S7_PKT0_SA_PS5_SB_.private_seg_size, 0
	.set _ZN2at6native12_GLOBAL__N_135GammaBetaBackwardCUDAKernelTemplateIN3c104HalfEfLj64ELj1ELj8ELb1ELb1ELb1EEEvllPKT_S7_PKT0_SA_PS5_SB_.uses_vcc, 1
	.set _ZN2at6native12_GLOBAL__N_135GammaBetaBackwardCUDAKernelTemplateIN3c104HalfEfLj64ELj1ELj8ELb1ELb1ELb1EEEvllPKT_S7_PKT0_SA_PS5_SB_.uses_flat_scratch, 0
	.set _ZN2at6native12_GLOBAL__N_135GammaBetaBackwardCUDAKernelTemplateIN3c104HalfEfLj64ELj1ELj8ELb1ELb1ELb1EEEvllPKT_S7_PKT0_SA_PS5_SB_.has_dyn_sized_stack, 0
	.set _ZN2at6native12_GLOBAL__N_135GammaBetaBackwardCUDAKernelTemplateIN3c104HalfEfLj64ELj1ELj8ELb1ELb1ELb1EEEvllPKT_S7_PKT0_SA_PS5_SB_.has_recursion, 0
	.set _ZN2at6native12_GLOBAL__N_135GammaBetaBackwardCUDAKernelTemplateIN3c104HalfEfLj64ELj1ELj8ELb1ELb1ELb1EEEvllPKT_S7_PKT0_SA_PS5_SB_.has_indirect_call, 0
	.section	.AMDGPU.csdata,"",@progbits
; Kernel info:
; codeLenInByte = 1516
; TotalNumSgprs: 27
; NumVgprs: 40
; ScratchSize: 0
; MemoryBound: 0
; FloatMode: 240
; IeeeMode: 1
; LDSByteSize: 0 bytes/workgroup (compile time only)
; SGPRBlocks: 0
; VGPRBlocks: 4
; NumSGPRsForWavesPerEU: 27
; NumVGPRsForWavesPerEU: 40
; Occupancy: 16
; WaveLimiterHint : 0
; COMPUTE_PGM_RSRC2:SCRATCH_EN: 0
; COMPUTE_PGM_RSRC2:USER_SGPR: 2
; COMPUTE_PGM_RSRC2:TRAP_HANDLER: 0
; COMPUTE_PGM_RSRC2:TGID_X_EN: 1
; COMPUTE_PGM_RSRC2:TGID_Y_EN: 1
; COMPUTE_PGM_RSRC2:TGID_Z_EN: 0
; COMPUTE_PGM_RSRC2:TIDIG_COMP_CNT: 1
	.section	.text._ZN2at6native12_GLOBAL__N_135GammaBetaBackwardCUDAKernelTemplateIN3c104HalfEfLj64ELj1ELj8ELb1ELb0ELb1EEEvllPKT_S7_PKT0_SA_PS5_SB_,"axG",@progbits,_ZN2at6native12_GLOBAL__N_135GammaBetaBackwardCUDAKernelTemplateIN3c104HalfEfLj64ELj1ELj8ELb1ELb0ELb1EEEvllPKT_S7_PKT0_SA_PS5_SB_,comdat
	.globl	_ZN2at6native12_GLOBAL__N_135GammaBetaBackwardCUDAKernelTemplateIN3c104HalfEfLj64ELj1ELj8ELb1ELb0ELb1EEEvllPKT_S7_PKT0_SA_PS5_SB_ ; -- Begin function _ZN2at6native12_GLOBAL__N_135GammaBetaBackwardCUDAKernelTemplateIN3c104HalfEfLj64ELj1ELj8ELb1ELb0ELb1EEEvllPKT_S7_PKT0_SA_PS5_SB_
	.p2align	8
	.type	_ZN2at6native12_GLOBAL__N_135GammaBetaBackwardCUDAKernelTemplateIN3c104HalfEfLj64ELj1ELj8ELb1ELb0ELb1EEEvllPKT_S7_PKT0_SA_PS5_SB_,@function
_ZN2at6native12_GLOBAL__N_135GammaBetaBackwardCUDAKernelTemplateIN3c104HalfEfLj64ELj1ELj8ELb1ELb0ELb1EEEvllPKT_S7_PKT0_SA_PS5_SB_: ; @_ZN2at6native12_GLOBAL__N_135GammaBetaBackwardCUDAKernelTemplateIN3c104HalfEfLj64ELj1ELj8ELb1ELb0ELb1EEEvllPKT_S7_PKT0_SA_PS5_SB_
; %bb.0:
	s_clause 0x1
	s_load_b256 s[4:11], s[0:1], 0x0
	s_load_b64 s[12:13], s[0:1], 0x28
	s_lshl_b32 s28, ttmp9, 6
	s_mov_b32 s15, 0
	s_or_b32 s14, s28, 63
	s_wait_kmcnt 0x0
	v_cmp_le_i64_e64 s2, s[6:7], s[14:15]
	s_lshl_b32 s14, ttmp7, 3
	s_wait_alu 0xfffe
	v_cmp_gt_i64_e64 s29, s[4:5], s[14:15]
	s_and_b32 vcc_lo, exec_lo, s2
	v_cndmask_b32_e64 v1, 0, 1, s29
	s_delay_alu instid0(VALU_DEP_1)
	v_cmp_ne_u32_e64 s2, 1, v1
	s_cbranch_vccz .LBB168_49
; %bb.1:
	v_mov_b32_e32 v87, 0
	s_and_b32 vcc_lo, exec_lo, s2
	s_cbranch_vccnz .LBB168_50
; %bb.2:
	v_bfe_u32 v22, v0, 10, 10
	v_dual_mov_b32 v1, 0 :: v_dual_and_b32 v24, 0x3ff, v0
	s_load_b32 s3, s[0:1], 0x44
	s_mov_b32 s17, 0
	s_delay_alu instid0(VALU_DEP_2) | instskip(NEXT) | instid1(VALU_DEP_2)
	v_dual_mov_b32 v58, 0 :: v_dual_lshlrev_b32 v23, 3, v22
	v_dual_mov_b32 v5, v1 :: v_dual_add_nc_u32 v4, s28, v24
	s_mov_b32 s21, s17
	s_delay_alu instid0(VALU_DEP_2) | instskip(NEXT) | instid1(VALU_DEP_1)
	v_add_co_u32 v10, s2, v23, s14
	v_add_co_ci_u32_e64 v11, null, 0, 0, s2
	s_delay_alu instid0(VALU_DEP_3) | instskip(NEXT) | instid1(VALU_DEP_3)
	v_cmp_gt_i64_e64 s2, s[6:7], v[4:5]
	v_mul_lo_u32 v6, s7, v10
	v_mad_co_u64_u32 v[2:3], null, s6, v10, 0
	s_delay_alu instid0(VALU_DEP_4)
	v_mul_lo_u32 v7, s6, v11
	v_lshlrev_b64_e32 v[18:19], 1, v[4:5]
	v_mov_b32_e32 v25, v1
	s_add_nc_u64 s[18:19], s[0:1], 64
	s_mov_b64 s[24:25], 7
	s_wait_kmcnt 0x0
	s_lshl_b32 s20, s3, 3
	s_mov_b64 s[26:27], s[14:15]
	s_mul_u64 s[22:23], s[6:7], s[20:21]
	v_add3_u32 v3, v3, v7, v6
	v_add_co_u32 v6, vcc_lo, v10, 7
	s_delay_alu instid0(VALU_DEP_1)
	v_add_co_ci_u32_e64 v7, null, 0, v11, vcc_lo
	v_add_co_u32 v8, vcc_lo, v10, 6
	s_wait_alu 0xfffd
	v_add_co_ci_u32_e64 v9, null, 0, v11, vcc_lo
	v_lshlrev_b64_e32 v[4:5], 1, v[2:3]
	v_mul_lo_u32 v12, s7, v6
	v_mul_lo_u32 v13, s6, v7
	v_mad_co_u64_u32 v[6:7], null, s6, v6, 0
	v_mul_lo_u32 v14, s7, v8
	v_mul_lo_u32 v15, s6, v9
	v_mad_co_u64_u32 v[8:9], null, s6, v8, 0
	v_add_co_u32 v26, vcc_lo, s8, v4
	s_wait_alu 0xfffd
	v_add_co_ci_u32_e64 v27, null, s9, v5, vcc_lo
	v_add_co_u32 v28, vcc_lo, s10, v4
	v_add3_u32 v7, v7, v13, v12
	s_wait_alu 0xfffd
	v_add_co_ci_u32_e64 v29, null, s11, v5, vcc_lo
	v_add_co_u32 v12, vcc_lo, v10, 5
	v_add3_u32 v9, v9, v15, v14
	s_wait_alu 0xfffd
	v_add_co_ci_u32_e64 v13, null, 0, v11, vcc_lo
	v_lshlrev_b64_e32 v[4:5], 1, v[6:7]
	v_mul_lo_u32 v14, s7, v12
	v_lshlrev_b64_e32 v[6:7], 1, v[8:9]
	s_delay_alu instid0(VALU_DEP_4)
	v_mul_lo_u32 v13, s6, v13
	v_mad_co_u64_u32 v[8:9], null, s6, v12, 0
	v_add_co_u32 v30, vcc_lo, s8, v4
	s_wait_alu 0xfffd
	v_add_co_ci_u32_e64 v31, null, s9, v5, vcc_lo
	v_add_co_u32 v32, vcc_lo, s10, v4
	s_wait_alu 0xfffd
	v_add_co_ci_u32_e64 v33, null, s11, v5, vcc_lo
	v_add_co_u32 v34, vcc_lo, s8, v6
	v_add3_u32 v9, v9, v13, v14
	s_wait_alu 0xfffd
	v_add_co_ci_u32_e64 v35, null, s9, v7, vcc_lo
	v_add_co_u32 v12, vcc_lo, v10, 4
	v_add_co_u32 v36, s3, s10, v6
	s_wait_alu 0xfffd
	v_add_co_ci_u32_e64 v6, null, 0, v11, vcc_lo
	v_lshlrev_b64_e32 v[4:5], 1, v[8:9]
	v_add_co_u32 v8, vcc_lo, v10, 3
	s_wait_alu 0xfffd
	v_add_co_ci_u32_e64 v9, null, 0, v11, vcc_lo
	s_wait_alu 0xf1ff
	v_add_co_ci_u32_e64 v37, null, s11, v7, s3
	v_mul_lo_u32 v13, s7, v12
	v_mul_lo_u32 v14, s6, v6
	v_mad_co_u64_u32 v[6:7], null, s6, v12, 0
	v_mul_lo_u32 v12, s7, v8
	v_mul_lo_u32 v15, s6, v9
	v_mad_co_u64_u32 v[8:9], null, s6, v8, 0
	v_add_co_u32 v38, vcc_lo, s8, v4
	s_wait_alu 0xfffd
	v_add_co_ci_u32_e64 v39, null, s9, v5, vcc_lo
	v_add3_u32 v7, v7, v14, v13
	v_add_co_u32 v40, vcc_lo, s10, v4
	s_wait_alu 0xfffd
	v_add_co_ci_u32_e64 v41, null, s11, v5, vcc_lo
	v_add_co_u32 v10, vcc_lo, v10, 2
	v_add3_u32 v9, v9, v15, v12
	s_wait_alu 0xfffd
	v_add_co_ci_u32_e64 v11, null, 0, v11, vcc_lo
	v_lshlrev_b64_e32 v[4:5], 1, v[6:7]
	v_mul_lo_u32 v12, s7, v10
	v_lshlrev_b64_e32 v[6:7], 1, v[8:9]
	s_delay_alu instid0(VALU_DEP_4)
	v_mul_lo_u32 v11, s6, v11
	v_mad_co_u64_u32 v[8:9], null, s6, v10, 0
	v_add_co_u32 v42, vcc_lo, s8, v4
	s_wait_alu 0xfffd
	v_add_co_ci_u32_e64 v43, null, s9, v5, vcc_lo
	v_add_co_u32 v44, vcc_lo, s10, v4
	s_wait_alu 0xfffd
	v_add_co_ci_u32_e64 v45, null, s11, v5, vcc_lo
	;; [unrolled: 3-line block ×3, first 2 shown]
	v_add3_u32 v9, v9, v11, v12
	v_add_co_u32 v48, vcc_lo, s10, v6
	s_wait_alu 0xfffd
	v_add_co_ci_u32_e64 v49, null, s11, v7, vcc_lo
	v_add_co_u32 v2, vcc_lo, v2, s6
	s_wait_alu 0xfffd
	v_add_co_ci_u32_e64 v3, null, s7, v3, vcc_lo
	v_lshlrev_b64_e32 v[4:5], 1, v[8:9]
	s_lshl_b64 s[22:23], s[22:23], 1
	s_delay_alu instid0(VALU_DEP_2) | instskip(NEXT) | instid1(VALU_DEP_2)
	v_lshlrev_b64_e32 v[2:3], 1, v[2:3]
	v_add_co_u32 v50, vcc_lo, s8, v4
	s_wait_alu 0xfffd
	s_delay_alu instid0(VALU_DEP_3)
	v_add_co_ci_u32_e64 v51, null, s9, v5, vcc_lo
	v_add_co_u32 v52, vcc_lo, s10, v4
	s_wait_alu 0xfffd
	v_add_co_ci_u32_e64 v53, null, s11, v5, vcc_lo
	v_add_co_u32 v54, vcc_lo, s8, v2
	s_wait_alu 0xfffd
	;; [unrolled: 3-line block ×3, first 2 shown]
	v_add_co_ci_u32_e64 v57, null, s11, v3, vcc_lo
.LBB168_3:                              ; =>This Inner Loop Header: Depth=1
	s_add_nc_u64 s[30:31], s[14:15], s[24:25]
	v_add_co_u32 v20, vcc_lo, s14, v23
	s_wait_alu 0xfffe
	v_cmp_ge_i64_e64 s3, s[30:31], s[4:5]
	s_wait_alu 0xfffd
	v_add_co_ci_u32_e64 v21, null, 0, v25, vcc_lo
                                        ; implicit-def: $vgpr2_vgpr3_vgpr4_vgpr5_vgpr6_vgpr7_vgpr8_vgpr9
                                        ; implicit-def: $vgpr87
                                        ; implicit-def: $vgpr10_vgpr11_vgpr12_vgpr13_vgpr14_vgpr15_vgpr16_vgpr17
                                        ; implicit-def: $vgpr2
	s_and_b32 vcc_lo, exec_lo, s3
	s_mov_b32 s3, -1
	s_wait_alu 0xfffe
	s_cbranch_vccz .LBB168_25
; %bb.4:                                ;   in Loop: Header=BB168_3 Depth=1
	s_load_b32 s3, s[18:19], 0xc
	v_mov_b32_e32 v59, 0
	s_wait_kmcnt 0x0
	s_and_b32 s3, s3, 0xffff
	s_wait_alu 0xfffe
	v_mad_u32_u24 v2, v22, s3, v24
	s_mov_b32 s3, exec_lo
	s_delay_alu instid0(VALU_DEP_1) | instskip(NEXT) | instid1(VALU_DEP_1)
	v_and_b32_e32 v2, 31, v2
	v_cmpx_gt_u32_e32 8, v2
	s_cbranch_execz .LBB168_8
; %bb.5:                                ;   in Loop: Header=BB168_3 Depth=1
	v_add_co_u32 v2, vcc_lo, v20, v2
	s_wait_alu 0xfffd
	v_add_co_ci_u32_e64 v3, null, 0, v21, vcc_lo
	v_mov_b32_e32 v59, 0
	s_mov_b32 s16, exec_lo
	s_delay_alu instid0(VALU_DEP_2)
	v_cmpx_gt_i64_e64 s[4:5], v[2:3]
	s_cbranch_execz .LBB168_7
; %bb.6:                                ;   in Loop: Header=BB168_3 Depth=1
	v_lshlrev_b64_e32 v[2:3], 2, v[2:3]
	s_delay_alu instid0(VALU_DEP_1) | instskip(SKIP_1) | instid1(VALU_DEP_2)
	v_add_co_u32 v2, vcc_lo, s12, v2
	s_wait_alu 0xfffd
	v_add_co_ci_u32_e64 v3, null, s13, v3, vcc_lo
	global_load_b32 v59, v[2:3], off
.LBB168_7:                              ;   in Loop: Header=BB168_3 Depth=1
	s_or_b32 exec_lo, exec_lo, s16
.LBB168_8:                              ;   in Loop: Header=BB168_3 Depth=1
	s_wait_alu 0xfffe
	s_or_b32 exec_lo, exec_lo, s3
	v_mov_b32_e32 v8, v1
	v_dual_mov_b32 v2, v1 :: v_dual_mov_b32 v3, v1
	v_dual_mov_b32 v4, v1 :: v_dual_mov_b32 v5, v1
	;; [unrolled: 1-line block ×3, first 2 shown]
	v_cmp_gt_i64_e32 vcc_lo, s[4:5], v[20:21]
	s_delay_alu instid0(VALU_DEP_3) | instskip(NEXT) | instid1(VALU_DEP_3)
	v_dual_mov_b32 v17, v8 :: v_dual_mov_b32 v14, v5
	v_dual_mov_b32 v15, v6 :: v_dual_mov_b32 v16, v7
	;; [unrolled: 1-line block ×4, first 2 shown]
	v_mov_b32_e32 v9, v8
	v_mov_b32_e32 v8, v7
	;; [unrolled: 1-line block ×8, first 2 shown]
	s_and_b32 s16, s2, vcc_lo
	s_delay_alu instid0(SALU_CYCLE_1)
	s_and_saveexec_b32 s3, s16
	s_cbranch_execz .LBB168_10
; %bb.9:                                ;   in Loop: Header=BB168_3 Depth=1
	v_add_co_u32 v2, vcc_lo, v26, v18
	s_wait_alu 0xfffd
	v_add_co_ci_u32_e64 v3, null, v27, v19, vcc_lo
	v_add_co_u32 v4, vcc_lo, v28, v18
	s_wait_alu 0xfffd
	v_add_co_ci_u32_e64 v5, null, v29, v19, vcc_lo
	global_load_u16 v2, v[2:3], off
	global_load_u16 v10, v[4:5], off
	v_dual_mov_b32 v3, v1 :: v_dual_mov_b32 v4, v1
	v_dual_mov_b32 v5, v1 :: v_dual_mov_b32 v6, v1
	;; [unrolled: 1-line block ×6, first 2 shown]
	v_mov_b32_e32 v15, v1
	v_mov_b32_e32 v17, v1
	s_wait_loadcnt 0x1
	v_cvt_f32_f16_e32 v2, v2
	s_wait_loadcnt 0x0
	v_cvt_f32_f16_e32 v10, v10
.LBB168_10:                             ;   in Loop: Header=BB168_3 Depth=1
	s_wait_alu 0xfffe
	s_or_b32 exec_lo, exec_lo, s3
	v_add_co_u32 v60, vcc_lo, v20, 1
	s_wait_alu 0xfffd
	v_add_co_ci_u32_e64 v61, null, 0, v21, vcc_lo
	s_delay_alu instid0(VALU_DEP_1) | instskip(SKIP_1) | instid1(SALU_CYCLE_1)
	v_cmp_gt_i64_e32 vcc_lo, s[4:5], v[60:61]
	s_and_b32 s16, s2, vcc_lo
	s_and_saveexec_b32 s3, s16
	s_cbranch_execz .LBB168_12
; %bb.11:                               ;   in Loop: Header=BB168_3 Depth=1
	v_add_co_u32 v60, vcc_lo, v54, v18
	s_wait_alu 0xfffd
	v_add_co_ci_u32_e64 v61, null, v55, v19, vcc_lo
	v_add_co_u32 v62, vcc_lo, v56, v18
	s_wait_alu 0xfffd
	v_add_co_ci_u32_e64 v63, null, v57, v19, vcc_lo
	global_load_u16 v3, v[60:61], off
	global_load_u16 v11, v[62:63], off
	s_wait_loadcnt 0x1
	v_cvt_f32_f16_e32 v3, v3
	s_wait_loadcnt 0x0
	v_cvt_f32_f16_e32 v11, v11
.LBB168_12:                             ;   in Loop: Header=BB168_3 Depth=1
	s_wait_alu 0xfffe
	s_or_b32 exec_lo, exec_lo, s3
	v_add_co_u32 v60, vcc_lo, v20, 2
	s_wait_alu 0xfffd
	v_add_co_ci_u32_e64 v61, null, 0, v21, vcc_lo
	s_delay_alu instid0(VALU_DEP_1) | instskip(SKIP_1) | instid1(SALU_CYCLE_1)
	v_cmp_gt_i64_e32 vcc_lo, s[4:5], v[60:61]
	s_and_b32 s16, s2, vcc_lo
	s_and_saveexec_b32 s3, s16
	s_cbranch_execz .LBB168_14
; %bb.13:                               ;   in Loop: Header=BB168_3 Depth=1
	v_add_co_u32 v60, vcc_lo, v50, v18
	s_wait_alu 0xfffd
	v_add_co_ci_u32_e64 v61, null, v51, v19, vcc_lo
	v_add_co_u32 v62, vcc_lo, v52, v18
	s_wait_alu 0xfffd
	v_add_co_ci_u32_e64 v63, null, v53, v19, vcc_lo
	global_load_u16 v4, v[60:61], off
	global_load_u16 v12, v[62:63], off
	s_wait_loadcnt 0x1
	v_cvt_f32_f16_e32 v4, v4
	s_wait_loadcnt 0x0
	v_cvt_f32_f16_e32 v12, v12
.LBB168_14:                             ;   in Loop: Header=BB168_3 Depth=1
	s_wait_alu 0xfffe
	s_or_b32 exec_lo, exec_lo, s3
	v_add_co_u32 v60, vcc_lo, v20, 3
	s_wait_alu 0xfffd
	v_add_co_ci_u32_e64 v61, null, 0, v21, vcc_lo
	s_delay_alu instid0(VALU_DEP_1) | instskip(SKIP_1) | instid1(SALU_CYCLE_1)
	v_cmp_gt_i64_e32 vcc_lo, s[4:5], v[60:61]
	s_and_b32 s16, s2, vcc_lo
	s_and_saveexec_b32 s3, s16
	s_cbranch_execz .LBB168_16
; %bb.15:                               ;   in Loop: Header=BB168_3 Depth=1
	v_add_co_u32 v60, vcc_lo, v46, v18
	s_wait_alu 0xfffd
	v_add_co_ci_u32_e64 v61, null, v47, v19, vcc_lo
	v_add_co_u32 v62, vcc_lo, v48, v18
	s_wait_alu 0xfffd
	v_add_co_ci_u32_e64 v63, null, v49, v19, vcc_lo
	global_load_u16 v5, v[60:61], off
	global_load_u16 v13, v[62:63], off
	s_wait_loadcnt 0x1
	v_cvt_f32_f16_e32 v5, v5
	s_wait_loadcnt 0x0
	v_cvt_f32_f16_e32 v13, v13
.LBB168_16:                             ;   in Loop: Header=BB168_3 Depth=1
	s_wait_alu 0xfffe
	s_or_b32 exec_lo, exec_lo, s3
	v_add_co_u32 v60, vcc_lo, v20, 4
	s_wait_alu 0xfffd
	v_add_co_ci_u32_e64 v61, null, 0, v21, vcc_lo
	s_delay_alu instid0(VALU_DEP_1) | instskip(SKIP_1) | instid1(SALU_CYCLE_1)
	v_cmp_gt_i64_e32 vcc_lo, s[4:5], v[60:61]
	s_and_b32 s16, s2, vcc_lo
	s_and_saveexec_b32 s3, s16
	s_cbranch_execz .LBB168_18
; %bb.17:                               ;   in Loop: Header=BB168_3 Depth=1
	v_add_co_u32 v60, vcc_lo, v42, v18
	s_wait_alu 0xfffd
	v_add_co_ci_u32_e64 v61, null, v43, v19, vcc_lo
	v_add_co_u32 v62, vcc_lo, v44, v18
	s_wait_alu 0xfffd
	v_add_co_ci_u32_e64 v63, null, v45, v19, vcc_lo
	global_load_u16 v6, v[60:61], off
	global_load_u16 v14, v[62:63], off
	s_wait_loadcnt 0x1
	v_cvt_f32_f16_e32 v6, v6
	s_wait_loadcnt 0x0
	v_cvt_f32_f16_e32 v14, v14
.LBB168_18:                             ;   in Loop: Header=BB168_3 Depth=1
	s_wait_alu 0xfffe
	s_or_b32 exec_lo, exec_lo, s3
	v_add_co_u32 v60, vcc_lo, v20, 5
	s_wait_alu 0xfffd
	v_add_co_ci_u32_e64 v61, null, 0, v21, vcc_lo
	s_delay_alu instid0(VALU_DEP_1) | instskip(SKIP_1) | instid1(SALU_CYCLE_1)
	v_cmp_gt_i64_e32 vcc_lo, s[4:5], v[60:61]
	s_and_b32 s16, s2, vcc_lo
	s_and_saveexec_b32 s3, s16
	s_cbranch_execz .LBB168_20
; %bb.19:                               ;   in Loop: Header=BB168_3 Depth=1
	v_add_co_u32 v60, vcc_lo, v38, v18
	s_wait_alu 0xfffd
	v_add_co_ci_u32_e64 v61, null, v39, v19, vcc_lo
	v_add_co_u32 v62, vcc_lo, v40, v18
	s_wait_alu 0xfffd
	v_add_co_ci_u32_e64 v63, null, v41, v19, vcc_lo
	global_load_u16 v7, v[60:61], off
	global_load_u16 v15, v[62:63], off
	s_wait_loadcnt 0x1
	v_cvt_f32_f16_e32 v7, v7
	s_wait_loadcnt 0x0
	v_cvt_f32_f16_e32 v15, v15
.LBB168_20:                             ;   in Loop: Header=BB168_3 Depth=1
	s_wait_alu 0xfffe
	s_or_b32 exec_lo, exec_lo, s3
	v_add_co_u32 v60, vcc_lo, v20, 6
	s_wait_alu 0xfffd
	v_add_co_ci_u32_e64 v61, null, 0, v21, vcc_lo
	s_delay_alu instid0(VALU_DEP_1) | instskip(SKIP_1) | instid1(SALU_CYCLE_1)
	v_cmp_gt_i64_e32 vcc_lo, s[4:5], v[60:61]
	s_and_b32 s16, s2, vcc_lo
	s_and_saveexec_b32 s3, s16
	s_cbranch_execz .LBB168_22
; %bb.21:                               ;   in Loop: Header=BB168_3 Depth=1
	v_add_co_u32 v60, vcc_lo, v34, v18
	s_wait_alu 0xfffd
	v_add_co_ci_u32_e64 v61, null, v35, v19, vcc_lo
	v_add_co_u32 v62, vcc_lo, v36, v18
	s_wait_alu 0xfffd
	v_add_co_ci_u32_e64 v63, null, v37, v19, vcc_lo
	global_load_u16 v8, v[60:61], off
	global_load_u16 v16, v[62:63], off
	s_wait_loadcnt 0x1
	v_cvt_f32_f16_e32 v8, v8
	s_wait_loadcnt 0x0
	v_cvt_f32_f16_e32 v16, v16
.LBB168_22:                             ;   in Loop: Header=BB168_3 Depth=1
	s_wait_alu 0xfffe
	s_or_b32 exec_lo, exec_lo, s3
	v_add_co_u32 v60, vcc_lo, v20, 7
	s_wait_alu 0xfffd
	v_add_co_ci_u32_e64 v61, null, 0, v21, vcc_lo
	s_delay_alu instid0(VALU_DEP_1) | instskip(SKIP_1) | instid1(SALU_CYCLE_1)
	v_cmp_gt_i64_e32 vcc_lo, s[4:5], v[60:61]
	s_and_b32 s16, s2, vcc_lo
	s_and_saveexec_b32 s3, s16
	s_cbranch_execz .LBB168_24
; %bb.23:                               ;   in Loop: Header=BB168_3 Depth=1
	v_add_co_u32 v60, vcc_lo, v30, v18
	s_wait_alu 0xfffd
	v_add_co_ci_u32_e64 v61, null, v31, v19, vcc_lo
	v_add_co_u32 v62, vcc_lo, v32, v18
	s_wait_alu 0xfffd
	v_add_co_ci_u32_e64 v63, null, v33, v19, vcc_lo
	global_load_u16 v9, v[60:61], off
	global_load_u16 v17, v[62:63], off
	s_wait_loadcnt 0x1
	v_cvt_f32_f16_e32 v9, v9
	s_wait_loadcnt 0x0
	v_cvt_f32_f16_e32 v17, v17
.LBB168_24:                             ;   in Loop: Header=BB168_3 Depth=1
	s_wait_alu 0xfffe
	s_or_b32 exec_lo, exec_lo, s3
	s_wait_loadcnt 0x0
	ds_bpermute_b32 v60, v1, v59
	ds_bpermute_b32 v61, v1, v59 offset:4
	ds_bpermute_b32 v62, v1, v59 offset:8
	v_dual_mul_f32 v2, v10, v2 :: v_dual_mul_f32 v3, v11, v3
	ds_bpermute_b32 v10, v1, v59 offset:12
	ds_bpermute_b32 v11, v1, v59 offset:16
	s_mov_b32 s3, 0
	v_mul_f32_e32 v6, v14, v6
	s_wait_dscnt 0x4
	v_fma_f32 v87, v2, v60, v58
	v_mul_f32_e32 v2, v12, v4
	ds_bpermute_b32 v4, v1, v59 offset:20
	s_wait_dscnt 0x4
	v_fmac_f32_e32 v87, v3, v61
	v_mul_f32_e32 v3, v13, v5
	ds_bpermute_b32 v5, v1, v59 offset:24
	s_wait_dscnt 0x4
	v_fmac_f32_e32 v87, v2, v62
	ds_bpermute_b32 v2, v1, v59 offset:28
	s_wait_dscnt 0x4
	v_fmac_f32_e32 v87, v3, v10
	v_mul_f32_e32 v3, v15, v7
	s_wait_dscnt 0x3
	s_delay_alu instid0(VALU_DEP_2) | instskip(SKIP_1) | instid1(VALU_DEP_1)
	v_fmac_f32_e32 v87, v6, v11
	s_wait_dscnt 0x2
	v_fmac_f32_e32 v87, v3, v4
	v_mul_f32_e32 v3, v16, v8
	s_wait_dscnt 0x1
	s_delay_alu instid0(VALU_DEP_1)
	v_fmac_f32_e32 v87, v3, v5
.LBB168_25:                             ;   in Loop: Header=BB168_3 Depth=1
	s_wait_alu 0xfffe
	s_and_b32 vcc_lo, exec_lo, s3
	s_wait_alu 0xfffe
	s_cbranch_vccz .LBB168_40
; %bb.26:                               ;   in Loop: Header=BB168_3 Depth=1
	s_load_b32 s3, s[18:19], 0x0
	v_mov_b32_e32 v59, 0
	s_wait_kmcnt 0x0
	s_cmp_lt_u32 ttmp9, s3
	s_cselect_b32 s16, 12, 18
	s_delay_alu instid0(SALU_CYCLE_1)
	s_add_nc_u64 s[30:31], s[18:19], s[16:17]
	s_load_u16 s3, s[30:31], 0x0
	s_wait_dscnt 0x0
	s_wait_kmcnt 0x0
	v_mad_u32_u24 v2, v22, s3, v24
	s_mov_b32 s3, exec_lo
	s_delay_alu instid0(VALU_DEP_1) | instskip(NEXT) | instid1(VALU_DEP_1)
	v_and_b32_e32 v2, 31, v2
	v_cmpx_gt_u32_e32 8, v2
	s_cbranch_execz .LBB168_30
; %bb.27:                               ;   in Loop: Header=BB168_3 Depth=1
	v_add_co_u32 v2, vcc_lo, v20, v2
	s_wait_alu 0xfffd
	v_add_co_ci_u32_e64 v3, null, 0, v21, vcc_lo
	v_mov_b32_e32 v59, 0
	s_mov_b32 s16, exec_lo
	s_delay_alu instid0(VALU_DEP_2)
	v_cmpx_gt_i64_e64 s[4:5], v[2:3]
	s_cbranch_execz .LBB168_29
; %bb.28:                               ;   in Loop: Header=BB168_3 Depth=1
	v_lshlrev_b64_e32 v[2:3], 2, v[2:3]
	s_delay_alu instid0(VALU_DEP_1) | instskip(SKIP_1) | instid1(VALU_DEP_2)
	v_add_co_u32 v2, vcc_lo, s12, v2
	s_wait_alu 0xfffd
	v_add_co_ci_u32_e64 v3, null, s13, v3, vcc_lo
	global_load_b32 v59, v[2:3], off
.LBB168_29:                             ;   in Loop: Header=BB168_3 Depth=1
	s_or_b32 exec_lo, exec_lo, s16
.LBB168_30:                             ;   in Loop: Header=BB168_3 Depth=1
	s_wait_alu 0xfffe
	s_or_b32 exec_lo, exec_lo, s3
	v_mov_b32_e32 v8, v1
	v_dual_mov_b32 v2, v1 :: v_dual_mov_b32 v3, v1
	v_dual_mov_b32 v4, v1 :: v_dual_mov_b32 v5, v1
	;; [unrolled: 1-line block ×3, first 2 shown]
	s_delay_alu instid0(VALU_DEP_4) | instskip(NEXT) | instid1(VALU_DEP_3)
	v_mov_b32_e32 v17, v8
	v_dual_mov_b32 v13, v4 :: v_dual_mov_b32 v12, v3
	s_delay_alu instid0(VALU_DEP_3) | instskip(NEXT) | instid1(VALU_DEP_4)
	v_dual_mov_b32 v15, v6 :: v_dual_mov_b32 v14, v5
	v_dual_mov_b32 v16, v7 :: v_dual_mov_b32 v11, v2
	;; [unrolled: 1-line block ×3, first 2 shown]
	v_mov_b32_e32 v8, v7
	v_mov_b32_e32 v7, v6
	;; [unrolled: 1-line block ×7, first 2 shown]
	s_and_saveexec_b32 s3, s2
	s_cbranch_execnz .LBB168_42
; %bb.31:                               ;   in Loop: Header=BB168_3 Depth=1
	s_wait_alu 0xfffe
	s_or_b32 exec_lo, exec_lo, s3
	s_and_saveexec_b32 s3, s2
	s_cbranch_execnz .LBB168_43
.LBB168_32:                             ;   in Loop: Header=BB168_3 Depth=1
	s_wait_alu 0xfffe
	s_or_b32 exec_lo, exec_lo, s3
	s_and_saveexec_b32 s3, s2
	s_cbranch_execnz .LBB168_44
.LBB168_33:                             ;   in Loop: Header=BB168_3 Depth=1
	s_wait_alu 0xfffe
	s_or_b32 exec_lo, exec_lo, s3
	s_and_saveexec_b32 s3, s2
	s_cbranch_execnz .LBB168_45
.LBB168_34:                             ;   in Loop: Header=BB168_3 Depth=1
	s_wait_alu 0xfffe
	s_or_b32 exec_lo, exec_lo, s3
	s_and_saveexec_b32 s3, s2
	s_cbranch_execnz .LBB168_46
.LBB168_35:                             ;   in Loop: Header=BB168_3 Depth=1
	s_wait_alu 0xfffe
	s_or_b32 exec_lo, exec_lo, s3
	s_and_saveexec_b32 s3, s2
	s_cbranch_execnz .LBB168_47
.LBB168_36:                             ;   in Loop: Header=BB168_3 Depth=1
	s_wait_alu 0xfffe
	s_or_b32 exec_lo, exec_lo, s3
	s_and_saveexec_b32 s3, s2
	s_cbranch_execnz .LBB168_48
.LBB168_37:                             ;   in Loop: Header=BB168_3 Depth=1
	s_wait_alu 0xfffe
	s_or_b32 exec_lo, exec_lo, s3
	s_and_saveexec_b32 s3, s2
	s_cbranch_execz .LBB168_39
.LBB168_38:                             ;   in Loop: Header=BB168_3 Depth=1
	v_add_co_u32 v20, vcc_lo, v30, v18
	s_wait_alu 0xfffd
	v_add_co_ci_u32_e64 v21, null, v31, v19, vcc_lo
	v_add_co_u32 v60, vcc_lo, v32, v18
	s_wait_alu 0xfffd
	v_add_co_ci_u32_e64 v61, null, v33, v19, vcc_lo
	global_load_u16 v9, v[20:21], off
	global_load_u16 v17, v[60:61], off
	s_wait_loadcnt 0x1
	v_cvt_f32_f16_e32 v9, v9
	s_wait_loadcnt 0x0
	v_cvt_f32_f16_e32 v17, v17
.LBB168_39:                             ;   in Loop: Header=BB168_3 Depth=1
	s_wait_alu 0xfffe
	s_or_b32 exec_lo, exec_lo, s3
	s_wait_loadcnt 0x0
	ds_bpermute_b32 v20, v1, v59
	ds_bpermute_b32 v21, v1, v59 offset:4
	ds_bpermute_b32 v60, v1, v59 offset:8
	v_dual_mul_f32 v2, v10, v2 :: v_dual_mul_f32 v3, v11, v3
	ds_bpermute_b32 v10, v1, v59 offset:12
	ds_bpermute_b32 v11, v1, v59 offset:16
	s_wait_dscnt 0x4
	v_fmac_f32_e32 v58, v2, v20
	v_mul_f32_e32 v2, v12, v4
	ds_bpermute_b32 v4, v1, v59 offset:20
	s_wait_dscnt 0x4
	v_fmac_f32_e32 v58, v3, v21
	v_mul_f32_e32 v3, v13, v5
	;; [unrolled: 4-line block ×3, first 2 shown]
	s_wait_dscnt 0x3
	s_delay_alu instid0(VALU_DEP_2) | instskip(SKIP_2) | instid1(VALU_DEP_2)
	v_fmac_f32_e32 v58, v3, v10
	v_mul_f32_e32 v3, v15, v7
	s_wait_dscnt 0x2
	v_fmac_f32_e32 v58, v2, v11
	ds_bpermute_b32 v2, v1, v59 offset:28
	s_wait_dscnt 0x2
	v_fmac_f32_e32 v58, v3, v4
	v_mul_f32_e32 v3, v16, v8
	s_wait_dscnt 0x1
	s_delay_alu instid0(VALU_DEP_1) | instskip(NEXT) | instid1(VALU_DEP_1)
	v_fmac_f32_e32 v58, v3, v5
	v_mov_b32_e32 v87, v58
.LBB168_40:                             ;   in Loop: Header=BB168_3 Depth=1
	v_add_co_u32 v26, vcc_lo, v26, s22
	s_wait_alu 0xfffd
	v_add_co_ci_u32_e64 v27, null, s23, v27, vcc_lo
	v_add_co_u32 v28, vcc_lo, v28, s22
	s_wait_alu 0xfffd
	v_add_co_ci_u32_e64 v29, null, s23, v29, vcc_lo
	;; [unrolled: 3-line block ×14, first 2 shown]
	v_add_co_u32 v54, vcc_lo, v54, s22
	v_mul_f32_e32 v3, v9, v17
	s_add_nc_u64 s[26:27], s[26:27], s[20:21]
	s_wait_alu 0xfffd
	v_add_co_ci_u32_e64 v55, null, s23, v55, vcc_lo
	v_add_co_u32 v56, vcc_lo, v56, s22
	s_wait_alu 0xfffe
	v_cmp_lt_i64_e64 s3, s[26:27], s[4:5]
	s_wait_alu 0xfffd
	v_add_co_ci_u32_e64 v57, null, s23, v57, vcc_lo
	v_add_co_u32 v23, vcc_lo, v23, s20
	s_wait_dscnt 0x0
	v_fmac_f32_e32 v87, v3, v2
	s_wait_alu 0xfffd
	v_add_co_ci_u32_e64 v25, null, 0, v25, vcc_lo
	s_and_b32 vcc_lo, exec_lo, s3
	s_add_nc_u64 s[24:25], s[24:25], s[20:21]
	s_wait_alu 0xfffe
	s_cbranch_vccz .LBB168_50
; %bb.41:                               ;   in Loop: Header=BB168_3 Depth=1
	v_mov_b32_e32 v58, v87
	s_branch .LBB168_3
.LBB168_42:                             ;   in Loop: Header=BB168_3 Depth=1
	v_add_co_u32 v2, vcc_lo, v26, v18
	s_wait_alu 0xfffd
	v_add_co_ci_u32_e64 v3, null, v27, v19, vcc_lo
	v_add_co_u32 v4, vcc_lo, v28, v18
	s_wait_alu 0xfffd
	v_add_co_ci_u32_e64 v5, null, v29, v19, vcc_lo
	global_load_u16 v2, v[2:3], off
	global_load_u16 v10, v[4:5], off
	v_dual_mov_b32 v3, v1 :: v_dual_mov_b32 v4, v1
	v_dual_mov_b32 v5, v1 :: v_dual_mov_b32 v6, v1
	;; [unrolled: 1-line block ×6, first 2 shown]
	v_mov_b32_e32 v15, v1
	v_mov_b32_e32 v17, v1
	s_wait_loadcnt 0x1
	v_cvt_f32_f16_e32 v2, v2
	s_wait_loadcnt 0x0
	v_cvt_f32_f16_e32 v10, v10
	s_wait_alu 0xfffe
	s_or_b32 exec_lo, exec_lo, s3
	s_and_saveexec_b32 s3, s2
	s_cbranch_execz .LBB168_32
.LBB168_43:                             ;   in Loop: Header=BB168_3 Depth=1
	v_add_co_u32 v20, vcc_lo, v54, v18
	s_wait_alu 0xfffd
	v_add_co_ci_u32_e64 v21, null, v55, v19, vcc_lo
	v_add_co_u32 v60, vcc_lo, v56, v18
	s_wait_alu 0xfffd
	v_add_co_ci_u32_e64 v61, null, v57, v19, vcc_lo
	global_load_u16 v3, v[20:21], off
	global_load_u16 v11, v[60:61], off
	s_wait_loadcnt 0x1
	v_cvt_f32_f16_e32 v3, v3
	s_wait_loadcnt 0x0
	v_cvt_f32_f16_e32 v11, v11
	s_wait_alu 0xfffe
	s_or_b32 exec_lo, exec_lo, s3
	s_and_saveexec_b32 s3, s2
	s_cbranch_execz .LBB168_33
.LBB168_44:                             ;   in Loop: Header=BB168_3 Depth=1
	v_add_co_u32 v20, vcc_lo, v50, v18
	s_wait_alu 0xfffd
	v_add_co_ci_u32_e64 v21, null, v51, v19, vcc_lo
	v_add_co_u32 v60, vcc_lo, v52, v18
	s_wait_alu 0xfffd
	v_add_co_ci_u32_e64 v61, null, v53, v19, vcc_lo
	global_load_u16 v4, v[20:21], off
	global_load_u16 v12, v[60:61], off
	s_wait_loadcnt 0x1
	v_cvt_f32_f16_e32 v4, v4
	s_wait_loadcnt 0x0
	v_cvt_f32_f16_e32 v12, v12
	s_wait_alu 0xfffe
	s_or_b32 exec_lo, exec_lo, s3
	s_and_saveexec_b32 s3, s2
	s_cbranch_execz .LBB168_34
.LBB168_45:                             ;   in Loop: Header=BB168_3 Depth=1
	v_add_co_u32 v20, vcc_lo, v46, v18
	s_wait_alu 0xfffd
	v_add_co_ci_u32_e64 v21, null, v47, v19, vcc_lo
	v_add_co_u32 v60, vcc_lo, v48, v18
	s_wait_alu 0xfffd
	v_add_co_ci_u32_e64 v61, null, v49, v19, vcc_lo
	global_load_u16 v5, v[20:21], off
	global_load_u16 v13, v[60:61], off
	s_wait_loadcnt 0x1
	v_cvt_f32_f16_e32 v5, v5
	s_wait_loadcnt 0x0
	v_cvt_f32_f16_e32 v13, v13
	s_wait_alu 0xfffe
	s_or_b32 exec_lo, exec_lo, s3
	s_and_saveexec_b32 s3, s2
	s_cbranch_execz .LBB168_35
.LBB168_46:                             ;   in Loop: Header=BB168_3 Depth=1
	v_add_co_u32 v20, vcc_lo, v42, v18
	s_wait_alu 0xfffd
	v_add_co_ci_u32_e64 v21, null, v43, v19, vcc_lo
	v_add_co_u32 v60, vcc_lo, v44, v18
	s_wait_alu 0xfffd
	v_add_co_ci_u32_e64 v61, null, v45, v19, vcc_lo
	global_load_u16 v6, v[20:21], off
	global_load_u16 v14, v[60:61], off
	s_wait_loadcnt 0x1
	v_cvt_f32_f16_e32 v6, v6
	s_wait_loadcnt 0x0
	v_cvt_f32_f16_e32 v14, v14
	s_wait_alu 0xfffe
	s_or_b32 exec_lo, exec_lo, s3
	s_and_saveexec_b32 s3, s2
	s_cbranch_execz .LBB168_36
.LBB168_47:                             ;   in Loop: Header=BB168_3 Depth=1
	v_add_co_u32 v20, vcc_lo, v38, v18
	s_wait_alu 0xfffd
	v_add_co_ci_u32_e64 v21, null, v39, v19, vcc_lo
	v_add_co_u32 v60, vcc_lo, v40, v18
	s_wait_alu 0xfffd
	v_add_co_ci_u32_e64 v61, null, v41, v19, vcc_lo
	global_load_u16 v7, v[20:21], off
	global_load_u16 v15, v[60:61], off
	s_wait_loadcnt 0x1
	v_cvt_f32_f16_e32 v7, v7
	s_wait_loadcnt 0x0
	v_cvt_f32_f16_e32 v15, v15
	s_wait_alu 0xfffe
	s_or_b32 exec_lo, exec_lo, s3
	s_and_saveexec_b32 s3, s2
	s_cbranch_execz .LBB168_37
.LBB168_48:                             ;   in Loop: Header=BB168_3 Depth=1
	v_add_co_u32 v20, vcc_lo, v34, v18
	s_wait_alu 0xfffd
	v_add_co_ci_u32_e64 v21, null, v35, v19, vcc_lo
	v_add_co_u32 v60, vcc_lo, v36, v18
	s_wait_alu 0xfffd
	v_add_co_ci_u32_e64 v61, null, v37, v19, vcc_lo
	global_load_u16 v8, v[20:21], off
	global_load_u16 v16, v[60:61], off
	s_wait_loadcnt 0x1
	v_cvt_f32_f16_e32 v8, v8
	s_wait_loadcnt 0x0
	v_cvt_f32_f16_e32 v16, v16
	s_wait_alu 0xfffe
	s_or_b32 exec_lo, exec_lo, s3
	s_and_saveexec_b32 s3, s2
	s_cbranch_execnz .LBB168_38
	s_branch .LBB168_39
.LBB168_49:
                                        ; implicit-def: $vgpr87
	s_load_b64 s[16:17], s[0:1], 0x30
	s_branch .LBB168_51
.LBB168_50:
	s_load_b64 s[16:17], s[0:1], 0x30
	s_cbranch_execnz .LBB168_83
.LBB168_51:
	v_mov_b32_e32 v87, 0
	s_and_not1_b32 vcc_lo, exec_lo, s29
	s_wait_alu 0xfffe
	s_cbranch_vccnz .LBB168_83
; %bb.52:
	v_bfe_u32 v50, v0, 10, 10
	v_dual_mov_b32 v1, 0 :: v_dual_and_b32 v52, 0x3ff, v0
	s_lshl_b64 s[22:23], s[14:15], 1
	s_mov_b32 s3, 0
	s_delay_alu instid0(VALU_DEP_2) | instskip(NEXT) | instid1(VALU_DEP_2)
	v_dual_mov_b32 v86, 0 :: v_dual_lshlrev_b32 v51, 3, v50
	v_dual_mov_b32 v53, v1 :: v_dual_lshlrev_b32 v8, 4, v50
	v_dual_mov_b32 v5, v1 :: v_dual_add_nc_u32 v4, s28, v52
	s_delay_alu instid0(VALU_DEP_3) | instskip(SKIP_2) | instid1(VALU_DEP_3)
	v_add_co_u32 v10, s2, v51, s14
	s_wait_alu 0xf1ff
	v_add_co_ci_u32_e64 v11, null, 0, 0, s2
	v_lshlrev_b64_e32 v[18:19], 1, v[4:5]
	s_delay_alu instid0(VALU_DEP_3) | instskip(SKIP_1) | instid1(VALU_DEP_4)
	v_mul_lo_u32 v6, s7, v10
	v_mad_co_u64_u32 v[2:3], null, s6, v10, 0
	v_mul_lo_u32 v7, s6, v11
	s_load_b32 s2, s[0:1], 0x44
	s_mov_b32 s21, s3
	s_add_nc_u64 s[18:19], s[0:1], 64
	s_delay_alu instid0(VALU_DEP_1) | instskip(SKIP_3) | instid1(VALU_DEP_3)
	v_add3_u32 v3, v3, v7, v6
	v_add_co_u32 v6, s20, v8, s22
	s_wait_alu 0xf1ff
	v_add_co_ci_u32_e64 v7, null, 0, s23, s20
	v_lshlrev_b64_e32 v[4:5], 1, v[2:3]
	s_delay_alu instid0(VALU_DEP_3) | instskip(SKIP_1) | instid1(VALU_DEP_3)
	v_add_co_u32 v8, vcc_lo, v6, 2
	s_wait_alu 0xfffd
	v_add_co_ci_u32_e64 v9, null, 0, v7, vcc_lo
	s_delay_alu instid0(VALU_DEP_3)
	v_add_co_u32 v54, vcc_lo, s8, v4
	s_wait_alu 0xfffd
	v_add_co_ci_u32_e64 v55, null, s9, v5, vcc_lo
	v_add_co_u32 v56, vcc_lo, s10, v4
	s_wait_alu 0xfffd
	v_add_co_ci_u32_e64 v57, null, s11, v5, vcc_lo
	;; [unrolled: 3-line block ×5, first 2 shown]
	v_add_co_u32 v42, vcc_lo, v6, 10
	v_mad_co_u64_u32 v[22:23], null, s6, v4, s[8:9]
	v_mul_lo_u32 v5, s6, v5
	v_mul_lo_u32 v15, s7, v4
	v_mad_co_u64_u32 v[36:37], null, s6, v4, s[10:11]
	s_wait_alu 0xfffd
	v_add_co_ci_u32_e64 v30, null, 0, v7, vcc_lo
	v_add_co_u32 v44, vcc_lo, v6, 12
	s_wait_alu 0xfffd
	v_add_co_ci_u32_e64 v32, null, 0, v7, vcc_lo
	v_add_co_u32 v6, vcc_lo, v6, 14
	v_mad_co_u64_u32 v[20:21], null, s6, v8, s[8:9]
	v_mul_lo_u32 v9, s6, v9
	v_mul_lo_u32 v12, s7, v8
	v_mad_co_u64_u32 v[34:35], null, s6, v8, s[10:11]
	s_wait_alu 0xfffd
	v_add_co_ci_u32_e64 v7, null, 0, v7, vcc_lo
	v_add_co_u32 v4, vcc_lo, v10, 7
	v_add3_u32 v23, v15, v23, v5
	v_add3_u32 v37, v15, v37, v5
	s_wait_alu 0xfffd
	v_add_co_ci_u32_e64 v5, null, 0, v11, vcc_lo
	v_mul_lo_u32 v62, s6, v7
	v_add_co_u32 v7, vcc_lo, v10, 6
	v_add3_u32 v21, v12, v21, v9
	v_add3_u32 v35, v12, v35, v9
	s_wait_alu 0xfffd
	v_add_co_ci_u32_e64 v12, null, 0, v11, vcc_lo
	v_mul_lo_u32 v8, s7, v4
	v_mul_lo_u32 v9, s6, v5
	v_mad_co_u64_u32 v[4:5], null, s6, v4, 0
	v_mad_co_u64_u32 v[24:25], null, s6, v13, s[8:9]
	v_mul_lo_u32 v17, s7, v13
	v_mul_lo_u32 v60, s6, v32
	v_mad_co_u64_u32 v[32:33], null, s6, v6, s[8:9]
	v_mul_lo_u32 v63, s7, v6
	v_mad_co_u64_u32 v[38:39], null, s6, v13, s[10:11]
	v_mad_co_u64_u32 v[46:47], null, s6, v6, s[10:11]
	v_mul_lo_u32 v13, s7, v7
	v_mul_lo_u32 v12, s6, v12
	v_mad_co_u64_u32 v[6:7], null, s6, v7, 0
	v_add3_u32 v5, v5, v9, v8
	v_add_co_u32 v8, vcc_lo, v10, 5
	v_mul_lo_u32 v48, s6, v28
	v_mad_co_u64_u32 v[28:29], null, s6, v42, s[8:9]
	v_mul_lo_u32 v58, s6, v30
	v_mul_lo_u32 v59, s7, v42
	v_mad_co_u64_u32 v[42:43], null, s6, v42, s[10:11]
	s_wait_alu 0xfffd
	v_add_co_ci_u32_e64 v9, null, 0, v11, vcc_lo
	v_add3_u32 v7, v7, v12, v13
	v_mad_co_u64_u32 v[30:31], null, s6, v44, s[8:9]
	v_mul_lo_u32 v61, s7, v44
	v_mad_co_u64_u32 v[44:45], null, s6, v44, s[10:11]
	v_lshlrev_b64_e32 v[4:5], 1, v[4:5]
	v_mul_lo_u32 v12, s7, v8
	v_mul_lo_u32 v13, s6, v9
	v_mad_co_u64_u32 v[8:9], null, s6, v8, 0
	v_lshlrev_b64_e32 v[6:7], 1, v[6:7]
	v_add3_u32 v29, v59, v29, v58
	v_add3_u32 v43, v59, v43, v58
	v_add_co_u32 v58, vcc_lo, s8, v4
	v_add3_u32 v31, v61, v31, v60
	v_add3_u32 v45, v61, v45, v60
	s_wait_alu 0xfffd
	v_add_co_ci_u32_e64 v59, null, s9, v5, vcc_lo
	v_add_co_u32 v60, vcc_lo, s10, v4
	v_add3_u32 v33, v63, v33, v62
	v_add3_u32 v47, v63, v47, v62
	s_wait_alu 0xfffd
	v_add_co_ci_u32_e64 v61, null, s11, v5, vcc_lo
	v_add_co_u32 v62, vcc_lo, s8, v6
	v_mul_lo_u32 v14, s6, v14
	v_add3_u32 v9, v9, v13, v12
	s_wait_alu 0xfffd
	v_add_co_ci_u32_e64 v63, null, s9, v7, vcc_lo
	v_add_co_u32 v12, vcc_lo, v10, 4
	s_wait_kmcnt 0x0
	s_lshl_b32 s20, s2, 3
	v_add_co_u32 v64, s2, s10, v6
	s_wait_alu 0xfffd
	v_add_co_ci_u32_e64 v6, null, 0, v11, vcc_lo
	v_lshlrev_b64_e32 v[4:5], 1, v[8:9]
	v_add_co_u32 v8, vcc_lo, v10, 3
	s_wait_alu 0xfffd
	v_add_co_ci_u32_e64 v9, null, 0, v11, vcc_lo
	v_add3_u32 v25, v17, v25, v14
	v_add3_u32 v39, v17, v39, v14
	s_wait_alu 0xf1ff
	v_add_co_ci_u32_e64 v65, null, s11, v7, s2
	v_mul_lo_u32 v13, s7, v12
	v_mul_lo_u32 v14, s6, v6
	v_mad_co_u64_u32 v[6:7], null, s6, v12, 0
	v_mul_lo_u32 v12, s7, v8
	v_mul_lo_u32 v15, s6, v9
	v_mad_co_u64_u32 v[8:9], null, s6, v8, 0
	v_add_co_u32 v66, vcc_lo, s8, v4
	s_wait_alu 0xfffd
	v_add_co_ci_u32_e64 v67, null, s9, v5, vcc_lo
	v_add3_u32 v7, v7, v14, v13
	v_add_co_u32 v68, vcc_lo, s10, v4
	s_wait_alu 0xfffd
	v_add_co_ci_u32_e64 v69, null, s11, v5, vcc_lo
	v_add_co_u32 v10, vcc_lo, v10, 2
	v_add3_u32 v9, v9, v15, v12
	s_wait_alu 0xfffd
	v_add_co_ci_u32_e64 v11, null, 0, v11, vcc_lo
	v_lshlrev_b64_e32 v[4:5], 1, v[6:7]
	v_mul_lo_u32 v12, s7, v10
	v_lshlrev_b64_e32 v[6:7], 1, v[8:9]
	s_delay_alu instid0(VALU_DEP_4)
	v_mul_lo_u32 v11, s6, v11
	v_mad_co_u64_u32 v[8:9], null, s6, v10, 0
	v_add_co_u32 v70, vcc_lo, s8, v4
	s_wait_alu 0xfffd
	v_add_co_ci_u32_e64 v71, null, s9, v5, vcc_lo
	v_add_co_u32 v72, vcc_lo, s10, v4
	s_wait_alu 0xfffd
	v_add_co_ci_u32_e64 v73, null, s11, v5, vcc_lo
	;; [unrolled: 3-line block ×3, first 2 shown]
	v_add3_u32 v9, v9, v11, v12
	v_add_co_u32 v76, vcc_lo, s10, v6
	s_wait_alu 0xfffd
	v_add_co_ci_u32_e64 v77, null, s11, v7, vcc_lo
	v_add_co_u32 v2, vcc_lo, v2, s6
	s_wait_alu 0xfffd
	v_add_co_ci_u32_e64 v3, null, s7, v3, vcc_lo
	v_lshlrev_b64_e32 v[4:5], 1, v[8:9]
	v_mad_co_u64_u32 v[26:27], null, s6, v16, s[8:9]
	s_delay_alu instid0(VALU_DEP_3)
	v_lshlrev_b64_e32 v[2:3], 1, v[2:3]
	v_mul_lo_u32 v49, s7, v16
	v_mad_co_u64_u32 v[40:41], null, s6, v16, s[10:11]
	v_add_co_u32 v78, vcc_lo, s8, v4
	s_wait_alu 0xfffd
	v_add_co_ci_u32_e64 v79, null, s9, v5, vcc_lo
	v_add_co_u32 v80, vcc_lo, s10, v4
	s_wait_alu 0xfffd
	v_add_co_ci_u32_e64 v81, null, s11, v5, vcc_lo
	;; [unrolled: 3-line block ×3, first 2 shown]
	v_add_co_u32 v84, vcc_lo, s10, v2
	v_add3_u32 v27, v49, v27, v48
	v_add3_u32 v41, v49, v41, v48
	s_wait_alu 0xfffd
	v_add_co_ci_u32_e64 v85, null, s11, v3, vcc_lo
	s_wait_alu 0xfffe
	s_mul_u64 s[22:23], s[6:7], s[20:21]
	s_mov_b64 s[10:11], 7
	s_wait_alu 0xfffe
	s_lshl_b64 s[8:9], s[22:23], 1
	s_mov_b64 s[22:23], s[14:15]
.LBB168_53:                             ; =>This Inner Loop Header: Depth=1
	s_add_nc_u64 s[24:25], s[14:15], s[10:11]
	v_add_co_u32 v48, vcc_lo, s14, v51
	s_wait_alu 0xfffe
	v_cmp_ge_i64_e64 s2, s[24:25], s[4:5]
	s_wait_alu 0xfffd
	v_add_co_ci_u32_e64 v49, null, 0, v53, vcc_lo
                                        ; implicit-def: $vgpr87
	s_and_b32 vcc_lo, exec_lo, s2
	s_mov_b32 s2, -1
	s_wait_alu 0xfffe
	s_cbranch_vccz .LBB168_75
; %bb.54:                               ;   in Loop: Header=BB168_53 Depth=1
	s_load_b32 s2, s[18:19], 0xc
	v_mov_b32_e32 v88, 0
	s_wait_kmcnt 0x0
	s_and_b32 s2, s2, 0xffff
	s_wait_alu 0xfffe
	v_mad_u32_u24 v2, v50, s2, v52
	s_mov_b32 s2, exec_lo
	s_delay_alu instid0(VALU_DEP_1) | instskip(NEXT) | instid1(VALU_DEP_1)
	v_and_b32_e32 v2, 31, v2
	v_cmpx_gt_u32_e32 8, v2
	s_cbranch_execz .LBB168_58
; %bb.55:                               ;   in Loop: Header=BB168_53 Depth=1
	v_add_co_u32 v2, vcc_lo, v48, v2
	s_wait_alu 0xfffd
	v_add_co_ci_u32_e64 v3, null, 0, v49, vcc_lo
	v_mov_b32_e32 v88, 0
	s_mov_b32 s24, exec_lo
	s_delay_alu instid0(VALU_DEP_2)
	v_cmpx_gt_i64_e64 s[4:5], v[2:3]
	s_cbranch_execz .LBB168_57
; %bb.56:                               ;   in Loop: Header=BB168_53 Depth=1
	v_lshlrev_b64_e32 v[2:3], 2, v[2:3]
	s_delay_alu instid0(VALU_DEP_1) | instskip(SKIP_1) | instid1(VALU_DEP_2)
	v_add_co_u32 v2, vcc_lo, s12, v2
	s_wait_alu 0xfffd
	v_add_co_ci_u32_e64 v3, null, s13, v3, vcc_lo
	global_load_b32 v88, v[2:3], off
.LBB168_57:                             ;   in Loop: Header=BB168_53 Depth=1
	s_wait_alu 0xfffe
	s_or_b32 exec_lo, exec_lo, s24
.LBB168_58:                             ;   in Loop: Header=BB168_53 Depth=1
	s_wait_alu 0xfffe
	s_or_b32 exec_lo, exec_lo, s2
	v_mov_b32_e32 v8, v1
	v_dual_mov_b32 v2, v1 :: v_dual_mov_b32 v3, v1
	v_dual_mov_b32 v4, v1 :: v_dual_mov_b32 v5, v1
	;; [unrolled: 1-line block ×3, first 2 shown]
	s_delay_alu instid0(VALU_DEP_4) | instskip(NEXT) | instid1(VALU_DEP_3)
	v_mov_b32_e32 v17, v8
	v_dual_mov_b32 v13, v4 :: v_dual_mov_b32 v12, v3
	s_delay_alu instid0(VALU_DEP_3) | instskip(NEXT) | instid1(VALU_DEP_4)
	v_dual_mov_b32 v15, v6 :: v_dual_mov_b32 v14, v5
	v_dual_mov_b32 v16, v7 :: v_dual_mov_b32 v11, v2
	;; [unrolled: 1-line block ×3, first 2 shown]
	v_mov_b32_e32 v8, v7
	v_mov_b32_e32 v7, v6
	v_mov_b32_e32 v6, v5
	v_mov_b32_e32 v5, v4
	v_mov_b32_e32 v4, v3
	v_mov_b32_e32 v3, v2
	v_mov_b32_e32 v2, v1
	s_mov_b32 s2, exec_lo
	v_cmpx_gt_i64_e64 s[4:5], v[48:49]
	s_cbranch_execz .LBB168_60
; %bb.59:                               ;   in Loop: Header=BB168_53 Depth=1
	v_add_co_u32 v2, vcc_lo, v54, v18
	s_wait_alu 0xfffd
	v_add_co_ci_u32_e64 v3, null, v55, v19, vcc_lo
	v_add_co_u32 v4, vcc_lo, v56, v18
	s_wait_alu 0xfffd
	v_add_co_ci_u32_e64 v5, null, v57, v19, vcc_lo
	global_load_u16 v2, v[2:3], off
	global_load_u16 v10, v[4:5], off
	v_dual_mov_b32 v3, v1 :: v_dual_mov_b32 v4, v1
	v_dual_mov_b32 v5, v1 :: v_dual_mov_b32 v6, v1
	;; [unrolled: 1-line block ×6, first 2 shown]
	v_mov_b32_e32 v15, v1
	v_mov_b32_e32 v17, v1
	s_wait_loadcnt 0x1
	v_cvt_f32_f16_e32 v2, v2
	s_wait_loadcnt 0x0
	v_cvt_f32_f16_e32 v10, v10
.LBB168_60:                             ;   in Loop: Header=BB168_53 Depth=1
	s_wait_alu 0xfffe
	s_or_b32 exec_lo, exec_lo, s2
	v_add_co_u32 v89, vcc_lo, v48, 1
	s_wait_alu 0xfffd
	v_add_co_ci_u32_e64 v90, null, 0, v49, vcc_lo
	s_mov_b32 s2, exec_lo
	v_cmpx_gt_i64_e64 s[4:5], v[89:90]
	s_cbranch_execz .LBB168_62
; %bb.61:                               ;   in Loop: Header=BB168_53 Depth=1
	v_add_co_u32 v89, vcc_lo, v82, v18
	s_wait_alu 0xfffd
	v_add_co_ci_u32_e64 v90, null, v83, v19, vcc_lo
	v_add_co_u32 v91, vcc_lo, v84, v18
	s_wait_alu 0xfffd
	v_add_co_ci_u32_e64 v92, null, v85, v19, vcc_lo
	global_load_u16 v3, v[89:90], off
	global_load_u16 v11, v[91:92], off
	s_wait_loadcnt 0x1
	v_cvt_f32_f16_e32 v3, v3
	s_wait_loadcnt 0x0
	v_cvt_f32_f16_e32 v11, v11
.LBB168_62:                             ;   in Loop: Header=BB168_53 Depth=1
	s_wait_alu 0xfffe
	s_or_b32 exec_lo, exec_lo, s2
	v_add_co_u32 v89, vcc_lo, v48, 2
	s_wait_alu 0xfffd
	v_add_co_ci_u32_e64 v90, null, 0, v49, vcc_lo
	s_mov_b32 s2, exec_lo
	v_cmpx_gt_i64_e64 s[4:5], v[89:90]
	s_cbranch_execz .LBB168_64
; %bb.63:                               ;   in Loop: Header=BB168_53 Depth=1
	v_add_co_u32 v89, vcc_lo, v78, v18
	s_wait_alu 0xfffd
	v_add_co_ci_u32_e64 v90, null, v79, v19, vcc_lo
	v_add_co_u32 v91, vcc_lo, v80, v18
	s_wait_alu 0xfffd
	v_add_co_ci_u32_e64 v92, null, v81, v19, vcc_lo
	global_load_u16 v4, v[89:90], off
	global_load_u16 v12, v[91:92], off
	s_wait_loadcnt 0x1
	v_cvt_f32_f16_e32 v4, v4
	s_wait_loadcnt 0x0
	v_cvt_f32_f16_e32 v12, v12
.LBB168_64:                             ;   in Loop: Header=BB168_53 Depth=1
	s_wait_alu 0xfffe
	s_or_b32 exec_lo, exec_lo, s2
	v_add_co_u32 v89, vcc_lo, v48, 3
	s_wait_alu 0xfffd
	v_add_co_ci_u32_e64 v90, null, 0, v49, vcc_lo
	s_mov_b32 s2, exec_lo
	v_cmpx_gt_i64_e64 s[4:5], v[89:90]
	s_cbranch_execz .LBB168_66
; %bb.65:                               ;   in Loop: Header=BB168_53 Depth=1
	v_add_co_u32 v89, vcc_lo, v74, v18
	s_wait_alu 0xfffd
	v_add_co_ci_u32_e64 v90, null, v75, v19, vcc_lo
	v_add_co_u32 v91, vcc_lo, v76, v18
	s_wait_alu 0xfffd
	v_add_co_ci_u32_e64 v92, null, v77, v19, vcc_lo
	global_load_u16 v5, v[89:90], off
	global_load_u16 v13, v[91:92], off
	s_wait_loadcnt 0x1
	v_cvt_f32_f16_e32 v5, v5
	s_wait_loadcnt 0x0
	v_cvt_f32_f16_e32 v13, v13
.LBB168_66:                             ;   in Loop: Header=BB168_53 Depth=1
	s_wait_alu 0xfffe
	s_or_b32 exec_lo, exec_lo, s2
	v_add_co_u32 v89, vcc_lo, v48, 4
	s_wait_alu 0xfffd
	v_add_co_ci_u32_e64 v90, null, 0, v49, vcc_lo
	s_mov_b32 s2, exec_lo
	v_cmpx_gt_i64_e64 s[4:5], v[89:90]
	s_cbranch_execz .LBB168_68
; %bb.67:                               ;   in Loop: Header=BB168_53 Depth=1
	v_add_co_u32 v89, vcc_lo, v70, v18
	s_wait_alu 0xfffd
	v_add_co_ci_u32_e64 v90, null, v71, v19, vcc_lo
	v_add_co_u32 v91, vcc_lo, v72, v18
	s_wait_alu 0xfffd
	v_add_co_ci_u32_e64 v92, null, v73, v19, vcc_lo
	global_load_u16 v6, v[89:90], off
	global_load_u16 v14, v[91:92], off
	s_wait_loadcnt 0x1
	v_cvt_f32_f16_e32 v6, v6
	s_wait_loadcnt 0x0
	v_cvt_f32_f16_e32 v14, v14
.LBB168_68:                             ;   in Loop: Header=BB168_53 Depth=1
	s_wait_alu 0xfffe
	s_or_b32 exec_lo, exec_lo, s2
	v_add_co_u32 v89, vcc_lo, v48, 5
	s_wait_alu 0xfffd
	v_add_co_ci_u32_e64 v90, null, 0, v49, vcc_lo
	s_mov_b32 s2, exec_lo
	v_cmpx_gt_i64_e64 s[4:5], v[89:90]
	s_cbranch_execz .LBB168_70
; %bb.69:                               ;   in Loop: Header=BB168_53 Depth=1
	v_add_co_u32 v89, vcc_lo, v66, v18
	s_wait_alu 0xfffd
	v_add_co_ci_u32_e64 v90, null, v67, v19, vcc_lo
	v_add_co_u32 v91, vcc_lo, v68, v18
	s_wait_alu 0xfffd
	v_add_co_ci_u32_e64 v92, null, v69, v19, vcc_lo
	global_load_u16 v7, v[89:90], off
	global_load_u16 v15, v[91:92], off
	s_wait_loadcnt 0x1
	v_cvt_f32_f16_e32 v7, v7
	s_wait_loadcnt 0x0
	v_cvt_f32_f16_e32 v15, v15
.LBB168_70:                             ;   in Loop: Header=BB168_53 Depth=1
	s_wait_alu 0xfffe
	s_or_b32 exec_lo, exec_lo, s2
	v_add_co_u32 v89, vcc_lo, v48, 6
	s_wait_alu 0xfffd
	v_add_co_ci_u32_e64 v90, null, 0, v49, vcc_lo
	s_mov_b32 s2, exec_lo
	v_cmpx_gt_i64_e64 s[4:5], v[89:90]
	s_cbranch_execz .LBB168_72
; %bb.71:                               ;   in Loop: Header=BB168_53 Depth=1
	v_add_co_u32 v89, vcc_lo, v62, v18
	s_wait_alu 0xfffd
	v_add_co_ci_u32_e64 v90, null, v63, v19, vcc_lo
	v_add_co_u32 v91, vcc_lo, v64, v18
	s_wait_alu 0xfffd
	v_add_co_ci_u32_e64 v92, null, v65, v19, vcc_lo
	global_load_u16 v8, v[89:90], off
	global_load_u16 v16, v[91:92], off
	s_wait_loadcnt 0x1
	v_cvt_f32_f16_e32 v8, v8
	s_wait_loadcnt 0x0
	v_cvt_f32_f16_e32 v16, v16
.LBB168_72:                             ;   in Loop: Header=BB168_53 Depth=1
	s_wait_alu 0xfffe
	s_or_b32 exec_lo, exec_lo, s2
	v_add_co_u32 v89, vcc_lo, v48, 7
	s_wait_alu 0xfffd
	v_add_co_ci_u32_e64 v90, null, 0, v49, vcc_lo
	s_mov_b32 s2, exec_lo
	v_cmpx_gt_i64_e64 s[4:5], v[89:90]
	s_cbranch_execz .LBB168_74
; %bb.73:                               ;   in Loop: Header=BB168_53 Depth=1
	v_add_co_u32 v89, vcc_lo, v58, v18
	s_wait_alu 0xfffd
	v_add_co_ci_u32_e64 v90, null, v59, v19, vcc_lo
	v_add_co_u32 v91, vcc_lo, v60, v18
	s_wait_alu 0xfffd
	v_add_co_ci_u32_e64 v92, null, v61, v19, vcc_lo
	global_load_u16 v9, v[89:90], off
	global_load_u16 v17, v[91:92], off
	s_wait_loadcnt 0x1
	v_cvt_f32_f16_e32 v9, v9
	s_wait_loadcnt 0x0
	v_cvt_f32_f16_e32 v17, v17
.LBB168_74:                             ;   in Loop: Header=BB168_53 Depth=1
	s_wait_alu 0xfffe
	s_or_b32 exec_lo, exec_lo, s2
	s_wait_loadcnt 0x0
	ds_bpermute_b32 v87, v1, v88
	ds_bpermute_b32 v89, v1, v88 offset:4
	ds_bpermute_b32 v90, v1, v88 offset:8
	v_dual_mul_f32 v2, v10, v2 :: v_dual_mul_f32 v3, v11, v3
	ds_bpermute_b32 v10, v1, v88 offset:12
	ds_bpermute_b32 v11, v1, v88 offset:16
	s_mov_b32 s2, 0
	s_wait_dscnt 0x4
	v_fma_f32 v87, v2, v87, v86
	v_mul_f32_e32 v2, v12, v4
	ds_bpermute_b32 v4, v1, v88 offset:20
	s_wait_dscnt 0x4
	v_fmac_f32_e32 v87, v3, v89
	v_mul_f32_e32 v3, v13, v5
	ds_bpermute_b32 v5, v1, v88 offset:24
	s_wait_dscnt 0x4
	v_fmac_f32_e32 v87, v2, v90
	v_mul_f32_e32 v2, v14, v6
	v_mul_f32_e32 v6, v15, v7
	s_wait_dscnt 0x3
	s_delay_alu instid0(VALU_DEP_3) | instskip(SKIP_4) | instid1(VALU_DEP_1)
	v_fmac_f32_e32 v87, v3, v10
	ds_bpermute_b32 v3, v1, v88 offset:28
	s_wait_dscnt 0x3
	v_dual_fmac_f32 v87, v2, v11 :: v_dual_mul_f32 v2, v16, v8
	s_wait_dscnt 0x2
	v_fmac_f32_e32 v87, v6, v4
	s_wait_dscnt 0x1
	s_delay_alu instid0(VALU_DEP_1) | instskip(SKIP_2) | instid1(VALU_DEP_1)
	v_fmac_f32_e32 v87, v2, v5
	v_mul_f32_e32 v2, v17, v9
	s_wait_dscnt 0x0
	v_fmac_f32_e32 v87, v2, v3
.LBB168_75:                             ;   in Loop: Header=BB168_53 Depth=1
	s_wait_alu 0xfffe
	s_and_b32 vcc_lo, exec_lo, s2
	s_wait_alu 0xfffe
	s_cbranch_vccz .LBB168_81
; %bb.76:                               ;   in Loop: Header=BB168_53 Depth=1
	s_load_b32 s2, s[18:19], 0x0
	v_mov_b32_e32 v4, 0
	s_wait_kmcnt 0x0
	s_cmp_lt_u32 ttmp9, s2
	s_cselect_b32 s2, 12, 18
	s_wait_alu 0xfffe
	s_add_nc_u64 s[24:25], s[18:19], s[2:3]
	s_load_u16 s2, s[24:25], 0x0
	s_wait_kmcnt 0x0
	v_mad_u32_u24 v2, v50, s2, v52
	s_mov_b32 s2, exec_lo
	s_delay_alu instid0(VALU_DEP_1) | instskip(NEXT) | instid1(VALU_DEP_1)
	v_and_b32_e32 v2, 31, v2
	v_cmpx_gt_u32_e32 8, v2
	s_cbranch_execz .LBB168_80
; %bb.77:                               ;   in Loop: Header=BB168_53 Depth=1
	v_add_co_u32 v2, vcc_lo, v48, v2
	s_wait_alu 0xfffd
	v_add_co_ci_u32_e64 v3, null, 0, v49, vcc_lo
	v_mov_b32_e32 v4, 0
	s_mov_b32 s24, exec_lo
	s_delay_alu instid0(VALU_DEP_2)
	v_cmpx_gt_i64_e64 s[4:5], v[2:3]
	s_cbranch_execz .LBB168_79
; %bb.78:                               ;   in Loop: Header=BB168_53 Depth=1
	v_lshlrev_b64_e32 v[2:3], 2, v[2:3]
	s_delay_alu instid0(VALU_DEP_1) | instskip(SKIP_1) | instid1(VALU_DEP_2)
	v_add_co_u32 v2, vcc_lo, s12, v2
	s_wait_alu 0xfffd
	v_add_co_ci_u32_e64 v3, null, s13, v3, vcc_lo
	global_load_b32 v4, v[2:3], off
.LBB168_79:                             ;   in Loop: Header=BB168_53 Depth=1
	s_wait_alu 0xfffe
	s_or_b32 exec_lo, exec_lo, s24
.LBB168_80:                             ;   in Loop: Header=BB168_53 Depth=1
	s_wait_alu 0xfffe
	s_or_b32 exec_lo, exec_lo, s2
	v_add_co_u32 v2, vcc_lo, v54, v18
	s_wait_alu 0xfffd
	v_add_co_ci_u32_e64 v3, null, v55, v19, vcc_lo
	v_add_co_u32 v5, vcc_lo, v56, v18
	s_wait_alu 0xfffd
	v_add_co_ci_u32_e64 v6, null, v57, v19, vcc_lo
	;; [unrolled: 3-line block ×5, first 2 shown]
	global_load_u16 v13, v[2:3], off
	global_load_u16 v14, v[5:6], off
	;; [unrolled: 1-line block ×5, first 2 shown]
	v_add_co_u32 v2, vcc_lo, v36, v18
	s_wait_alu 0xfffd
	v_add_co_ci_u32_e64 v3, null, v37, v19, vcc_lo
	v_add_co_u32 v5, vcc_lo, v24, v18
	s_wait_alu 0xfffd
	v_add_co_ci_u32_e64 v6, null, v25, v19, vcc_lo
	;; [unrolled: 3-line block ×5, first 2 shown]
	global_load_u16 v48, v[2:3], off
	global_load_u16 v49, v[5:6], off
	global_load_u16 v87, v[7:8], off
	global_load_u16 v88, v[9:10], off
	global_load_u16 v11, v[11:12], off
	v_add_co_u32 v2, vcc_lo, v28, v18
	s_wait_alu 0xfffd
	v_add_co_ci_u32_e64 v3, null, v29, v19, vcc_lo
	v_add_co_u32 v5, vcc_lo, v42, v18
	s_wait_alu 0xfffd
	v_add_co_ci_u32_e64 v6, null, v43, v19, vcc_lo
	;; [unrolled: 3-line block ×4, first 2 shown]
	global_load_u16 v12, v[2:3], off
	global_load_u16 v89, v[5:6], off
	;; [unrolled: 1-line block ×4, first 2 shown]
	v_add_co_u32 v2, vcc_lo, v32, v18
	s_wait_alu 0xfffd
	v_add_co_ci_u32_e64 v3, null, v33, v19, vcc_lo
	v_add_co_u32 v5, vcc_lo, v46, v18
	s_wait_alu 0xfffd
	v_add_co_ci_u32_e64 v6, null, v47, v19, vcc_lo
	global_load_u16 v2, v[2:3], off
	global_load_u16 v3, v[5:6], off
	s_wait_loadcnt 0x10
	ds_bpermute_b32 v5, v1, v4
	ds_bpermute_b32 v6, v1, v4 offset:4
	ds_bpermute_b32 v9, v1, v4 offset:8
	s_wait_loadcnt 0xf
	v_cvt_f32_f16_e32 v10, v13
	s_wait_loadcnt 0xe
	v_cvt_f32_f16_e32 v13, v14
	ds_bpermute_b32 v14, v1, v4 offset:12
	s_wait_loadcnt 0xd
	v_cvt_f32_f16_e32 v15, v15
	s_wait_loadcnt 0xc
	v_cvt_f32_f16_e32 v16, v16
	;; [unrolled: 2-line block ×3, first 2 shown]
	v_mul_f32_e32 v10, v10, v13
	ds_bpermute_b32 v13, v1, v4 offset:16
	v_mul_f32_e32 v15, v15, v16
	s_wait_loadcnt 0xa
	v_cvt_f32_f16_e32 v48, v48
	s_wait_dscnt 0x4
	v_fmac_f32_e32 v86, v10, v5
	ds_bpermute_b32 v5, v1, v4 offset:20
	s_wait_loadcnt 0x9
	v_cvt_f32_f16_e32 v10, v49
	s_wait_loadcnt 0x8
	v_cvt_f32_f16_e32 v16, v87
	s_wait_dscnt 0x4
	v_dual_mul_f32 v17, v17, v48 :: v_dual_fmac_f32 v86, v15, v6
	ds_bpermute_b32 v6, v1, v4 offset:24
	s_wait_loadcnt 0x7
	v_cvt_f32_f16_e32 v15, v88
	s_wait_loadcnt 0x6
	v_cvt_f32_f16_e32 v11, v11
	v_mul_f32_e32 v10, v10, v16
	ds_bpermute_b32 v4, v1, v4 offset:28
	v_mul_f32_e32 v11, v15, v11
	s_wait_loadcnt 0x3
	v_cvt_f32_f16_e32 v7, v7
	s_wait_loadcnt 0x2
	v_cvt_f32_f16_e32 v8, v8
	s_wait_dscnt 0x5
	v_fmac_f32_e32 v86, v17, v9
	v_cvt_f32_f16_e32 v9, v12
	v_cvt_f32_f16_e32 v12, v89
	s_wait_dscnt 0x4
	s_delay_alu instid0(VALU_DEP_3) | instskip(NEXT) | instid1(VALU_DEP_2)
	v_dual_mul_f32 v7, v7, v8 :: v_dual_fmac_f32 v86, v10, v14
	v_mul_f32_e32 v9, v9, v12
	s_wait_loadcnt 0x1
	v_cvt_f32_f16_e32 v2, v2
	s_wait_dscnt 0x3
	v_fmac_f32_e32 v86, v11, v13
	s_wait_loadcnt 0x0
	v_cvt_f32_f16_e32 v3, v3
	s_wait_dscnt 0x2
	s_delay_alu instid0(VALU_DEP_2) | instskip(NEXT) | instid1(VALU_DEP_2)
	v_fmac_f32_e32 v86, v9, v5
	v_mul_f32_e32 v2, v2, v3
	s_wait_dscnt 0x1
	s_delay_alu instid0(VALU_DEP_2) | instskip(SKIP_1) | instid1(VALU_DEP_1)
	v_fmac_f32_e32 v86, v7, v6
	s_wait_dscnt 0x0
	v_fmac_f32_e32 v86, v2, v4
	s_delay_alu instid0(VALU_DEP_1)
	v_mov_b32_e32 v87, v86
.LBB168_81:                             ;   in Loop: Header=BB168_53 Depth=1
	v_add_co_u32 v54, vcc_lo, v54, s8
	s_wait_alu 0xfffd
	v_add_co_ci_u32_e64 v55, null, s9, v55, vcc_lo
	v_add_co_u32 v56, vcc_lo, v56, s8
	s_wait_alu 0xfffd
	v_add_co_ci_u32_e64 v57, null, s9, v57, vcc_lo
	;; [unrolled: 3-line block ×28, first 2 shown]
	v_add_co_u32 v80, vcc_lo, v80, s8
	s_add_nc_u64 s[22:23], s[22:23], s[20:21]
	s_wait_alu 0xfffd
	v_add_co_ci_u32_e64 v81, null, s9, v81, vcc_lo
	v_add_co_u32 v82, vcc_lo, v82, s8
	s_wait_alu 0xfffe
	v_cmp_ge_i64_e64 s2, s[22:23], s[4:5]
	s_wait_alu 0xfffd
	v_add_co_ci_u32_e64 v83, null, s9, v83, vcc_lo
	v_add_co_u32 v84, vcc_lo, v84, s8
	s_wait_alu 0xfffd
	v_add_co_ci_u32_e64 v85, null, s9, v85, vcc_lo
	s_and_b32 vcc_lo, exec_lo, s2
	s_add_nc_u64 s[10:11], s[10:11], s[20:21]
	s_wait_alu 0xfffe
	s_cbranch_vccnz .LBB168_83
; %bb.82:                               ;   in Loop: Header=BB168_53 Depth=1
	v_mov_b32_e32 v86, v87
	s_branch .LBB168_53
.LBB168_83:
	s_mov_b32 s2, ttmp9
	s_mov_b32 s3, 0
	s_wait_alu 0xfffe
	s_lshl_b64 s[2:3], s[2:3], 6
	s_wait_kmcnt 0x0
	s_cmp_lg_u64 s[16:17], 0
	s_wait_alu 0xfffe
	v_and_or_b32 v1, 0x3ff, v0, s2
	v_mov_b32_e32 v2, s3
	s_cselect_b32 s2, -1, 0
	s_delay_alu instid0(VALU_DEP_1)
	v_cmp_gt_i64_e32 vcc_lo, s[6:7], v[1:2]
	s_wait_alu 0xfffe
	s_and_b32 s2, vcc_lo, s2
	s_wait_alu 0xfffe
	s_and_saveexec_b32 s3, s2
	s_cbranch_execz .LBB168_85
; %bb.84:
	s_load_u16 s0, s[0:1], 0x4e
	v_bfe_u32 v3, v0, 10, 10
	v_mov_b32_e32 v4, 0
	s_wait_kmcnt 0x0
	s_delay_alu instid0(VALU_DEP_1) | instskip(NEXT) | instid1(VALU_DEP_1)
	v_mad_co_u64_u32 v[3:4], null, s0, ttmp7, v[3:4]
	v_mul_lo_u32 v0, v4, s6
	s_delay_alu instid0(VALU_DEP_2) | instskip(SKIP_1) | instid1(VALU_DEP_1)
	v_mul_lo_u32 v5, v3, s7
	v_mad_co_u64_u32 v[3:4], null, v3, s6, 0
	v_add3_u32 v4, v4, v5, v0
	v_lshlrev_b64_e32 v[0:1], 1, v[1:2]
	s_delay_alu instid0(VALU_DEP_2) | instskip(NEXT) | instid1(VALU_DEP_1)
	v_lshlrev_b64_e32 v[3:4], 1, v[3:4]
	v_add_co_u32 v2, vcc_lo, s16, v3
	s_wait_alu 0xfffd
	s_delay_alu instid0(VALU_DEP_2) | instskip(SKIP_1) | instid1(VALU_DEP_3)
	v_add_co_ci_u32_e64 v3, null, s17, v4, vcc_lo
	v_cvt_f16_f32_e32 v4, v87
	v_add_co_u32 v0, vcc_lo, v2, v0
	s_wait_alu 0xfffd
	s_delay_alu instid0(VALU_DEP_3)
	v_add_co_ci_u32_e64 v1, null, v3, v1, vcc_lo
	global_store_b16 v[0:1], v4, off
.LBB168_85:
	s_endpgm
	.section	.rodata,"a",@progbits
	.p2align	6, 0x0
	.amdhsa_kernel _ZN2at6native12_GLOBAL__N_135GammaBetaBackwardCUDAKernelTemplateIN3c104HalfEfLj64ELj1ELj8ELb1ELb0ELb1EEEvllPKT_S7_PKT0_SA_PS5_SB_
		.amdhsa_group_segment_fixed_size 0
		.amdhsa_private_segment_fixed_size 0
		.amdhsa_kernarg_size 320
		.amdhsa_user_sgpr_count 2
		.amdhsa_user_sgpr_dispatch_ptr 0
		.amdhsa_user_sgpr_queue_ptr 0
		.amdhsa_user_sgpr_kernarg_segment_ptr 1
		.amdhsa_user_sgpr_dispatch_id 0
		.amdhsa_user_sgpr_private_segment_size 0
		.amdhsa_wavefront_size32 1
		.amdhsa_uses_dynamic_stack 0
		.amdhsa_enable_private_segment 0
		.amdhsa_system_sgpr_workgroup_id_x 1
		.amdhsa_system_sgpr_workgroup_id_y 1
		.amdhsa_system_sgpr_workgroup_id_z 0
		.amdhsa_system_sgpr_workgroup_info 0
		.amdhsa_system_vgpr_workitem_id 1
		.amdhsa_next_free_vgpr 93
		.amdhsa_next_free_sgpr 32
		.amdhsa_reserve_vcc 1
		.amdhsa_float_round_mode_32 0
		.amdhsa_float_round_mode_16_64 0
		.amdhsa_float_denorm_mode_32 3
		.amdhsa_float_denorm_mode_16_64 3
		.amdhsa_fp16_overflow 0
		.amdhsa_workgroup_processor_mode 1
		.amdhsa_memory_ordered 1
		.amdhsa_forward_progress 1
		.amdhsa_inst_pref_size 71
		.amdhsa_round_robin_scheduling 0
		.amdhsa_exception_fp_ieee_invalid_op 0
		.amdhsa_exception_fp_denorm_src 0
		.amdhsa_exception_fp_ieee_div_zero 0
		.amdhsa_exception_fp_ieee_overflow 0
		.amdhsa_exception_fp_ieee_underflow 0
		.amdhsa_exception_fp_ieee_inexact 0
		.amdhsa_exception_int_div_zero 0
	.end_amdhsa_kernel
	.section	.text._ZN2at6native12_GLOBAL__N_135GammaBetaBackwardCUDAKernelTemplateIN3c104HalfEfLj64ELj1ELj8ELb1ELb0ELb1EEEvllPKT_S7_PKT0_SA_PS5_SB_,"axG",@progbits,_ZN2at6native12_GLOBAL__N_135GammaBetaBackwardCUDAKernelTemplateIN3c104HalfEfLj64ELj1ELj8ELb1ELb0ELb1EEEvllPKT_S7_PKT0_SA_PS5_SB_,comdat
.Lfunc_end168:
	.size	_ZN2at6native12_GLOBAL__N_135GammaBetaBackwardCUDAKernelTemplateIN3c104HalfEfLj64ELj1ELj8ELb1ELb0ELb1EEEvllPKT_S7_PKT0_SA_PS5_SB_, .Lfunc_end168-_ZN2at6native12_GLOBAL__N_135GammaBetaBackwardCUDAKernelTemplateIN3c104HalfEfLj64ELj1ELj8ELb1ELb0ELb1EEEvllPKT_S7_PKT0_SA_PS5_SB_
                                        ; -- End function
	.set _ZN2at6native12_GLOBAL__N_135GammaBetaBackwardCUDAKernelTemplateIN3c104HalfEfLj64ELj1ELj8ELb1ELb0ELb1EEEvllPKT_S7_PKT0_SA_PS5_SB_.num_vgpr, 93
	.set _ZN2at6native12_GLOBAL__N_135GammaBetaBackwardCUDAKernelTemplateIN3c104HalfEfLj64ELj1ELj8ELb1ELb0ELb1EEEvllPKT_S7_PKT0_SA_PS5_SB_.num_agpr, 0
	.set _ZN2at6native12_GLOBAL__N_135GammaBetaBackwardCUDAKernelTemplateIN3c104HalfEfLj64ELj1ELj8ELb1ELb0ELb1EEEvllPKT_S7_PKT0_SA_PS5_SB_.numbered_sgpr, 32
	.set _ZN2at6native12_GLOBAL__N_135GammaBetaBackwardCUDAKernelTemplateIN3c104HalfEfLj64ELj1ELj8ELb1ELb0ELb1EEEvllPKT_S7_PKT0_SA_PS5_SB_.num_named_barrier, 0
	.set _ZN2at6native12_GLOBAL__N_135GammaBetaBackwardCUDAKernelTemplateIN3c104HalfEfLj64ELj1ELj8ELb1ELb0ELb1EEEvllPKT_S7_PKT0_SA_PS5_SB_.private_seg_size, 0
	.set _ZN2at6native12_GLOBAL__N_135GammaBetaBackwardCUDAKernelTemplateIN3c104HalfEfLj64ELj1ELj8ELb1ELb0ELb1EEEvllPKT_S7_PKT0_SA_PS5_SB_.uses_vcc, 1
	.set _ZN2at6native12_GLOBAL__N_135GammaBetaBackwardCUDAKernelTemplateIN3c104HalfEfLj64ELj1ELj8ELb1ELb0ELb1EEEvllPKT_S7_PKT0_SA_PS5_SB_.uses_flat_scratch, 0
	.set _ZN2at6native12_GLOBAL__N_135GammaBetaBackwardCUDAKernelTemplateIN3c104HalfEfLj64ELj1ELj8ELb1ELb0ELb1EEEvllPKT_S7_PKT0_SA_PS5_SB_.has_dyn_sized_stack, 0
	.set _ZN2at6native12_GLOBAL__N_135GammaBetaBackwardCUDAKernelTemplateIN3c104HalfEfLj64ELj1ELj8ELb1ELb0ELb1EEEvllPKT_S7_PKT0_SA_PS5_SB_.has_recursion, 0
	.set _ZN2at6native12_GLOBAL__N_135GammaBetaBackwardCUDAKernelTemplateIN3c104HalfEfLj64ELj1ELj8ELb1ELb0ELb1EEEvllPKT_S7_PKT0_SA_PS5_SB_.has_indirect_call, 0
	.section	.AMDGPU.csdata,"",@progbits
; Kernel info:
; codeLenInByte = 9088
; TotalNumSgprs: 34
; NumVgprs: 93
; ScratchSize: 0
; MemoryBound: 0
; FloatMode: 240
; IeeeMode: 1
; LDSByteSize: 0 bytes/workgroup (compile time only)
; SGPRBlocks: 0
; VGPRBlocks: 11
; NumSGPRsForWavesPerEU: 34
; NumVGPRsForWavesPerEU: 93
; Occupancy: 16
; WaveLimiterHint : 0
; COMPUTE_PGM_RSRC2:SCRATCH_EN: 0
; COMPUTE_PGM_RSRC2:USER_SGPR: 2
; COMPUTE_PGM_RSRC2:TRAP_HANDLER: 0
; COMPUTE_PGM_RSRC2:TGID_X_EN: 1
; COMPUTE_PGM_RSRC2:TGID_Y_EN: 1
; COMPUTE_PGM_RSRC2:TGID_Z_EN: 0
; COMPUTE_PGM_RSRC2:TIDIG_COMP_CNT: 1
	.section	.text._ZN2at6native12_GLOBAL__N_135GammaBetaBackwardCUDAKernelTemplateIN3c104HalfEfLj64ELj8ELj64ELb0ELb1ELb1EEEvllPKT_S7_PKT0_SA_PS5_SB_,"axG",@progbits,_ZN2at6native12_GLOBAL__N_135GammaBetaBackwardCUDAKernelTemplateIN3c104HalfEfLj64ELj8ELj64ELb0ELb1ELb1EEEvllPKT_S7_PKT0_SA_PS5_SB_,comdat
	.globl	_ZN2at6native12_GLOBAL__N_135GammaBetaBackwardCUDAKernelTemplateIN3c104HalfEfLj64ELj8ELj64ELb0ELb1ELb1EEEvllPKT_S7_PKT0_SA_PS5_SB_ ; -- Begin function _ZN2at6native12_GLOBAL__N_135GammaBetaBackwardCUDAKernelTemplateIN3c104HalfEfLj64ELj8ELj64ELb0ELb1ELb1EEEvllPKT_S7_PKT0_SA_PS5_SB_
	.p2align	8
	.type	_ZN2at6native12_GLOBAL__N_135GammaBetaBackwardCUDAKernelTemplateIN3c104HalfEfLj64ELj8ELj64ELb0ELb1ELb1EEEvllPKT_S7_PKT0_SA_PS5_SB_,@function
_ZN2at6native12_GLOBAL__N_135GammaBetaBackwardCUDAKernelTemplateIN3c104HalfEfLj64ELj8ELj64ELb0ELb1ELb1EEEvllPKT_S7_PKT0_SA_PS5_SB_: ; @_ZN2at6native12_GLOBAL__N_135GammaBetaBackwardCUDAKernelTemplateIN3c104HalfEfLj64ELj8ELj64ELb0ELb1ELb1EEEvllPKT_S7_PKT0_SA_PS5_SB_
; %bb.0:
	s_load_b128 s[4:7], s[0:1], 0x0
	s_lshl_b32 s12, ttmp7, 6
	s_mov_b32 s13, 0
	v_bfe_u32 v7, v0, 10, 10
	s_wait_kmcnt 0x0
	v_cmp_gt_i64_e64 s2, s[4:5], s[12:13]
	s_and_b32 vcc_lo, exec_lo, s2
	s_cbranch_vccnz .LBB169_2
; %bb.1:
	v_bfe_u32 v1, v0, 10, 10
	s_mov_b32 s2, s13
	v_and_b32_e32 v6, 0x3ff, v0
	v_mov_b32_e32 v0, 0
	s_and_not1_b32 vcc_lo, exec_lo, s2
	s_cbranch_vccz .LBB169_3
	s_branch .LBB169_10
.LBB169_2:
                                        ; implicit-def: $vgpr1
	v_and_b32_e32 v6, 0x3ff, v0
	v_mov_b32_e32 v0, 0
.LBB169_3:
	s_load_b32 s2, s[0:1], 0x4c
	v_dual_mov_b32 v1, 0 :: v_dual_lshlrev_b32 v0, 3, v7
	s_clause 0x2
	s_load_b32 s3, s[0:1], 0x44
	s_load_b128 s[8:11], s[0:1], 0x10
	s_load_b64 s[16:17], s[0:1], 0x28
	s_mov_b32 s15, 0
	v_dual_mov_b32 v8, 8 :: v_dual_mov_b32 v9, 4
	v_add_co_u32 v2, s14, v0, s12
	s_delay_alu instid0(VALU_DEP_1) | instskip(SKIP_1) | instid1(VALU_DEP_3)
	v_add_co_ci_u32_e64 v3, null, 0, 0, s14
	v_lshl_add_u32 v0, ttmp9, 6, v6
	v_mul_lo_u32 v13, s7, v2
	v_mad_co_u64_u32 v[4:5], null, s6, v2, 0
	s_delay_alu instid0(VALU_DEP_4) | instskip(NEXT) | instid1(VALU_DEP_4)
	v_mul_lo_u32 v14, s6, v3
	v_lshlrev_b64_e32 v[15:16], 1, v[0:1]
	v_dual_mov_b32 v10, 12 :: v_dual_mov_b32 v11, 16
	v_mov_b32_e32 v0, 0
	s_wait_kmcnt 0x0
	s_and_b32 s2, s2, 0xffff
	s_lshl_b32 s14, s3, 6
	v_mad_u32_u24 v12, v7, s2, v6
	v_add3_u32 v5, v5, v14, v13
	v_dual_mov_b32 v13, 24 :: v_dual_mov_b32 v14, 28
	s_wait_alu 0xfffe
	s_mul_u64 s[18:19], s[6:7], s[14:15]
	v_dual_mov_b32 v12, 20 :: v_dual_and_b32 v19, 31, v12
	v_lshlrev_b64_e32 v[4:5], 1, v[4:5]
	s_lshl_b64 s[18:19], s[18:19], 1
	s_lshl_b64 s[6:7], s[6:7], 1
	s_delay_alu instid0(VALU_DEP_2) | instskip(NEXT) | instid1(VALU_DEP_1)
	v_add_co_u32 v2, vcc_lo, v2, v19
	v_add_co_ci_u32_e64 v3, null, 0, v3, vcc_lo
	s_delay_alu instid0(VALU_DEP_3) | instskip(SKIP_2) | instid1(VALU_DEP_3)
	v_add_co_u32 v15, vcc_lo, v4, v15
	s_wait_alu 0xfffd
	v_add_co_ci_u32_e64 v16, null, v5, v16, vcc_lo
	v_lshlrev_b64_e32 v[17:18], 2, v[2:3]
	v_cmp_gt_u32_e64 s2, 8, v19
	s_delay_alu instid0(VALU_DEP_2) | instskip(SKIP_1) | instid1(VALU_DEP_3)
	v_add_co_u32 v4, vcc_lo, s16, v17
	s_wait_alu 0xfffd
	v_add_co_ci_u32_e64 v5, null, s17, v18, vcc_lo
	s_lshl_b64 s[16:17], s[14:15], 2
	s_branch .LBB169_6
.LBB169_4:                              ;   in Loop: Header=BB169_6 Depth=1
	s_or_b32 exec_lo, exec_lo, s20
.LBB169_5:                              ;   in Loop: Header=BB169_6 Depth=1
	s_wait_alu 0xfffe
	s_or_b32 exec_lo, exec_lo, s3
	v_add_co_u32 v18, vcc_lo, s8, v15
	s_wait_alu 0xfffd
	v_add_co_ci_u32_e64 v19, null, s9, v16, vcc_lo
	v_add_co_u32 v20, vcc_lo, s10, v15
	s_wait_alu 0xfffd
	v_add_co_ci_u32_e64 v21, null, s11, v16, vcc_lo
	;; [unrolled: 3-line block ×4, first 2 shown]
	global_load_u16 v28, v[18:19], off
	global_load_u16 v29, v[20:21], off
	;; [unrolled: 1-line block ×4, first 2 shown]
	v_add_co_u32 v18, vcc_lo, v22, s6
	s_wait_alu 0xfffd
	v_add_co_ci_u32_e64 v19, null, s7, v23, vcc_lo
	v_add_co_u32 v20, vcc_lo, v24, s6
	s_wait_alu 0xfffd
	v_add_co_ci_u32_e64 v21, null, s7, v25, vcc_lo
	;; [unrolled: 3-line block ×5, first 2 shown]
	global_load_u16 v32, v[18:19], off
	global_load_u16 v33, v[20:21], off
	;; [unrolled: 1-line block ×5, first 2 shown]
	v_add_co_u32 v18, vcc_lo, v24, s6
	s_wait_alu 0xfffd
	v_add_co_ci_u32_e64 v19, null, s7, v25, vcc_lo
	v_add_co_u32 v20, vcc_lo, v26, s6
	s_wait_alu 0xfffd
	v_add_co_ci_u32_e64 v21, null, s7, v27, vcc_lo
	;; [unrolled: 3-line block ×5, first 2 shown]
	global_load_u16 v37, v[18:19], off
	global_load_u16 v38, v[20:21], off
	;; [unrolled: 1-line block ×5, first 2 shown]
	v_add_co_u32 v18, vcc_lo, v24, s6
	s_wait_alu 0xfffd
	v_add_co_ci_u32_e64 v19, null, s7, v25, vcc_lo
	v_add_co_u32 v20, vcc_lo, v26, s6
	s_wait_alu 0xfffd
	v_add_co_ci_u32_e64 v21, null, s7, v27, vcc_lo
	global_load_u16 v18, v[18:19], off
	global_load_u16 v19, v[20:21], off
	s_wait_loadcnt 0x10
	ds_bpermute_b32 v20, v1, v17
	ds_bpermute_b32 v21, v9, v17
	;; [unrolled: 1-line block ×3, first 2 shown]
	v_add_co_u32 v4, vcc_lo, v4, s16
	s_add_nc_u64 s[12:13], s[12:13], s[14:15]
	s_wait_alu 0xfffd
	v_add_co_ci_u32_e64 v5, null, s17, v5, vcc_lo
	v_add_co_u32 v2, vcc_lo, v2, s14
	s_wait_alu 0xfffe
	v_cmp_lt_i64_e64 s3, s[12:13], s[4:5]
	s_wait_alu 0xfffd
	v_add_co_ci_u32_e64 v3, null, 0, v3, vcc_lo
	v_add_co_u32 v15, vcc_lo, v15, s18
	s_wait_alu 0xfffd
	v_add_co_ci_u32_e64 v16, null, s19, v16, vcc_lo
	s_and_b32 vcc_lo, exec_lo, s3
	s_wait_loadcnt 0xf
	v_cvt_f32_f16_e32 v24, v28
	s_wait_loadcnt 0xe
	v_cvt_f32_f16_e32 v25, v29
	;; [unrolled: 2-line block ×3, first 2 shown]
	ds_bpermute_b32 v28, v10, v17
	v_mul_f32_e32 v24, v24, v25
	s_wait_loadcnt 0xc
	v_cvt_f32_f16_e32 v25, v31
	s_wait_dscnt 0x3
	s_delay_alu instid0(VALU_DEP_2) | instskip(NEXT) | instid1(VALU_DEP_2)
	v_fmac_f32_e32 v0, v24, v20
	v_mul_f32_e32 v20, v27, v25
	ds_bpermute_b32 v25, v11, v17
	s_wait_dscnt 0x3
	v_fmac_f32_e32 v0, v20, v21
	s_wait_loadcnt 0xb
	v_cvt_f32_f16_e32 v29, v32
	s_wait_loadcnt 0xa
	v_cvt_f32_f16_e32 v24, v33
	;; [unrolled: 2-line block ×4, first 2 shown]
	v_mul_f32_e32 v20, v29, v24
	ds_bpermute_b32 v24, v12, v17
	s_wait_loadcnt 0x7
	v_cvt_f32_f16_e32 v29, v36
	s_wait_dscnt 0x3
	v_fmac_f32_e32 v0, v20, v26
	v_mul_f32_e32 v20, v27, v21
	ds_bpermute_b32 v26, v13, v17
	ds_bpermute_b32 v17, v14, v17
	s_wait_dscnt 0x4
	v_fmac_f32_e32 v0, v20, v28
	s_wait_loadcnt 0x6
	v_cvt_f32_f16_e32 v21, v37
	s_wait_loadcnt 0x5
	v_cvt_f32_f16_e32 v27, v38
	s_delay_alu instid0(VALU_DEP_2)
	v_mul_f32_e32 v20, v29, v21
	s_wait_loadcnt 0x4
	v_cvt_f32_f16_e32 v21, v22
	s_wait_loadcnt 0x3
	v_cvt_f32_f16_e32 v22, v23
	;; [unrolled: 2-line block ×3, first 2 shown]
	s_wait_dscnt 0x3
	v_fmac_f32_e32 v0, v20, v25
	v_mul_f32_e32 v20, v27, v21
	s_wait_loadcnt 0x1
	v_cvt_f32_f16_e32 v18, v18
	s_wait_loadcnt 0x0
	v_cvt_f32_f16_e32 v19, v19
	s_wait_dscnt 0x2
	v_fmac_f32_e32 v0, v20, v24
	v_mul_f32_e32 v20, v22, v23
	s_delay_alu instid0(VALU_DEP_3) | instskip(SKIP_1) | instid1(VALU_DEP_2)
	v_mul_f32_e32 v18, v18, v19
	s_wait_dscnt 0x1
	v_fmac_f32_e32 v0, v20, v26
	s_wait_dscnt 0x0
	s_delay_alu instid0(VALU_DEP_1)
	v_fmac_f32_e32 v0, v18, v17
	s_wait_alu 0xfffe
	s_cbranch_vccz .LBB169_9
.LBB169_6:                              ; =>This Inner Loop Header: Depth=1
	v_mov_b32_e32 v17, 0
	s_and_saveexec_b32 s3, s2
	s_cbranch_execz .LBB169_5
; %bb.7:                                ;   in Loop: Header=BB169_6 Depth=1
	v_mov_b32_e32 v17, 0
	s_mov_b32 s20, exec_lo
	v_cmpx_gt_i64_e64 s[4:5], v[2:3]
	s_cbranch_execz .LBB169_4
; %bb.8:                                ;   in Loop: Header=BB169_6 Depth=1
	global_load_b32 v17, v[4:5], off
	s_branch .LBB169_4
.LBB169_9:
	v_mov_b32_e32 v1, v7
.LBB169_10:
	s_load_b64 s[2:3], s[0:1], 0x30
	s_delay_alu instid0(VALU_DEP_1) | instskip(SKIP_2) | instid1(VALU_DEP_2)
	v_mad_u32_u24 v2, 0x41, v1, v6
	v_mov_b32_e32 v4, 0
	s_mov_b32 s0, exec_lo
	v_lshl_add_u32 v3, v2, 2, 0
	v_sub_nc_u32_e32 v1, v2, v1
	ds_store_b32 v3, v0
	ds_store_b32 v3, v4 offset:2080
	s_wait_dscnt 0x0
	s_barrier_signal -1
	s_barrier_wait -1
	global_inv scope:SCOPE_SE
	v_cmpx_gt_u32_e32 0x800, v1
	s_cbranch_execz .LBB169_30
; %bb.11:
	v_and_b32_e32 v2, 31, v6
	v_lshrrev_b32_e32 v0, 5, v1
                                        ; implicit-def: $vgpr5
	s_delay_alu instid0(VALU_DEP_2)
	v_cmp_gt_u32_e32 vcc_lo, 8, v2
	v_mul_u32_u24_e32 v2, 0x41, v2
	s_and_saveexec_b32 s0, vcc_lo
	s_cbranch_execz .LBB169_13
; %bb.12:
	v_lshlrev_b32_e32 v3, 2, v0
	s_delay_alu instid0(VALU_DEP_2) | instskip(NEXT) | instid1(VALU_DEP_1)
	v_lshlrev_b32_e32 v4, 2, v2
	v_add3_u32 v3, 0, v3, v4
	ds_load_b32 v5, v3
.LBB169_13:
	s_wait_alu 0xfffe
	s_or_b32 exec_lo, exec_lo, s0
	v_mbcnt_lo_u32_b32 v7, -1, 0
	s_mov_b32 s4, ttmp9
	s_wait_kmcnt 0x0
	s_cmp_lg_u64 s[2:3], 0
	s_mov_b32 s5, 0
	s_cselect_b32 s1, -1, 0
	v_xor_b32_e32 v3, 4, v7
	v_xor_b32_e32 v4, 2, v7
	;; [unrolled: 1-line block ×3, first 2 shown]
	s_wait_alu 0xfffe
	s_lshl_b64 s[4:5], s[4:5], 7
	s_wait_alu 0xfffe
	s_add_nc_u64 s[2:3], s[2:3], s[4:5]
	v_cmp_gt_i32_e64 s0, 32, v3
	s_wait_alu 0xf1ff
	s_delay_alu instid0(VALU_DEP_1) | instskip(SKIP_1) | instid1(VALU_DEP_2)
	v_cndmask_b32_e64 v3, v7, v3, s0
	v_cmp_gt_i32_e64 s0, 32, v4
	v_lshlrev_b32_e32 v3, 2, v3
	s_wait_alu 0xf1ff
	s_delay_alu instid0(VALU_DEP_2)
	v_cndmask_b32_e64 v4, v7, v4, s0
	v_cmp_gt_i32_e64 s0, 32, v9
	s_wait_dscnt 0x0
	ds_bpermute_b32 v8, v3, v5
	v_lshlrev_b32_e32 v4, 2, v4
	s_wait_alu 0xf1ff
	v_cndmask_b32_e64 v7, v7, v9, s0
	v_cmp_eq_u32_e64 s0, 0, v6
	s_and_b32 s1, s0, s1
	s_wait_dscnt 0x0
	v_add_f32_e32 v5, v5, v8
	ds_bpermute_b32 v8, v4, v5
	s_wait_dscnt 0x0
	v_dual_add_f32 v8, v5, v8 :: v_dual_lshlrev_b32 v5, 2, v7
	ds_bpermute_b32 v7, v5, v8
	s_wait_dscnt 0x0
	v_add_f32_e32 v6, v8, v7
	s_wait_alu 0xfffe
	s_and_saveexec_b32 s0, s1
	s_cbranch_execz .LBB169_15
; %bb.14:
	s_delay_alu instid0(VALU_DEP_1)
	v_cvt_f16_f32_e32 v7, v6
	v_lshlrev_b32_e32 v8, 1, v0
	global_store_b16 v8, v7, s[2:3]
.LBB169_15:
	s_wait_alu 0xfffe
	s_or_b32 exec_lo, exec_lo, s0
	v_cmp_gt_u32_e64 s0, 0x600, v1
	s_and_b32 exec_lo, exec_lo, s0
	s_cbranch_execz .LBB169_30
; %bb.16:
	s_and_saveexec_b32 s0, vcc_lo
	s_cbranch_execz .LBB169_18
; %bb.17:
	v_lshlrev_b32_e32 v6, 2, v0
	v_lshlrev_b32_e32 v7, 2, v2
	s_delay_alu instid0(VALU_DEP_1)
	v_add3_u32 v6, 0, v6, v7
	ds_load_b32 v6, v6 offset:64
.LBB169_18:
	s_wait_alu 0xfffe
	s_or_b32 exec_lo, exec_lo, s0
	s_wait_dscnt 0x0
	ds_bpermute_b32 v7, v3, v6
	s_wait_dscnt 0x0
	v_add_f32_e32 v6, v6, v7
	ds_bpermute_b32 v7, v4, v6
	s_wait_dscnt 0x0
	v_add_f32_e32 v6, v6, v7
	;; [unrolled: 3-line block ×3, first 2 shown]
	s_and_saveexec_b32 s0, s1
	s_cbranch_execz .LBB169_20
; %bb.19:
	s_delay_alu instid0(VALU_DEP_1)
	v_cvt_f16_f32_e32 v7, v6
	v_lshlrev_b32_e32 v8, 1, v0
	global_store_b16 v8, v7, s[2:3] offset:32
.LBB169_20:
	s_wait_alu 0xfffe
	s_or_b32 exec_lo, exec_lo, s0
	v_cmp_gt_u32_e64 s0, 0x400, v1
	s_and_b32 exec_lo, exec_lo, s0
	s_cbranch_execz .LBB169_30
; %bb.21:
	s_and_saveexec_b32 s0, vcc_lo
	s_cbranch_execz .LBB169_23
; %bb.22:
	v_lshlrev_b32_e32 v6, 2, v0
	v_lshlrev_b32_e32 v7, 2, v2
	s_delay_alu instid0(VALU_DEP_1)
	v_add3_u32 v6, 0, v6, v7
	ds_load_b32 v6, v6 offset:128
.LBB169_23:
	s_wait_alu 0xfffe
	s_or_b32 exec_lo, exec_lo, s0
	s_wait_dscnt 0x0
	ds_bpermute_b32 v7, v3, v6
	s_wait_dscnt 0x0
	v_add_f32_e32 v6, v6, v7
	ds_bpermute_b32 v7, v4, v6
	s_wait_dscnt 0x0
	v_add_f32_e32 v6, v6, v7
	;; [unrolled: 3-line block ×3, first 2 shown]
	s_and_saveexec_b32 s0, s1
	s_cbranch_execz .LBB169_25
; %bb.24:
	s_delay_alu instid0(VALU_DEP_1)
	v_cvt_f16_f32_e32 v7, v6
	v_lshlrev_b32_e32 v8, 1, v0
	global_store_b16 v8, v7, s[2:3] offset:64
.LBB169_25:
	s_wait_alu 0xfffe
	s_or_b32 exec_lo, exec_lo, s0
	v_cmp_gt_u32_e64 s0, 0x200, v1
	s_and_b32 exec_lo, exec_lo, s0
	s_cbranch_execz .LBB169_30
; %bb.26:
	s_and_saveexec_b32 s0, vcc_lo
	s_cbranch_execz .LBB169_28
; %bb.27:
	v_lshlrev_b32_e32 v1, 2, v0
	v_lshlrev_b32_e32 v2, 2, v2
	s_delay_alu instid0(VALU_DEP_1)
	v_add3_u32 v1, 0, v1, v2
	ds_load_b32 v6, v1 offset:192
.LBB169_28:
	s_wait_alu 0xfffe
	s_or_b32 exec_lo, exec_lo, s0
	s_wait_dscnt 0x0
	ds_bpermute_b32 v1, v3, v6
	s_wait_dscnt 0x0
	v_add_f32_e32 v1, v6, v1
	ds_bpermute_b32 v2, v4, v1
	s_wait_dscnt 0x0
	v_add_f32_e32 v1, v1, v2
	ds_bpermute_b32 v2, v5, v1
	s_and_saveexec_b32 s0, s1
	s_wait_alu 0xfffe
	s_xor_b32 s0, exec_lo, s0
	s_cbranch_execz .LBB169_30
; %bb.29:
	s_wait_dscnt 0x0
	v_dual_add_f32 v1, v1, v2 :: v_dual_lshlrev_b32 v0, 1, v0
	s_delay_alu instid0(VALU_DEP_1)
	v_cvt_f16_f32_e32 v1, v1
	global_store_b16 v0, v1, s[2:3] offset:96
.LBB169_30:
	s_endpgm
	.section	.rodata,"a",@progbits
	.p2align	6, 0x0
	.amdhsa_kernel _ZN2at6native12_GLOBAL__N_135GammaBetaBackwardCUDAKernelTemplateIN3c104HalfEfLj64ELj8ELj64ELb0ELb1ELb1EEEvllPKT_S7_PKT0_SA_PS5_SB_
		.amdhsa_group_segment_fixed_size 0
		.amdhsa_private_segment_fixed_size 0
		.amdhsa_kernarg_size 320
		.amdhsa_user_sgpr_count 2
		.amdhsa_user_sgpr_dispatch_ptr 0
		.amdhsa_user_sgpr_queue_ptr 0
		.amdhsa_user_sgpr_kernarg_segment_ptr 1
		.amdhsa_user_sgpr_dispatch_id 0
		.amdhsa_user_sgpr_private_segment_size 0
		.amdhsa_wavefront_size32 1
		.amdhsa_uses_dynamic_stack 0
		.amdhsa_enable_private_segment 0
		.amdhsa_system_sgpr_workgroup_id_x 1
		.amdhsa_system_sgpr_workgroup_id_y 1
		.amdhsa_system_sgpr_workgroup_id_z 0
		.amdhsa_system_sgpr_workgroup_info 0
		.amdhsa_system_vgpr_workitem_id 1
		.amdhsa_next_free_vgpr 40
		.amdhsa_next_free_sgpr 21
		.amdhsa_reserve_vcc 1
		.amdhsa_float_round_mode_32 0
		.amdhsa_float_round_mode_16_64 0
		.amdhsa_float_denorm_mode_32 3
		.amdhsa_float_denorm_mode_16_64 3
		.amdhsa_fp16_overflow 0
		.amdhsa_workgroup_processor_mode 1
		.amdhsa_memory_ordered 1
		.amdhsa_forward_progress 1
		.amdhsa_inst_pref_size 18
		.amdhsa_round_robin_scheduling 0
		.amdhsa_exception_fp_ieee_invalid_op 0
		.amdhsa_exception_fp_denorm_src 0
		.amdhsa_exception_fp_ieee_div_zero 0
		.amdhsa_exception_fp_ieee_overflow 0
		.amdhsa_exception_fp_ieee_underflow 0
		.amdhsa_exception_fp_ieee_inexact 0
		.amdhsa_exception_int_div_zero 0
	.end_amdhsa_kernel
	.section	.text._ZN2at6native12_GLOBAL__N_135GammaBetaBackwardCUDAKernelTemplateIN3c104HalfEfLj64ELj8ELj64ELb0ELb1ELb1EEEvllPKT_S7_PKT0_SA_PS5_SB_,"axG",@progbits,_ZN2at6native12_GLOBAL__N_135GammaBetaBackwardCUDAKernelTemplateIN3c104HalfEfLj64ELj8ELj64ELb0ELb1ELb1EEEvllPKT_S7_PKT0_SA_PS5_SB_,comdat
.Lfunc_end169:
	.size	_ZN2at6native12_GLOBAL__N_135GammaBetaBackwardCUDAKernelTemplateIN3c104HalfEfLj64ELj8ELj64ELb0ELb1ELb1EEEvllPKT_S7_PKT0_SA_PS5_SB_, .Lfunc_end169-_ZN2at6native12_GLOBAL__N_135GammaBetaBackwardCUDAKernelTemplateIN3c104HalfEfLj64ELj8ELj64ELb0ELb1ELb1EEEvllPKT_S7_PKT0_SA_PS5_SB_
                                        ; -- End function
	.set _ZN2at6native12_GLOBAL__N_135GammaBetaBackwardCUDAKernelTemplateIN3c104HalfEfLj64ELj8ELj64ELb0ELb1ELb1EEEvllPKT_S7_PKT0_SA_PS5_SB_.num_vgpr, 40
	.set _ZN2at6native12_GLOBAL__N_135GammaBetaBackwardCUDAKernelTemplateIN3c104HalfEfLj64ELj8ELj64ELb0ELb1ELb1EEEvllPKT_S7_PKT0_SA_PS5_SB_.num_agpr, 0
	.set _ZN2at6native12_GLOBAL__N_135GammaBetaBackwardCUDAKernelTemplateIN3c104HalfEfLj64ELj8ELj64ELb0ELb1ELb1EEEvllPKT_S7_PKT0_SA_PS5_SB_.numbered_sgpr, 21
	.set _ZN2at6native12_GLOBAL__N_135GammaBetaBackwardCUDAKernelTemplateIN3c104HalfEfLj64ELj8ELj64ELb0ELb1ELb1EEEvllPKT_S7_PKT0_SA_PS5_SB_.num_named_barrier, 0
	.set _ZN2at6native12_GLOBAL__N_135GammaBetaBackwardCUDAKernelTemplateIN3c104HalfEfLj64ELj8ELj64ELb0ELb1ELb1EEEvllPKT_S7_PKT0_SA_PS5_SB_.private_seg_size, 0
	.set _ZN2at6native12_GLOBAL__N_135GammaBetaBackwardCUDAKernelTemplateIN3c104HalfEfLj64ELj8ELj64ELb0ELb1ELb1EEEvllPKT_S7_PKT0_SA_PS5_SB_.uses_vcc, 1
	.set _ZN2at6native12_GLOBAL__N_135GammaBetaBackwardCUDAKernelTemplateIN3c104HalfEfLj64ELj8ELj64ELb0ELb1ELb1EEEvllPKT_S7_PKT0_SA_PS5_SB_.uses_flat_scratch, 0
	.set _ZN2at6native12_GLOBAL__N_135GammaBetaBackwardCUDAKernelTemplateIN3c104HalfEfLj64ELj8ELj64ELb0ELb1ELb1EEEvllPKT_S7_PKT0_SA_PS5_SB_.has_dyn_sized_stack, 0
	.set _ZN2at6native12_GLOBAL__N_135GammaBetaBackwardCUDAKernelTemplateIN3c104HalfEfLj64ELj8ELj64ELb0ELb1ELb1EEEvllPKT_S7_PKT0_SA_PS5_SB_.has_recursion, 0
	.set _ZN2at6native12_GLOBAL__N_135GammaBetaBackwardCUDAKernelTemplateIN3c104HalfEfLj64ELj8ELj64ELb0ELb1ELb1EEEvllPKT_S7_PKT0_SA_PS5_SB_.has_indirect_call, 0
	.section	.AMDGPU.csdata,"",@progbits
; Kernel info:
; codeLenInByte = 2228
; TotalNumSgprs: 23
; NumVgprs: 40
; ScratchSize: 0
; MemoryBound: 0
; FloatMode: 240
; IeeeMode: 1
; LDSByteSize: 0 bytes/workgroup (compile time only)
; SGPRBlocks: 0
; VGPRBlocks: 4
; NumSGPRsForWavesPerEU: 23
; NumVGPRsForWavesPerEU: 40
; Occupancy: 16
; WaveLimiterHint : 0
; COMPUTE_PGM_RSRC2:SCRATCH_EN: 0
; COMPUTE_PGM_RSRC2:USER_SGPR: 2
; COMPUTE_PGM_RSRC2:TRAP_HANDLER: 0
; COMPUTE_PGM_RSRC2:TGID_X_EN: 1
; COMPUTE_PGM_RSRC2:TGID_Y_EN: 1
; COMPUTE_PGM_RSRC2:TGID_Z_EN: 0
; COMPUTE_PGM_RSRC2:TIDIG_COMP_CNT: 1
	.section	.text._ZN2at6native12_GLOBAL__N_135GammaBetaBackwardCUDAKernelTemplateIN3c104HalfEfLj64ELj8ELj64ELb0ELb0ELb1EEEvllPKT_S7_PKT0_SA_PS5_SB_,"axG",@progbits,_ZN2at6native12_GLOBAL__N_135GammaBetaBackwardCUDAKernelTemplateIN3c104HalfEfLj64ELj8ELj64ELb0ELb0ELb1EEEvllPKT_S7_PKT0_SA_PS5_SB_,comdat
	.globl	_ZN2at6native12_GLOBAL__N_135GammaBetaBackwardCUDAKernelTemplateIN3c104HalfEfLj64ELj8ELj64ELb0ELb0ELb1EEEvllPKT_S7_PKT0_SA_PS5_SB_ ; -- Begin function _ZN2at6native12_GLOBAL__N_135GammaBetaBackwardCUDAKernelTemplateIN3c104HalfEfLj64ELj8ELj64ELb0ELb0ELb1EEEvllPKT_S7_PKT0_SA_PS5_SB_
	.p2align	8
	.type	_ZN2at6native12_GLOBAL__N_135GammaBetaBackwardCUDAKernelTemplateIN3c104HalfEfLj64ELj8ELj64ELb0ELb0ELb1EEEvllPKT_S7_PKT0_SA_PS5_SB_,@function
_ZN2at6native12_GLOBAL__N_135GammaBetaBackwardCUDAKernelTemplateIN3c104HalfEfLj64ELj8ELj64ELb0ELb0ELb1EEEvllPKT_S7_PKT0_SA_PS5_SB_: ; @_ZN2at6native12_GLOBAL__N_135GammaBetaBackwardCUDAKernelTemplateIN3c104HalfEfLj64ELj8ELj64ELb0ELb0ELb1EEEvllPKT_S7_PKT0_SA_PS5_SB_
; %bb.0:
	s_clause 0x1
	s_load_b256 s[4:11], s[0:1], 0x0
	s_load_b64 s[12:13], s[0:1], 0x28
	s_lshl_b32 s28, ttmp9, 6
	s_mov_b32 s15, 0
	s_or_b32 s14, s28, 63
	s_wait_kmcnt 0x0
	v_cmp_le_i64_e64 s2, s[6:7], s[14:15]
	s_lshl_b32 s14, ttmp7, 6
	s_wait_alu 0xfffe
	v_cmp_gt_i64_e64 s29, s[4:5], s[14:15]
	s_and_b32 vcc_lo, exec_lo, s2
	v_cndmask_b32_e64 v1, 0, 1, s29
	s_delay_alu instid0(VALU_DEP_1)
	v_cmp_ne_u32_e64 s2, 1, v1
	s_cbranch_vccz .LBB170_49
; %bb.1:
	v_mov_b32_e32 v86, 0
	s_and_b32 vcc_lo, exec_lo, s2
	s_cbranch_vccnz .LBB170_50
; %bb.2:
	v_bfe_u32 v20, v0, 10, 10
	v_dual_mov_b32 v1, 0 :: v_dual_and_b32 v22, 0x3ff, v0
	s_load_b32 s3, s[0:1], 0x44
	s_mov_b32 s17, 0
	s_delay_alu instid0(VALU_DEP_2) | instskip(NEXT) | instid1(VALU_DEP_2)
	v_lshlrev_b32_e32 v21, 3, v20
	v_dual_mov_b32 v3, v1 :: v_dual_add_nc_u32 v2, s28, v22
	s_mov_b32 s21, s17
	v_mov_b32_e32 v55, 0
	s_delay_alu instid0(VALU_DEP_3) | instskip(NEXT) | instid1(VALU_DEP_1)
	v_add_co_u32 v10, s2, v21, s14
	v_add_co_ci_u32_e64 v11, null, 0, 0, s2
	v_cmp_gt_i64_e64 s2, s[6:7], v[2:3]
	s_delay_alu instid0(VALU_DEP_3) | instskip(SKIP_1) | instid1(VALU_DEP_4)
	v_mul_lo_u32 v6, s7, v10
	v_mad_co_u64_u32 v[4:5], null, s6, v10, 0
	v_mul_lo_u32 v7, s6, v11
	v_add_co_u32 v8, vcc_lo, v10, 7
	s_delay_alu instid0(VALU_DEP_1) | instskip(SKIP_1) | instid1(VALU_DEP_3)
	v_add_co_ci_u32_e64 v9, null, 0, v11, vcc_lo
	v_lshlrev_b64_e32 v[18:19], 1, v[2:3]
	v_mul_lo_u32 v12, s7, v8
	s_wait_kmcnt 0x0
	s_lshl_b32 s20, s3, 6
	v_add3_u32 v5, v5, v7, v6
	v_mad_co_u64_u32 v[6:7], null, s6, v8, 0
	v_add_co_u32 v8, vcc_lo, v10, 6
	v_mul_lo_u32 v13, s6, v9
	s_wait_alu 0xfffd
	v_add_co_ci_u32_e64 v9, null, 0, v11, vcc_lo
	v_lshlrev_b64_e32 v[2:3], 1, v[4:5]
	v_mul_lo_u32 v14, s7, v8
	s_mul_u64 s[22:23], s[6:7], s[20:21]
	s_delay_alu instid0(VALU_DEP_3) | instskip(SKIP_1) | instid1(VALU_DEP_4)
	v_mul_lo_u32 v15, s6, v9
	v_mad_co_u64_u32 v[8:9], null, s6, v8, 0
	v_add_co_u32 v23, vcc_lo, s8, v2
	s_wait_alu 0xfffd
	v_add_co_ci_u32_e64 v24, null, s9, v3, vcc_lo
	v_add_co_u32 v25, vcc_lo, s10, v2
	v_add3_u32 v7, v7, v13, v12
	s_wait_alu 0xfffd
	v_add_co_ci_u32_e64 v26, null, s11, v3, vcc_lo
	v_add_co_u32 v12, vcc_lo, v10, 5
	v_add3_u32 v9, v9, v15, v14
	s_wait_alu 0xfffd
	v_add_co_ci_u32_e64 v13, null, 0, v11, vcc_lo
	v_lshlrev_b64_e32 v[2:3], 1, v[6:7]
	v_mul_lo_u32 v14, s7, v12
	v_lshlrev_b64_e32 v[6:7], 1, v[8:9]
	s_delay_alu instid0(VALU_DEP_4)
	v_mul_lo_u32 v13, s6, v13
	v_mad_co_u64_u32 v[8:9], null, s6, v12, 0
	v_add_co_u32 v27, vcc_lo, s8, v2
	s_wait_alu 0xfffd
	v_add_co_ci_u32_e64 v28, null, s9, v3, vcc_lo
	v_add_co_u32 v29, vcc_lo, s10, v2
	s_wait_alu 0xfffd
	v_add_co_ci_u32_e64 v30, null, s11, v3, vcc_lo
	v_add_co_u32 v31, vcc_lo, s8, v6
	v_add3_u32 v9, v9, v13, v14
	s_wait_alu 0xfffd
	v_add_co_ci_u32_e64 v32, null, s9, v7, vcc_lo
	v_add_co_u32 v12, vcc_lo, v10, 4
	v_add_co_u32 v33, s3, s10, v6
	s_wait_alu 0xfffd
	v_add_co_ci_u32_e64 v6, null, 0, v11, vcc_lo
	v_lshlrev_b64_e32 v[2:3], 1, v[8:9]
	v_add_co_u32 v8, vcc_lo, v10, 3
	s_wait_alu 0xfffd
	v_add_co_ci_u32_e64 v9, null, 0, v11, vcc_lo
	s_wait_alu 0xf1ff
	v_add_co_ci_u32_e64 v34, null, s11, v7, s3
	v_mul_lo_u32 v13, s7, v12
	v_mul_lo_u32 v14, s6, v6
	v_mad_co_u64_u32 v[6:7], null, s6, v12, 0
	v_mul_lo_u32 v12, s7, v8
	v_mul_lo_u32 v15, s6, v9
	v_mad_co_u64_u32 v[8:9], null, s6, v8, 0
	v_add_co_u32 v35, vcc_lo, s8, v2
	s_wait_alu 0xfffd
	v_add_co_ci_u32_e64 v36, null, s9, v3, vcc_lo
	v_add3_u32 v7, v7, v14, v13
	v_add_co_u32 v37, vcc_lo, s10, v2
	s_wait_alu 0xfffd
	v_add_co_ci_u32_e64 v38, null, s11, v3, vcc_lo
	v_add_co_u32 v10, vcc_lo, v10, 2
	v_add3_u32 v9, v9, v15, v12
	s_wait_alu 0xfffd
	v_add_co_ci_u32_e64 v11, null, 0, v11, vcc_lo
	v_lshlrev_b64_e32 v[2:3], 1, v[6:7]
	v_mul_lo_u32 v12, s7, v10
	v_lshlrev_b64_e32 v[6:7], 1, v[8:9]
	s_delay_alu instid0(VALU_DEP_4)
	v_mul_lo_u32 v11, s6, v11
	v_mad_co_u64_u32 v[8:9], null, s6, v10, 0
	v_add_co_u32 v39, vcc_lo, s8, v2
	s_wait_alu 0xfffd
	v_add_co_ci_u32_e64 v40, null, s9, v3, vcc_lo
	v_add_co_u32 v41, vcc_lo, s10, v2
	s_wait_alu 0xfffd
	v_add_co_ci_u32_e64 v42, null, s11, v3, vcc_lo
	;; [unrolled: 3-line block ×3, first 2 shown]
	v_add3_u32 v9, v9, v11, v12
	v_add_co_u32 v45, vcc_lo, s10, v6
	s_wait_alu 0xfffd
	v_add_co_ci_u32_e64 v46, null, s11, v7, vcc_lo
	v_add_co_u32 v4, vcc_lo, v4, s6
	s_wait_alu 0xfffd
	v_add_co_ci_u32_e64 v5, null, s7, v5, vcc_lo
	v_lshlrev_b64_e32 v[2:3], 1, v[8:9]
	s_add_nc_u64 s[18:19], s[0:1], 64
	s_lshl_b64 s[22:23], s[22:23], 1
	s_delay_alu instid0(VALU_DEP_2)
	v_lshlrev_b64_e32 v[4:5], 1, v[4:5]
	s_add_nc_u64 s[24:25], s[14:15], 63
	s_mov_b64 s[26:27], s[14:15]
	v_add_co_u32 v47, vcc_lo, s8, v2
	s_wait_alu 0xfffd
	v_add_co_ci_u32_e64 v48, null, s9, v3, vcc_lo
	v_add_co_u32 v49, vcc_lo, s10, v2
	s_wait_alu 0xfffd
	v_add_co_ci_u32_e64 v50, null, s11, v3, vcc_lo
	;; [unrolled: 3-line block ×4, first 2 shown]
.LBB170_3:                              ; =>This Inner Loop Header: Depth=1
	v_cmp_ge_i64_e64 s3, s[24:25], s[4:5]
	v_add_co_u32 v56, s16, v21, s24
	s_wait_alu 0xf1ff
	v_add_co_ci_u32_e64 v57, null, 0, s25, s16
                                        ; implicit-def: $vgpr2_vgpr3_vgpr4_vgpr5_vgpr6_vgpr7_vgpr8_vgpr9
                                        ; implicit-def: $vgpr86
                                        ; implicit-def: $vgpr10_vgpr11_vgpr12_vgpr13_vgpr14_vgpr15_vgpr16_vgpr17
                                        ; implicit-def: $vgpr2
	s_and_b32 vcc_lo, exec_lo, s3
	s_mov_b32 s3, -1
	s_wait_alu 0xfffe
	s_cbranch_vccz .LBB170_25
; %bb.4:                                ;   in Loop: Header=BB170_3 Depth=1
	s_load_b32 s3, s[18:19], 0xc
	v_mov_b32_e32 v58, 0
	s_wait_kmcnt 0x0
	s_and_b32 s3, s3, 0xffff
	s_wait_alu 0xfffe
	v_mad_u32_u24 v2, v20, s3, v22
	s_mov_b32 s3, exec_lo
	s_delay_alu instid0(VALU_DEP_1) | instskip(NEXT) | instid1(VALU_DEP_1)
	v_and_b32_e32 v2, 31, v2
	v_cmpx_gt_u32_e32 8, v2
	s_cbranch_execz .LBB170_8
; %bb.5:                                ;   in Loop: Header=BB170_3 Depth=1
	v_add_co_u32 v2, vcc_lo, v56, v2
	s_wait_alu 0xfffd
	v_add_co_ci_u32_e64 v3, null, 0, v57, vcc_lo
	v_mov_b32_e32 v58, 0
	s_delay_alu instid0(VALU_DEP_3) | instskip(SKIP_1) | instid1(VALU_DEP_3)
	v_add_co_u32 v2, vcc_lo, 0xffffffc1, v2
	s_wait_alu 0xfffd
	v_add_co_ci_u32_e64 v3, null, -1, v3, vcc_lo
	s_mov_b32 s16, exec_lo
	v_cmpx_gt_i64_e64 s[4:5], v[2:3]
	s_cbranch_execz .LBB170_7
; %bb.6:                                ;   in Loop: Header=BB170_3 Depth=1
	v_lshlrev_b64_e32 v[2:3], 2, v[2:3]
	s_delay_alu instid0(VALU_DEP_1) | instskip(SKIP_1) | instid1(VALU_DEP_2)
	v_add_co_u32 v2, vcc_lo, s12, v2
	s_wait_alu 0xfffd
	v_add_co_ci_u32_e64 v3, null, s13, v3, vcc_lo
	global_load_b32 v58, v[2:3], off
.LBB170_7:                              ;   in Loop: Header=BB170_3 Depth=1
	s_wait_alu 0xfffe
	s_or_b32 exec_lo, exec_lo, s16
.LBB170_8:                              ;   in Loop: Header=BB170_3 Depth=1
	s_wait_alu 0xfffe
	s_or_b32 exec_lo, exec_lo, s3
	v_add_co_u32 v9, vcc_lo, 0xffffffc1, v56
	s_wait_alu 0xfffd
	v_add_co_ci_u32_e64 v10, null, -1, v57, vcc_lo
	v_mov_b32_e32 v8, v1
	v_dual_mov_b32 v2, v1 :: v_dual_mov_b32 v3, v1
	v_dual_mov_b32 v4, v1 :: v_dual_mov_b32 v5, v1
	;; [unrolled: 1-line block ×3, first 2 shown]
	v_cmp_gt_i64_e32 vcc_lo, s[4:5], v[9:10]
	s_delay_alu instid0(VALU_DEP_3) | instskip(NEXT) | instid1(VALU_DEP_3)
	v_dual_mov_b32 v17, v8 :: v_dual_mov_b32 v14, v5
	v_dual_mov_b32 v15, v6 :: v_dual_mov_b32 v16, v7
	;; [unrolled: 1-line block ×4, first 2 shown]
	v_mov_b32_e32 v9, v8
	v_mov_b32_e32 v8, v7
	;; [unrolled: 1-line block ×8, first 2 shown]
	s_and_b32 s16, s2, vcc_lo
	s_wait_alu 0xfffe
	s_and_saveexec_b32 s3, s16
	s_cbranch_execz .LBB170_10
; %bb.9:                                ;   in Loop: Header=BB170_3 Depth=1
	v_add_co_u32 v2, vcc_lo, v23, v18
	s_wait_alu 0xfffd
	v_add_co_ci_u32_e64 v3, null, v24, v19, vcc_lo
	v_add_co_u32 v4, vcc_lo, v25, v18
	s_wait_alu 0xfffd
	v_add_co_ci_u32_e64 v5, null, v26, v19, vcc_lo
	global_load_u16 v2, v[2:3], off
	global_load_u16 v10, v[4:5], off
	v_dual_mov_b32 v3, v1 :: v_dual_mov_b32 v4, v1
	v_dual_mov_b32 v5, v1 :: v_dual_mov_b32 v6, v1
	;; [unrolled: 1-line block ×6, first 2 shown]
	v_mov_b32_e32 v15, v1
	v_mov_b32_e32 v17, v1
	s_wait_loadcnt 0x1
	v_cvt_f32_f16_e32 v2, v2
	s_wait_loadcnt 0x0
	v_cvt_f32_f16_e32 v10, v10
.LBB170_10:                             ;   in Loop: Header=BB170_3 Depth=1
	s_wait_alu 0xfffe
	s_or_b32 exec_lo, exec_lo, s3
	v_add_co_u32 v59, vcc_lo, 0xffffffc2, v56
	s_wait_alu 0xfffd
	v_add_co_ci_u32_e64 v60, null, -1, v57, vcc_lo
	s_delay_alu instid0(VALU_DEP_1)
	v_cmp_gt_i64_e32 vcc_lo, s[4:5], v[59:60]
	s_and_b32 s16, s2, vcc_lo
	s_wait_alu 0xfffe
	s_and_saveexec_b32 s3, s16
	s_cbranch_execz .LBB170_12
; %bb.11:                               ;   in Loop: Header=BB170_3 Depth=1
	v_add_co_u32 v59, vcc_lo, v51, v18
	s_wait_alu 0xfffd
	v_add_co_ci_u32_e64 v60, null, v52, v19, vcc_lo
	v_add_co_u32 v61, vcc_lo, v53, v18
	s_wait_alu 0xfffd
	v_add_co_ci_u32_e64 v62, null, v54, v19, vcc_lo
	global_load_u16 v3, v[59:60], off
	global_load_u16 v11, v[61:62], off
	s_wait_loadcnt 0x1
	v_cvt_f32_f16_e32 v3, v3
	s_wait_loadcnt 0x0
	v_cvt_f32_f16_e32 v11, v11
.LBB170_12:                             ;   in Loop: Header=BB170_3 Depth=1
	s_wait_alu 0xfffe
	s_or_b32 exec_lo, exec_lo, s3
	v_add_co_u32 v59, vcc_lo, 0xffffffc3, v56
	s_wait_alu 0xfffd
	v_add_co_ci_u32_e64 v60, null, -1, v57, vcc_lo
	s_delay_alu instid0(VALU_DEP_1)
	v_cmp_gt_i64_e32 vcc_lo, s[4:5], v[59:60]
	s_and_b32 s16, s2, vcc_lo
	s_wait_alu 0xfffe
	s_and_saveexec_b32 s3, s16
	s_cbranch_execz .LBB170_14
; %bb.13:                               ;   in Loop: Header=BB170_3 Depth=1
	v_add_co_u32 v59, vcc_lo, v47, v18
	s_wait_alu 0xfffd
	v_add_co_ci_u32_e64 v60, null, v48, v19, vcc_lo
	v_add_co_u32 v61, vcc_lo, v49, v18
	s_wait_alu 0xfffd
	v_add_co_ci_u32_e64 v62, null, v50, v19, vcc_lo
	global_load_u16 v4, v[59:60], off
	global_load_u16 v12, v[61:62], off
	s_wait_loadcnt 0x1
	v_cvt_f32_f16_e32 v4, v4
	s_wait_loadcnt 0x0
	v_cvt_f32_f16_e32 v12, v12
.LBB170_14:                             ;   in Loop: Header=BB170_3 Depth=1
	s_wait_alu 0xfffe
	s_or_b32 exec_lo, exec_lo, s3
	v_add_co_u32 v59, vcc_lo, 0xffffffc4, v56
	s_wait_alu 0xfffd
	v_add_co_ci_u32_e64 v60, null, -1, v57, vcc_lo
	s_delay_alu instid0(VALU_DEP_1)
	v_cmp_gt_i64_e32 vcc_lo, s[4:5], v[59:60]
	s_and_b32 s16, s2, vcc_lo
	s_wait_alu 0xfffe
	s_and_saveexec_b32 s3, s16
	s_cbranch_execz .LBB170_16
; %bb.15:                               ;   in Loop: Header=BB170_3 Depth=1
	v_add_co_u32 v59, vcc_lo, v43, v18
	s_wait_alu 0xfffd
	v_add_co_ci_u32_e64 v60, null, v44, v19, vcc_lo
	v_add_co_u32 v61, vcc_lo, v45, v18
	s_wait_alu 0xfffd
	v_add_co_ci_u32_e64 v62, null, v46, v19, vcc_lo
	global_load_u16 v5, v[59:60], off
	global_load_u16 v13, v[61:62], off
	s_wait_loadcnt 0x1
	v_cvt_f32_f16_e32 v5, v5
	s_wait_loadcnt 0x0
	v_cvt_f32_f16_e32 v13, v13
.LBB170_16:                             ;   in Loop: Header=BB170_3 Depth=1
	s_wait_alu 0xfffe
	s_or_b32 exec_lo, exec_lo, s3
	v_add_co_u32 v59, vcc_lo, 0xffffffc5, v56
	s_wait_alu 0xfffd
	v_add_co_ci_u32_e64 v60, null, -1, v57, vcc_lo
	s_delay_alu instid0(VALU_DEP_1)
	v_cmp_gt_i64_e32 vcc_lo, s[4:5], v[59:60]
	s_and_b32 s16, s2, vcc_lo
	s_wait_alu 0xfffe
	s_and_saveexec_b32 s3, s16
	s_cbranch_execz .LBB170_18
; %bb.17:                               ;   in Loop: Header=BB170_3 Depth=1
	v_add_co_u32 v59, vcc_lo, v39, v18
	s_wait_alu 0xfffd
	v_add_co_ci_u32_e64 v60, null, v40, v19, vcc_lo
	v_add_co_u32 v61, vcc_lo, v41, v18
	s_wait_alu 0xfffd
	v_add_co_ci_u32_e64 v62, null, v42, v19, vcc_lo
	global_load_u16 v6, v[59:60], off
	global_load_u16 v14, v[61:62], off
	s_wait_loadcnt 0x1
	v_cvt_f32_f16_e32 v6, v6
	s_wait_loadcnt 0x0
	v_cvt_f32_f16_e32 v14, v14
.LBB170_18:                             ;   in Loop: Header=BB170_3 Depth=1
	s_wait_alu 0xfffe
	s_or_b32 exec_lo, exec_lo, s3
	v_add_co_u32 v59, vcc_lo, 0xffffffc6, v56
	s_wait_alu 0xfffd
	v_add_co_ci_u32_e64 v60, null, -1, v57, vcc_lo
	s_delay_alu instid0(VALU_DEP_1)
	v_cmp_gt_i64_e32 vcc_lo, s[4:5], v[59:60]
	s_and_b32 s16, s2, vcc_lo
	s_wait_alu 0xfffe
	s_and_saveexec_b32 s3, s16
	s_cbranch_execz .LBB170_20
; %bb.19:                               ;   in Loop: Header=BB170_3 Depth=1
	v_add_co_u32 v59, vcc_lo, v35, v18
	s_wait_alu 0xfffd
	v_add_co_ci_u32_e64 v60, null, v36, v19, vcc_lo
	v_add_co_u32 v61, vcc_lo, v37, v18
	s_wait_alu 0xfffd
	v_add_co_ci_u32_e64 v62, null, v38, v19, vcc_lo
	global_load_u16 v7, v[59:60], off
	global_load_u16 v15, v[61:62], off
	s_wait_loadcnt 0x1
	v_cvt_f32_f16_e32 v7, v7
	s_wait_loadcnt 0x0
	v_cvt_f32_f16_e32 v15, v15
.LBB170_20:                             ;   in Loop: Header=BB170_3 Depth=1
	s_wait_alu 0xfffe
	s_or_b32 exec_lo, exec_lo, s3
	v_add_co_u32 v59, vcc_lo, 0xffffffc7, v56
	s_wait_alu 0xfffd
	v_add_co_ci_u32_e64 v60, null, -1, v57, vcc_lo
	s_delay_alu instid0(VALU_DEP_1)
	v_cmp_gt_i64_e32 vcc_lo, s[4:5], v[59:60]
	s_and_b32 s16, s2, vcc_lo
	s_wait_alu 0xfffe
	s_and_saveexec_b32 s3, s16
	s_cbranch_execz .LBB170_22
; %bb.21:                               ;   in Loop: Header=BB170_3 Depth=1
	v_add_co_u32 v59, vcc_lo, v31, v18
	s_wait_alu 0xfffd
	v_add_co_ci_u32_e64 v60, null, v32, v19, vcc_lo
	v_add_co_u32 v61, vcc_lo, v33, v18
	s_wait_alu 0xfffd
	v_add_co_ci_u32_e64 v62, null, v34, v19, vcc_lo
	global_load_u16 v8, v[59:60], off
	global_load_u16 v16, v[61:62], off
	s_wait_loadcnt 0x1
	v_cvt_f32_f16_e32 v8, v8
	s_wait_loadcnt 0x0
	v_cvt_f32_f16_e32 v16, v16
.LBB170_22:                             ;   in Loop: Header=BB170_3 Depth=1
	s_wait_alu 0xfffe
	s_or_b32 exec_lo, exec_lo, s3
	v_add_co_u32 v59, vcc_lo, 0xffffffc8, v56
	s_wait_alu 0xfffd
	v_add_co_ci_u32_e64 v60, null, -1, v57, vcc_lo
	s_delay_alu instid0(VALU_DEP_1)
	v_cmp_gt_i64_e32 vcc_lo, s[4:5], v[59:60]
	s_and_b32 s16, s2, vcc_lo
	s_wait_alu 0xfffe
	s_and_saveexec_b32 s3, s16
	s_cbranch_execz .LBB170_24
; %bb.23:                               ;   in Loop: Header=BB170_3 Depth=1
	v_add_co_u32 v59, vcc_lo, v27, v18
	s_wait_alu 0xfffd
	v_add_co_ci_u32_e64 v60, null, v28, v19, vcc_lo
	v_add_co_u32 v61, vcc_lo, v29, v18
	s_wait_alu 0xfffd
	v_add_co_ci_u32_e64 v62, null, v30, v19, vcc_lo
	global_load_u16 v9, v[59:60], off
	global_load_u16 v17, v[61:62], off
	s_wait_loadcnt 0x1
	v_cvt_f32_f16_e32 v9, v9
	s_wait_loadcnt 0x0
	v_cvt_f32_f16_e32 v17, v17
.LBB170_24:                             ;   in Loop: Header=BB170_3 Depth=1
	s_wait_alu 0xfffe
	s_or_b32 exec_lo, exec_lo, s3
	s_wait_loadcnt 0x0
	ds_bpermute_b32 v59, v1, v58
	ds_bpermute_b32 v60, v1, v58 offset:4
	ds_bpermute_b32 v61, v1, v58 offset:8
	v_dual_mul_f32 v2, v10, v2 :: v_dual_mul_f32 v3, v11, v3
	ds_bpermute_b32 v10, v1, v58 offset:12
	ds_bpermute_b32 v11, v1, v58 offset:16
	v_mul_f32_e32 v6, v14, v6
	s_mov_b32 s3, 0
	s_wait_dscnt 0x4
	v_fma_f32 v86, v2, v59, v55
	v_mul_f32_e32 v2, v12, v4
	ds_bpermute_b32 v4, v1, v58 offset:20
	s_wait_dscnt 0x4
	v_dual_fmac_f32 v86, v3, v60 :: v_dual_mul_f32 v3, v13, v5
	ds_bpermute_b32 v5, v1, v58 offset:24
	s_wait_dscnt 0x4
	v_fmac_f32_e32 v86, v2, v61
	ds_bpermute_b32 v2, v1, v58 offset:28
	s_wait_dscnt 0x4
	v_fmac_f32_e32 v86, v3, v10
	v_mul_f32_e32 v3, v15, v7
	s_wait_dscnt 0x3
	s_delay_alu instid0(VALU_DEP_2) | instskip(SKIP_1) | instid1(VALU_DEP_1)
	v_fmac_f32_e32 v86, v6, v11
	s_wait_dscnt 0x2
	v_fmac_f32_e32 v86, v3, v4
	v_mul_f32_e32 v3, v16, v8
	s_wait_dscnt 0x1
	s_delay_alu instid0(VALU_DEP_1)
	v_fmac_f32_e32 v86, v3, v5
.LBB170_25:                             ;   in Loop: Header=BB170_3 Depth=1
	s_wait_alu 0xfffe
	s_and_b32 vcc_lo, exec_lo, s3
	s_wait_alu 0xfffe
	s_cbranch_vccz .LBB170_40
; %bb.26:                               ;   in Loop: Header=BB170_3 Depth=1
	s_load_b32 s3, s[18:19], 0x0
	v_mov_b32_e32 v58, 0
	s_wait_kmcnt 0x0
	s_cmp_lt_u32 ttmp9, s3
	s_cselect_b32 s16, 12, 18
	s_wait_alu 0xfffe
	s_add_nc_u64 s[30:31], s[18:19], s[16:17]
	s_load_u16 s3, s[30:31], 0x0
	s_wait_dscnt 0x0
	s_wait_kmcnt 0x0
	v_mad_u32_u24 v2, v20, s3, v22
	s_mov_b32 s3, exec_lo
	s_delay_alu instid0(VALU_DEP_1) | instskip(NEXT) | instid1(VALU_DEP_1)
	v_and_b32_e32 v2, 31, v2
	v_cmpx_gt_u32_e32 8, v2
	s_cbranch_execz .LBB170_30
; %bb.27:                               ;   in Loop: Header=BB170_3 Depth=1
	v_add_co_u32 v2, vcc_lo, v56, v2
	s_wait_alu 0xfffd
	v_add_co_ci_u32_e64 v3, null, 0, v57, vcc_lo
	v_mov_b32_e32 v58, 0
	s_delay_alu instid0(VALU_DEP_3) | instskip(SKIP_1) | instid1(VALU_DEP_3)
	v_add_co_u32 v2, vcc_lo, 0xffffffc1, v2
	s_wait_alu 0xfffd
	v_add_co_ci_u32_e64 v3, null, -1, v3, vcc_lo
	s_mov_b32 s16, exec_lo
	v_cmpx_gt_i64_e64 s[4:5], v[2:3]
	s_cbranch_execz .LBB170_29
; %bb.28:                               ;   in Loop: Header=BB170_3 Depth=1
	v_lshlrev_b64_e32 v[2:3], 2, v[2:3]
	s_delay_alu instid0(VALU_DEP_1) | instskip(SKIP_1) | instid1(VALU_DEP_2)
	v_add_co_u32 v2, vcc_lo, s12, v2
	s_wait_alu 0xfffd
	v_add_co_ci_u32_e64 v3, null, s13, v3, vcc_lo
	global_load_b32 v58, v[2:3], off
.LBB170_29:                             ;   in Loop: Header=BB170_3 Depth=1
	s_wait_alu 0xfffe
	s_or_b32 exec_lo, exec_lo, s16
.LBB170_30:                             ;   in Loop: Header=BB170_3 Depth=1
	s_wait_alu 0xfffe
	s_or_b32 exec_lo, exec_lo, s3
	v_mov_b32_e32 v8, v1
	v_dual_mov_b32 v2, v1 :: v_dual_mov_b32 v3, v1
	v_dual_mov_b32 v4, v1 :: v_dual_mov_b32 v5, v1
	v_dual_mov_b32 v6, v1 :: v_dual_mov_b32 v7, v1
	s_delay_alu instid0(VALU_DEP_4) | instskip(NEXT) | instid1(VALU_DEP_3)
	v_mov_b32_e32 v17, v8
	v_dual_mov_b32 v13, v4 :: v_dual_mov_b32 v12, v3
	s_delay_alu instid0(VALU_DEP_3) | instskip(NEXT) | instid1(VALU_DEP_4)
	v_dual_mov_b32 v15, v6 :: v_dual_mov_b32 v14, v5
	v_dual_mov_b32 v16, v7 :: v_dual_mov_b32 v11, v2
	;; [unrolled: 1-line block ×3, first 2 shown]
	v_mov_b32_e32 v8, v7
	v_mov_b32_e32 v7, v6
	;; [unrolled: 1-line block ×7, first 2 shown]
	s_and_saveexec_b32 s3, s2
	s_cbranch_execnz .LBB170_42
; %bb.31:                               ;   in Loop: Header=BB170_3 Depth=1
	s_wait_alu 0xfffe
	s_or_b32 exec_lo, exec_lo, s3
	s_and_saveexec_b32 s3, s2
	s_cbranch_execnz .LBB170_43
.LBB170_32:                             ;   in Loop: Header=BB170_3 Depth=1
	s_wait_alu 0xfffe
	s_or_b32 exec_lo, exec_lo, s3
	s_and_saveexec_b32 s3, s2
	s_cbranch_execnz .LBB170_44
.LBB170_33:                             ;   in Loop: Header=BB170_3 Depth=1
	s_wait_alu 0xfffe
	s_or_b32 exec_lo, exec_lo, s3
	s_and_saveexec_b32 s3, s2
	s_cbranch_execnz .LBB170_45
.LBB170_34:                             ;   in Loop: Header=BB170_3 Depth=1
	s_wait_alu 0xfffe
	s_or_b32 exec_lo, exec_lo, s3
	s_and_saveexec_b32 s3, s2
	s_cbranch_execnz .LBB170_46
.LBB170_35:                             ;   in Loop: Header=BB170_3 Depth=1
	s_wait_alu 0xfffe
	s_or_b32 exec_lo, exec_lo, s3
	s_and_saveexec_b32 s3, s2
	s_cbranch_execnz .LBB170_47
.LBB170_36:                             ;   in Loop: Header=BB170_3 Depth=1
	s_wait_alu 0xfffe
	s_or_b32 exec_lo, exec_lo, s3
	s_and_saveexec_b32 s3, s2
	s_cbranch_execnz .LBB170_48
.LBB170_37:                             ;   in Loop: Header=BB170_3 Depth=1
	s_wait_alu 0xfffe
	s_or_b32 exec_lo, exec_lo, s3
	s_and_saveexec_b32 s3, s2
	s_cbranch_execz .LBB170_39
.LBB170_38:                             ;   in Loop: Header=BB170_3 Depth=1
	v_add_co_u32 v56, vcc_lo, v27, v18
	s_wait_alu 0xfffd
	v_add_co_ci_u32_e64 v57, null, v28, v19, vcc_lo
	v_add_co_u32 v59, vcc_lo, v29, v18
	s_wait_alu 0xfffd
	v_add_co_ci_u32_e64 v60, null, v30, v19, vcc_lo
	global_load_u16 v9, v[56:57], off
	global_load_u16 v17, v[59:60], off
	s_wait_loadcnt 0x1
	v_cvt_f32_f16_e32 v9, v9
	s_wait_loadcnt 0x0
	v_cvt_f32_f16_e32 v17, v17
.LBB170_39:                             ;   in Loop: Header=BB170_3 Depth=1
	s_wait_alu 0xfffe
	s_or_b32 exec_lo, exec_lo, s3
	s_wait_loadcnt 0x0
	ds_bpermute_b32 v56, v1, v58
	ds_bpermute_b32 v57, v1, v58 offset:4
	ds_bpermute_b32 v59, v1, v58 offset:8
	v_dual_mul_f32 v2, v10, v2 :: v_dual_mul_f32 v3, v11, v3
	ds_bpermute_b32 v10, v1, v58 offset:12
	ds_bpermute_b32 v11, v1, v58 offset:16
	s_wait_dscnt 0x4
	v_fmac_f32_e32 v55, v2, v56
	v_mul_f32_e32 v2, v12, v4
	ds_bpermute_b32 v4, v1, v58 offset:20
	s_wait_dscnt 0x4
	v_fmac_f32_e32 v55, v3, v57
	v_mul_f32_e32 v3, v13, v5
	ds_bpermute_b32 v5, v1, v58 offset:24
	s_wait_dscnt 0x4
	v_fmac_f32_e32 v55, v2, v59
	v_mul_f32_e32 v2, v14, v6
	s_wait_dscnt 0x3
	s_delay_alu instid0(VALU_DEP_2) | instskip(SKIP_2) | instid1(VALU_DEP_2)
	v_fmac_f32_e32 v55, v3, v10
	v_mul_f32_e32 v3, v15, v7
	s_wait_dscnt 0x2
	v_fmac_f32_e32 v55, v2, v11
	ds_bpermute_b32 v2, v1, v58 offset:28
	s_wait_dscnt 0x2
	v_fmac_f32_e32 v55, v3, v4
	v_mul_f32_e32 v3, v16, v8
	s_wait_dscnt 0x1
	s_delay_alu instid0(VALU_DEP_1) | instskip(NEXT) | instid1(VALU_DEP_1)
	v_fmac_f32_e32 v55, v3, v5
	v_mov_b32_e32 v86, v55
.LBB170_40:                             ;   in Loop: Header=BB170_3 Depth=1
	v_add_co_u32 v23, vcc_lo, v23, s22
	s_wait_alu 0xfffd
	v_add_co_ci_u32_e64 v24, null, s23, v24, vcc_lo
	v_add_co_u32 v25, vcc_lo, v25, s22
	s_wait_alu 0xfffd
	v_add_co_ci_u32_e64 v26, null, s23, v26, vcc_lo
	;; [unrolled: 3-line block ×13, first 2 shown]
	v_add_co_u32 v49, vcc_lo, v49, s22
	v_mul_f32_e32 v3, v9, v17
	s_add_nc_u64 s[26:27], s[26:27], s[20:21]
	s_wait_alu 0xfffd
	v_add_co_ci_u32_e64 v50, null, s23, v50, vcc_lo
	v_add_co_u32 v51, vcc_lo, v51, s22
	s_wait_alu 0xfffe
	v_cmp_lt_i64_e64 s3, s[26:27], s[4:5]
	s_wait_alu 0xfffd
	v_add_co_ci_u32_e64 v52, null, s23, v52, vcc_lo
	v_add_co_u32 v53, vcc_lo, v53, s22
	s_wait_dscnt 0x0
	v_fmac_f32_e32 v86, v3, v2
	s_wait_alu 0xfffd
	v_add_co_ci_u32_e64 v54, null, s23, v54, vcc_lo
	s_and_b32 vcc_lo, exec_lo, s3
	s_add_nc_u64 s[24:25], s[24:25], s[20:21]
	s_wait_alu 0xfffe
	s_cbranch_vccz .LBB170_50
; %bb.41:                               ;   in Loop: Header=BB170_3 Depth=1
	v_mov_b32_e32 v55, v86
	s_branch .LBB170_3
.LBB170_42:                             ;   in Loop: Header=BB170_3 Depth=1
	v_add_co_u32 v2, vcc_lo, v23, v18
	s_wait_alu 0xfffd
	v_add_co_ci_u32_e64 v3, null, v24, v19, vcc_lo
	v_add_co_u32 v4, vcc_lo, v25, v18
	s_wait_alu 0xfffd
	v_add_co_ci_u32_e64 v5, null, v26, v19, vcc_lo
	global_load_u16 v2, v[2:3], off
	global_load_u16 v10, v[4:5], off
	v_dual_mov_b32 v3, v1 :: v_dual_mov_b32 v4, v1
	v_dual_mov_b32 v5, v1 :: v_dual_mov_b32 v6, v1
	;; [unrolled: 1-line block ×6, first 2 shown]
	v_mov_b32_e32 v15, v1
	v_mov_b32_e32 v17, v1
	s_wait_loadcnt 0x1
	v_cvt_f32_f16_e32 v2, v2
	s_wait_loadcnt 0x0
	v_cvt_f32_f16_e32 v10, v10
	s_wait_alu 0xfffe
	s_or_b32 exec_lo, exec_lo, s3
	s_and_saveexec_b32 s3, s2
	s_cbranch_execz .LBB170_32
.LBB170_43:                             ;   in Loop: Header=BB170_3 Depth=1
	v_add_co_u32 v56, vcc_lo, v51, v18
	s_wait_alu 0xfffd
	v_add_co_ci_u32_e64 v57, null, v52, v19, vcc_lo
	v_add_co_u32 v59, vcc_lo, v53, v18
	s_wait_alu 0xfffd
	v_add_co_ci_u32_e64 v60, null, v54, v19, vcc_lo
	global_load_u16 v3, v[56:57], off
	global_load_u16 v11, v[59:60], off
	s_wait_loadcnt 0x1
	v_cvt_f32_f16_e32 v3, v3
	s_wait_loadcnt 0x0
	v_cvt_f32_f16_e32 v11, v11
	s_wait_alu 0xfffe
	s_or_b32 exec_lo, exec_lo, s3
	s_and_saveexec_b32 s3, s2
	s_cbranch_execz .LBB170_33
.LBB170_44:                             ;   in Loop: Header=BB170_3 Depth=1
	v_add_co_u32 v56, vcc_lo, v47, v18
	s_wait_alu 0xfffd
	v_add_co_ci_u32_e64 v57, null, v48, v19, vcc_lo
	v_add_co_u32 v59, vcc_lo, v49, v18
	s_wait_alu 0xfffd
	v_add_co_ci_u32_e64 v60, null, v50, v19, vcc_lo
	global_load_u16 v4, v[56:57], off
	global_load_u16 v12, v[59:60], off
	s_wait_loadcnt 0x1
	v_cvt_f32_f16_e32 v4, v4
	s_wait_loadcnt 0x0
	v_cvt_f32_f16_e32 v12, v12
	s_wait_alu 0xfffe
	s_or_b32 exec_lo, exec_lo, s3
	s_and_saveexec_b32 s3, s2
	s_cbranch_execz .LBB170_34
.LBB170_45:                             ;   in Loop: Header=BB170_3 Depth=1
	v_add_co_u32 v56, vcc_lo, v43, v18
	s_wait_alu 0xfffd
	v_add_co_ci_u32_e64 v57, null, v44, v19, vcc_lo
	v_add_co_u32 v59, vcc_lo, v45, v18
	s_wait_alu 0xfffd
	v_add_co_ci_u32_e64 v60, null, v46, v19, vcc_lo
	global_load_u16 v5, v[56:57], off
	global_load_u16 v13, v[59:60], off
	s_wait_loadcnt 0x1
	v_cvt_f32_f16_e32 v5, v5
	s_wait_loadcnt 0x0
	v_cvt_f32_f16_e32 v13, v13
	s_wait_alu 0xfffe
	s_or_b32 exec_lo, exec_lo, s3
	s_and_saveexec_b32 s3, s2
	s_cbranch_execz .LBB170_35
.LBB170_46:                             ;   in Loop: Header=BB170_3 Depth=1
	v_add_co_u32 v56, vcc_lo, v39, v18
	s_wait_alu 0xfffd
	v_add_co_ci_u32_e64 v57, null, v40, v19, vcc_lo
	v_add_co_u32 v59, vcc_lo, v41, v18
	s_wait_alu 0xfffd
	v_add_co_ci_u32_e64 v60, null, v42, v19, vcc_lo
	global_load_u16 v6, v[56:57], off
	global_load_u16 v14, v[59:60], off
	s_wait_loadcnt 0x1
	v_cvt_f32_f16_e32 v6, v6
	s_wait_loadcnt 0x0
	v_cvt_f32_f16_e32 v14, v14
	s_wait_alu 0xfffe
	s_or_b32 exec_lo, exec_lo, s3
	s_and_saveexec_b32 s3, s2
	s_cbranch_execz .LBB170_36
.LBB170_47:                             ;   in Loop: Header=BB170_3 Depth=1
	v_add_co_u32 v56, vcc_lo, v35, v18
	s_wait_alu 0xfffd
	v_add_co_ci_u32_e64 v57, null, v36, v19, vcc_lo
	v_add_co_u32 v59, vcc_lo, v37, v18
	s_wait_alu 0xfffd
	v_add_co_ci_u32_e64 v60, null, v38, v19, vcc_lo
	global_load_u16 v7, v[56:57], off
	global_load_u16 v15, v[59:60], off
	s_wait_loadcnt 0x1
	v_cvt_f32_f16_e32 v7, v7
	s_wait_loadcnt 0x0
	v_cvt_f32_f16_e32 v15, v15
	s_wait_alu 0xfffe
	s_or_b32 exec_lo, exec_lo, s3
	s_and_saveexec_b32 s3, s2
	s_cbranch_execz .LBB170_37
.LBB170_48:                             ;   in Loop: Header=BB170_3 Depth=1
	v_add_co_u32 v56, vcc_lo, v31, v18
	s_wait_alu 0xfffd
	v_add_co_ci_u32_e64 v57, null, v32, v19, vcc_lo
	v_add_co_u32 v59, vcc_lo, v33, v18
	s_wait_alu 0xfffd
	v_add_co_ci_u32_e64 v60, null, v34, v19, vcc_lo
	global_load_u16 v8, v[56:57], off
	global_load_u16 v16, v[59:60], off
	s_wait_loadcnt 0x1
	v_cvt_f32_f16_e32 v8, v8
	s_wait_loadcnt 0x0
	v_cvt_f32_f16_e32 v16, v16
	s_wait_alu 0xfffe
	s_or_b32 exec_lo, exec_lo, s3
	s_and_saveexec_b32 s3, s2
	s_cbranch_execnz .LBB170_38
	s_branch .LBB170_39
.LBB170_49:
                                        ; implicit-def: $vgpr86
	s_branch .LBB170_51
.LBB170_50:
	s_cbranch_execnz .LBB170_83
.LBB170_51:
	v_mov_b32_e32 v86, 0
	s_and_not1_b32 vcc_lo, exec_lo, s29
	s_wait_alu 0xfffe
	s_cbranch_vccnz .LBB170_83
; %bb.52:
	v_bfe_u32 v48, v0, 10, 10
	v_dual_mov_b32 v1, 0 :: v_dual_and_b32 v50, 0x3ff, v0
	s_lshl_b64 s[18:19], s[14:15], 1
	s_mov_b32 s3, 0
	s_delay_alu instid0(VALU_DEP_2) | instskip(SKIP_2) | instid1(VALU_DEP_3)
	v_lshlrev_b32_e32 v49, 3, v48
	v_dual_mov_b32 v83, 0 :: v_dual_lshlrev_b32 v8, 4, v48
	v_dual_mov_b32 v5, v1 :: v_dual_add_nc_u32 v4, s28, v50
	v_add_co_u32 v10, s2, v49, s14
	s_wait_alu 0xf1ff
	v_add_co_ci_u32_e64 v11, null, 0, 0, s2
	s_delay_alu instid0(VALU_DEP_3) | instskip(NEXT) | instid1(VALU_DEP_3)
	v_lshlrev_b64_e32 v[18:19], 1, v[4:5]
	v_mul_lo_u32 v6, s7, v10
	v_mad_co_u64_u32 v[2:3], null, s6, v10, 0
	s_delay_alu instid0(VALU_DEP_4) | instskip(SKIP_2) | instid1(VALU_DEP_1)
	v_mul_lo_u32 v7, s6, v11
	s_load_b32 s2, s[0:1], 0x44
	s_mov_b32 s17, s3
	v_add3_u32 v3, v3, v7, v6
	v_add_co_u32 v6, s16, v8, s18
	s_wait_alu 0xf1ff
	v_add_co_ci_u32_e64 v7, null, 0, s19, s16
	s_delay_alu instid0(VALU_DEP_3) | instskip(NEXT) | instid1(VALU_DEP_3)
	v_lshlrev_b64_e32 v[4:5], 1, v[2:3]
	v_add_co_u32 v8, vcc_lo, v6, 2
	s_wait_alu 0xfffd
	s_delay_alu instid0(VALU_DEP_3) | instskip(NEXT) | instid1(VALU_DEP_3)
	v_add_co_ci_u32_e64 v9, null, 0, v7, vcc_lo
	v_add_co_u32 v51, vcc_lo, s8, v4
	s_wait_alu 0xfffd
	v_add_co_ci_u32_e64 v52, null, s9, v5, vcc_lo
	v_add_co_u32 v53, vcc_lo, s10, v4
	s_wait_alu 0xfffd
	;; [unrolled: 3-line block ×5, first 2 shown]
	v_add_co_ci_u32_e64 v28, null, 0, v7, vcc_lo
	v_add_co_u32 v42, vcc_lo, v6, 10
	v_mad_co_u64_u32 v[22:23], null, s6, v4, s[8:9]
	v_mul_lo_u32 v5, s6, v5
	v_mul_lo_u32 v15, s7, v4
	v_mad_co_u64_u32 v[36:37], null, s6, v4, s[10:11]
	s_wait_alu 0xfffd
	v_add_co_ci_u32_e64 v30, null, 0, v7, vcc_lo
	v_add_co_u32 v44, vcc_lo, v6, 12
	s_wait_alu 0xfffd
	v_add_co_ci_u32_e64 v32, null, 0, v7, vcc_lo
	v_add_co_u32 v6, vcc_lo, v6, 14
	v_mad_co_u64_u32 v[20:21], null, s6, v8, s[8:9]
	v_mul_lo_u32 v9, s6, v9
	v_mul_lo_u32 v12, s7, v8
	v_mad_co_u64_u32 v[34:35], null, s6, v8, s[10:11]
	s_wait_alu 0xfffd
	v_add_co_ci_u32_e64 v7, null, 0, v7, vcc_lo
	v_add_co_u32 v4, vcc_lo, v10, 7
	v_add3_u32 v23, v15, v23, v5
	v_add3_u32 v37, v15, v37, v5
	s_wait_alu 0xfffd
	v_add_co_ci_u32_e64 v5, null, 0, v11, vcc_lo
	v_mul_lo_u32 v61, s6, v7
	v_add_co_u32 v7, vcc_lo, v10, 6
	v_add3_u32 v21, v12, v21, v9
	v_add3_u32 v35, v12, v35, v9
	s_wait_alu 0xfffd
	v_add_co_ci_u32_e64 v12, null, 0, v11, vcc_lo
	v_mul_lo_u32 v8, s7, v4
	v_mul_lo_u32 v9, s6, v5
	v_mad_co_u64_u32 v[4:5], null, s6, v4, 0
	v_mad_co_u64_u32 v[24:25], null, s6, v13, s[8:9]
	v_mul_lo_u32 v17, s7, v13
	v_mul_lo_u32 v59, s6, v32
	v_mad_co_u64_u32 v[32:33], null, s6, v6, s[8:9]
	v_mul_lo_u32 v62, s7, v6
	v_mad_co_u64_u32 v[38:39], null, s6, v13, s[10:11]
	v_mad_co_u64_u32 v[46:47], null, s6, v6, s[10:11]
	v_mul_lo_u32 v13, s7, v7
	v_mul_lo_u32 v12, s6, v12
	v_mad_co_u64_u32 v[6:7], null, s6, v7, 0
	v_add3_u32 v5, v5, v9, v8
	v_add_co_u32 v8, vcc_lo, v10, 5
	v_mad_co_u64_u32 v[26:27], null, s6, v16, s[8:9]
	v_mul_lo_u32 v55, s6, v28
	v_mul_lo_u32 v56, s7, v16
	v_mad_co_u64_u32 v[40:41], null, s6, v16, s[10:11]
	s_wait_alu 0xfffd
	v_add_co_ci_u32_e64 v9, null, 0, v11, vcc_lo
	v_add3_u32 v7, v7, v12, v13
	v_mad_co_u64_u32 v[28:29], null, s6, v42, s[8:9]
	v_mul_lo_u32 v57, s6, v30
	v_mul_lo_u32 v58, s7, v42
	v_mad_co_u64_u32 v[42:43], null, s6, v42, s[10:11]
	v_lshlrev_b64_e32 v[4:5], 1, v[4:5]
	v_mad_co_u64_u32 v[30:31], null, s6, v44, s[8:9]
	v_mul_lo_u32 v60, s7, v44
	v_mad_co_u64_u32 v[44:45], null, s6, v44, s[10:11]
	v_mul_lo_u32 v12, s7, v8
	v_mul_lo_u32 v13, s6, v9
	v_mad_co_u64_u32 v[8:9], null, s6, v8, 0
	v_lshlrev_b64_e32 v[6:7], 1, v[6:7]
	v_add3_u32 v27, v56, v27, v55
	v_add3_u32 v41, v56, v41, v55
	v_add_co_u32 v55, vcc_lo, s8, v4
	v_add3_u32 v29, v58, v29, v57
	v_add3_u32 v43, v58, v43, v57
	s_wait_alu 0xfffd
	v_add_co_ci_u32_e64 v56, null, s9, v5, vcc_lo
	v_add_co_u32 v57, vcc_lo, s10, v4
	v_add3_u32 v31, v60, v31, v59
	v_add3_u32 v45, v60, v45, v59
	s_wait_alu 0xfffd
	v_add_co_ci_u32_e64 v58, null, s11, v5, vcc_lo
	v_add_co_u32 v59, vcc_lo, s8, v6
	v_mul_lo_u32 v14, s6, v14
	v_add3_u32 v9, v9, v13, v12
	s_wait_alu 0xfffd
	v_add_co_ci_u32_e64 v60, null, s9, v7, vcc_lo
	v_add_co_u32 v12, vcc_lo, v10, 4
	s_wait_kmcnt 0x0
	s_lshl_b32 s16, s2, 6
	v_add3_u32 v33, v62, v33, v61
	v_add3_u32 v47, v62, v47, v61
	v_add_co_u32 v61, s2, s10, v6
	s_wait_alu 0xfffd
	v_add_co_ci_u32_e64 v6, null, 0, v11, vcc_lo
	v_lshlrev_b64_e32 v[4:5], 1, v[8:9]
	v_add_co_u32 v8, vcc_lo, v10, 3
	s_wait_alu 0xfffd
	v_add_co_ci_u32_e64 v9, null, 0, v11, vcc_lo
	v_add3_u32 v25, v17, v25, v14
	v_add3_u32 v39, v17, v39, v14
	s_wait_alu 0xf1ff
	v_add_co_ci_u32_e64 v62, null, s11, v7, s2
	v_mul_lo_u32 v13, s7, v12
	v_mul_lo_u32 v14, s6, v6
	v_mad_co_u64_u32 v[6:7], null, s6, v12, 0
	v_mul_lo_u32 v12, s7, v8
	v_mul_lo_u32 v15, s6, v9
	v_mad_co_u64_u32 v[8:9], null, s6, v8, 0
	v_add_co_u32 v63, vcc_lo, s8, v4
	s_wait_alu 0xfffd
	v_add_co_ci_u32_e64 v64, null, s9, v5, vcc_lo
	v_add3_u32 v7, v7, v14, v13
	v_add_co_u32 v65, vcc_lo, s10, v4
	s_wait_alu 0xfffd
	v_add_co_ci_u32_e64 v66, null, s11, v5, vcc_lo
	v_add_co_u32 v10, vcc_lo, v10, 2
	v_add3_u32 v9, v9, v15, v12
	s_wait_alu 0xfffd
	v_add_co_ci_u32_e64 v11, null, 0, v11, vcc_lo
	v_lshlrev_b64_e32 v[4:5], 1, v[6:7]
	v_mul_lo_u32 v12, s7, v10
	v_lshlrev_b64_e32 v[6:7], 1, v[8:9]
	s_delay_alu instid0(VALU_DEP_4)
	v_mul_lo_u32 v11, s6, v11
	v_mad_co_u64_u32 v[8:9], null, s6, v10, 0
	v_add_co_u32 v67, vcc_lo, s8, v4
	s_wait_alu 0xfffd
	v_add_co_ci_u32_e64 v68, null, s9, v5, vcc_lo
	v_add_co_u32 v69, vcc_lo, s10, v4
	s_wait_alu 0xfffd
	v_add_co_ci_u32_e64 v70, null, s11, v5, vcc_lo
	;; [unrolled: 3-line block ×3, first 2 shown]
	v_add3_u32 v9, v9, v11, v12
	v_add_co_u32 v73, vcc_lo, s10, v6
	s_wait_alu 0xfffd
	v_add_co_ci_u32_e64 v74, null, s11, v7, vcc_lo
	v_add_co_u32 v2, vcc_lo, v2, s6
	s_wait_alu 0xfffd
	v_add_co_ci_u32_e64 v3, null, s7, v3, vcc_lo
	v_lshlrev_b64_e32 v[4:5], 1, v[8:9]
	s_wait_alu 0xfffe
	s_mul_u64 s[18:19], s[6:7], s[16:17]
	s_delay_alu instid0(VALU_DEP_2) | instskip(NEXT) | instid1(VALU_DEP_2)
	v_lshlrev_b64_e32 v[2:3], 1, v[2:3]
	v_add_co_u32 v75, vcc_lo, s8, v4
	s_wait_alu 0xfffd
	v_add_co_ci_u32_e64 v76, null, s9, v5, vcc_lo
	v_add_co_u32 v77, vcc_lo, s10, v4
	s_wait_alu 0xfffd
	v_add_co_ci_u32_e64 v78, null, s11, v5, vcc_lo
	;; [unrolled: 3-line block ×4, first 2 shown]
	s_add_nc_u64 s[8:9], s[0:1], 64
	s_wait_alu 0xfffe
	s_lshl_b64 s[10:11], s[18:19], 1
	s_add_nc_u64 s[18:19], s[14:15], 63
.LBB170_53:                             ; =>This Inner Loop Header: Depth=1
	s_wait_alu 0xfffe
	v_cmp_ge_i64_e64 s2, s[18:19], s[4:5]
	v_add_co_u32 v84, s20, v49, s18
	s_wait_alu 0xf1ff
	v_add_co_ci_u32_e64 v85, null, 0, s19, s20
                                        ; implicit-def: $vgpr86
	s_and_b32 vcc_lo, exec_lo, s2
	s_mov_b32 s2, -1
	s_wait_alu 0xfffe
	s_cbranch_vccz .LBB170_75
; %bb.54:                               ;   in Loop: Header=BB170_53 Depth=1
	s_load_b32 s2, s[8:9], 0xc
	v_mov_b32_e32 v87, 0
	s_wait_kmcnt 0x0
	s_and_b32 s2, s2, 0xffff
	s_wait_alu 0xfffe
	v_mad_u32_u24 v2, v48, s2, v50
	s_mov_b32 s2, exec_lo
	s_delay_alu instid0(VALU_DEP_1) | instskip(NEXT) | instid1(VALU_DEP_1)
	v_and_b32_e32 v2, 31, v2
	v_cmpx_gt_u32_e32 8, v2
	s_cbranch_execz .LBB170_58
; %bb.55:                               ;   in Loop: Header=BB170_53 Depth=1
	v_add_co_u32 v2, vcc_lo, v84, v2
	s_wait_alu 0xfffd
	v_add_co_ci_u32_e64 v3, null, 0, v85, vcc_lo
	v_mov_b32_e32 v87, 0
	s_delay_alu instid0(VALU_DEP_3) | instskip(SKIP_1) | instid1(VALU_DEP_3)
	v_add_co_u32 v2, vcc_lo, 0xffffffc1, v2
	s_wait_alu 0xfffd
	v_add_co_ci_u32_e64 v3, null, -1, v3, vcc_lo
	s_mov_b32 s20, exec_lo
	v_cmpx_gt_i64_e64 s[4:5], v[2:3]
	s_cbranch_execz .LBB170_57
; %bb.56:                               ;   in Loop: Header=BB170_53 Depth=1
	v_lshlrev_b64_e32 v[2:3], 2, v[2:3]
	s_delay_alu instid0(VALU_DEP_1) | instskip(SKIP_1) | instid1(VALU_DEP_2)
	v_add_co_u32 v2, vcc_lo, s12, v2
	s_wait_alu 0xfffd
	v_add_co_ci_u32_e64 v3, null, s13, v3, vcc_lo
	global_load_b32 v87, v[2:3], off
.LBB170_57:                             ;   in Loop: Header=BB170_53 Depth=1
	s_wait_alu 0xfffe
	s_or_b32 exec_lo, exec_lo, s20
.LBB170_58:                             ;   in Loop: Header=BB170_53 Depth=1
	s_wait_alu 0xfffe
	s_or_b32 exec_lo, exec_lo, s2
	v_add_co_u32 v9, vcc_lo, 0xffffffc1, v84
	s_wait_alu 0xfffd
	v_add_co_ci_u32_e64 v10, null, -1, v85, vcc_lo
	v_mov_b32_e32 v8, v1
	v_dual_mov_b32 v2, v1 :: v_dual_mov_b32 v3, v1
	v_dual_mov_b32 v4, v1 :: v_dual_mov_b32 v5, v1
	;; [unrolled: 1-line block ×3, first 2 shown]
	v_cmp_gt_i64_e32 vcc_lo, s[4:5], v[9:10]
	s_delay_alu instid0(VALU_DEP_3) | instskip(NEXT) | instid1(VALU_DEP_3)
	v_dual_mov_b32 v17, v8 :: v_dual_mov_b32 v14, v5
	v_dual_mov_b32 v15, v6 :: v_dual_mov_b32 v16, v7
	;; [unrolled: 1-line block ×4, first 2 shown]
	v_mov_b32_e32 v9, v8
	v_mov_b32_e32 v8, v7
	;; [unrolled: 1-line block ×8, first 2 shown]
	s_and_saveexec_b32 s2, vcc_lo
	s_cbranch_execz .LBB170_60
; %bb.59:                               ;   in Loop: Header=BB170_53 Depth=1
	v_add_co_u32 v2, vcc_lo, v51, v18
	s_wait_alu 0xfffd
	v_add_co_ci_u32_e64 v3, null, v52, v19, vcc_lo
	v_add_co_u32 v4, vcc_lo, v53, v18
	s_wait_alu 0xfffd
	v_add_co_ci_u32_e64 v5, null, v54, v19, vcc_lo
	global_load_u16 v2, v[2:3], off
	global_load_u16 v10, v[4:5], off
	v_dual_mov_b32 v3, v1 :: v_dual_mov_b32 v4, v1
	v_dual_mov_b32 v5, v1 :: v_dual_mov_b32 v6, v1
	;; [unrolled: 1-line block ×6, first 2 shown]
	v_mov_b32_e32 v15, v1
	v_mov_b32_e32 v17, v1
	s_wait_loadcnt 0x1
	v_cvt_f32_f16_e32 v2, v2
	s_wait_loadcnt 0x0
	v_cvt_f32_f16_e32 v10, v10
.LBB170_60:                             ;   in Loop: Header=BB170_53 Depth=1
	s_wait_alu 0xfffe
	s_or_b32 exec_lo, exec_lo, s2
	v_add_co_u32 v88, vcc_lo, 0xffffffc2, v84
	s_wait_alu 0xfffd
	v_add_co_ci_u32_e64 v89, null, -1, v85, vcc_lo
	s_mov_b32 s2, exec_lo
	v_cmpx_gt_i64_e64 s[4:5], v[88:89]
	s_cbranch_execz .LBB170_62
; %bb.61:                               ;   in Loop: Header=BB170_53 Depth=1
	v_add_co_u32 v88, vcc_lo, v79, v18
	s_wait_alu 0xfffd
	v_add_co_ci_u32_e64 v89, null, v80, v19, vcc_lo
	v_add_co_u32 v90, vcc_lo, v81, v18
	s_wait_alu 0xfffd
	v_add_co_ci_u32_e64 v91, null, v82, v19, vcc_lo
	global_load_u16 v3, v[88:89], off
	global_load_u16 v11, v[90:91], off
	s_wait_loadcnt 0x1
	v_cvt_f32_f16_e32 v3, v3
	s_wait_loadcnt 0x0
	v_cvt_f32_f16_e32 v11, v11
.LBB170_62:                             ;   in Loop: Header=BB170_53 Depth=1
	s_wait_alu 0xfffe
	s_or_b32 exec_lo, exec_lo, s2
	v_add_co_u32 v88, vcc_lo, 0xffffffc3, v84
	s_wait_alu 0xfffd
	v_add_co_ci_u32_e64 v89, null, -1, v85, vcc_lo
	s_mov_b32 s2, exec_lo
	v_cmpx_gt_i64_e64 s[4:5], v[88:89]
	s_cbranch_execz .LBB170_64
; %bb.63:                               ;   in Loop: Header=BB170_53 Depth=1
	v_add_co_u32 v88, vcc_lo, v75, v18
	s_wait_alu 0xfffd
	v_add_co_ci_u32_e64 v89, null, v76, v19, vcc_lo
	v_add_co_u32 v90, vcc_lo, v77, v18
	s_wait_alu 0xfffd
	v_add_co_ci_u32_e64 v91, null, v78, v19, vcc_lo
	global_load_u16 v4, v[88:89], off
	global_load_u16 v12, v[90:91], off
	s_wait_loadcnt 0x1
	v_cvt_f32_f16_e32 v4, v4
	s_wait_loadcnt 0x0
	v_cvt_f32_f16_e32 v12, v12
.LBB170_64:                             ;   in Loop: Header=BB170_53 Depth=1
	;; [unrolled: 22-line block ×7, first 2 shown]
	s_wait_alu 0xfffe
	s_or_b32 exec_lo, exec_lo, s2
	s_wait_loadcnt 0x0
	ds_bpermute_b32 v86, v1, v87
	ds_bpermute_b32 v88, v1, v87 offset:4
	ds_bpermute_b32 v89, v1, v87 offset:8
	v_dual_mul_f32 v2, v10, v2 :: v_dual_mul_f32 v3, v11, v3
	ds_bpermute_b32 v10, v1, v87 offset:12
	ds_bpermute_b32 v11, v1, v87 offset:16
	s_mov_b32 s2, 0
	s_wait_dscnt 0x4
	v_fma_f32 v86, v2, v86, v83
	v_mul_f32_e32 v2, v12, v4
	ds_bpermute_b32 v4, v1, v87 offset:20
	s_wait_dscnt 0x4
	v_dual_fmac_f32 v86, v3, v88 :: v_dual_mul_f32 v3, v13, v5
	ds_bpermute_b32 v5, v1, v87 offset:24
	s_wait_dscnt 0x4
	v_fmac_f32_e32 v86, v2, v89
	v_mul_f32_e32 v2, v14, v6
	v_mul_f32_e32 v6, v15, v7
	s_wait_dscnt 0x3
	s_delay_alu instid0(VALU_DEP_3)
	v_fmac_f32_e32 v86, v3, v10
	ds_bpermute_b32 v3, v1, v87 offset:28
	s_wait_dscnt 0x3
	v_fmac_f32_e32 v86, v2, v11
	v_mul_f32_e32 v2, v16, v8
	s_wait_dscnt 0x2
	s_delay_alu instid0(VALU_DEP_2) | instskip(SKIP_1) | instid1(VALU_DEP_1)
	v_fmac_f32_e32 v86, v6, v4
	s_wait_dscnt 0x1
	v_fmac_f32_e32 v86, v2, v5
	v_mul_f32_e32 v2, v17, v9
	s_wait_dscnt 0x0
	s_delay_alu instid0(VALU_DEP_1)
	v_fmac_f32_e32 v86, v2, v3
.LBB170_75:                             ;   in Loop: Header=BB170_53 Depth=1
	s_wait_alu 0xfffe
	s_and_b32 vcc_lo, exec_lo, s2
	s_wait_alu 0xfffe
	s_cbranch_vccz .LBB170_81
; %bb.76:                               ;   in Loop: Header=BB170_53 Depth=1
	s_load_b32 s2, s[8:9], 0x0
	v_mov_b32_e32 v4, 0
	s_wait_kmcnt 0x0
	s_cmp_lt_u32 ttmp9, s2
	s_cselect_b32 s2, 12, 18
	s_wait_alu 0xfffe
	s_add_nc_u64 s[20:21], s[8:9], s[2:3]
	s_load_u16 s2, s[20:21], 0x0
	s_wait_kmcnt 0x0
	v_mad_u32_u24 v2, v48, s2, v50
	s_mov_b32 s2, exec_lo
	s_delay_alu instid0(VALU_DEP_1) | instskip(NEXT) | instid1(VALU_DEP_1)
	v_and_b32_e32 v2, 31, v2
	v_cmpx_gt_u32_e32 8, v2
	s_cbranch_execz .LBB170_80
; %bb.77:                               ;   in Loop: Header=BB170_53 Depth=1
	v_add_co_u32 v2, vcc_lo, v84, v2
	s_wait_alu 0xfffd
	v_add_co_ci_u32_e64 v3, null, 0, v85, vcc_lo
	v_mov_b32_e32 v4, 0
	s_delay_alu instid0(VALU_DEP_3) | instskip(SKIP_1) | instid1(VALU_DEP_3)
	v_add_co_u32 v2, vcc_lo, 0xffffffc1, v2
	s_wait_alu 0xfffd
	v_add_co_ci_u32_e64 v3, null, -1, v3, vcc_lo
	s_mov_b32 s20, exec_lo
	v_cmpx_gt_i64_e64 s[4:5], v[2:3]
	s_cbranch_execz .LBB170_79
; %bb.78:                               ;   in Loop: Header=BB170_53 Depth=1
	v_lshlrev_b64_e32 v[2:3], 2, v[2:3]
	s_delay_alu instid0(VALU_DEP_1) | instskip(SKIP_1) | instid1(VALU_DEP_2)
	v_add_co_u32 v2, vcc_lo, s12, v2
	s_wait_alu 0xfffd
	v_add_co_ci_u32_e64 v3, null, s13, v3, vcc_lo
	global_load_b32 v4, v[2:3], off
.LBB170_79:                             ;   in Loop: Header=BB170_53 Depth=1
	s_wait_alu 0xfffe
	s_or_b32 exec_lo, exec_lo, s20
.LBB170_80:                             ;   in Loop: Header=BB170_53 Depth=1
	s_wait_alu 0xfffe
	s_or_b32 exec_lo, exec_lo, s2
	v_add_co_u32 v2, vcc_lo, v51, v18
	s_wait_alu 0xfffd
	v_add_co_ci_u32_e64 v3, null, v52, v19, vcc_lo
	v_add_co_u32 v5, vcc_lo, v53, v18
	s_wait_alu 0xfffd
	v_add_co_ci_u32_e64 v6, null, v54, v19, vcc_lo
	;; [unrolled: 3-line block ×5, first 2 shown]
	global_load_u16 v13, v[2:3], off
	global_load_u16 v14, v[5:6], off
	;; [unrolled: 1-line block ×5, first 2 shown]
	v_add_co_u32 v2, vcc_lo, v36, v18
	s_wait_alu 0xfffd
	v_add_co_ci_u32_e64 v3, null, v37, v19, vcc_lo
	v_add_co_u32 v5, vcc_lo, v24, v18
	s_wait_alu 0xfffd
	v_add_co_ci_u32_e64 v6, null, v25, v19, vcc_lo
	;; [unrolled: 3-line block ×5, first 2 shown]
	global_load_u16 v84, v[2:3], off
	global_load_u16 v85, v[5:6], off
	;; [unrolled: 1-line block ×5, first 2 shown]
	v_add_co_u32 v2, vcc_lo, v28, v18
	s_wait_alu 0xfffd
	v_add_co_ci_u32_e64 v3, null, v29, v19, vcc_lo
	v_add_co_u32 v5, vcc_lo, v42, v18
	s_wait_alu 0xfffd
	v_add_co_ci_u32_e64 v6, null, v43, v19, vcc_lo
	;; [unrolled: 3-line block ×4, first 2 shown]
	global_load_u16 v12, v[2:3], off
	global_load_u16 v88, v[5:6], off
	;; [unrolled: 1-line block ×4, first 2 shown]
	v_add_co_u32 v2, vcc_lo, v32, v18
	s_wait_alu 0xfffd
	v_add_co_ci_u32_e64 v3, null, v33, v19, vcc_lo
	v_add_co_u32 v5, vcc_lo, v46, v18
	s_wait_alu 0xfffd
	v_add_co_ci_u32_e64 v6, null, v47, v19, vcc_lo
	global_load_u16 v2, v[2:3], off
	global_load_u16 v3, v[5:6], off
	s_wait_loadcnt 0x10
	ds_bpermute_b32 v5, v1, v4
	ds_bpermute_b32 v6, v1, v4 offset:4
	ds_bpermute_b32 v9, v1, v4 offset:8
	s_wait_loadcnt 0xf
	v_cvt_f32_f16_e32 v10, v13
	s_wait_loadcnt 0xe
	v_cvt_f32_f16_e32 v13, v14
	ds_bpermute_b32 v14, v1, v4 offset:12
	s_wait_loadcnt 0xd
	v_cvt_f32_f16_e32 v15, v15
	s_wait_loadcnt 0xc
	v_cvt_f32_f16_e32 v16, v16
	;; [unrolled: 2-line block ×3, first 2 shown]
	v_mul_f32_e32 v10, v10, v13
	ds_bpermute_b32 v13, v1, v4 offset:16
	v_mul_f32_e32 v15, v15, v16
	s_wait_dscnt 0x4
	v_fmac_f32_e32 v83, v10, v5
	ds_bpermute_b32 v5, v1, v4 offset:20
	s_wait_loadcnt 0xa
	v_cvt_f32_f16_e32 v84, v84
	s_wait_loadcnt 0x9
	v_cvt_f32_f16_e32 v10, v85
	;; [unrolled: 2-line block ×3, first 2 shown]
	s_wait_dscnt 0x4
	v_fmac_f32_e32 v83, v15, v6
	ds_bpermute_b32 v6, v1, v4 offset:24
	s_wait_loadcnt 0x7
	v_cvt_f32_f16_e32 v15, v87
	s_wait_loadcnt 0x6
	v_cvt_f32_f16_e32 v11, v11
	v_mul_f32_e32 v10, v10, v16
	ds_bpermute_b32 v4, v1, v4 offset:28
	v_mul_f32_e32 v11, v15, v11
	s_wait_loadcnt 0x3
	v_cvt_f32_f16_e32 v7, v7
	s_wait_loadcnt 0x2
	v_cvt_f32_f16_e32 v8, v8
	s_delay_alu instid0(VALU_DEP_1) | instskip(SKIP_4) | instid1(VALU_DEP_1)
	v_mul_f32_e32 v7, v7, v8
	s_wait_loadcnt 0x1
	v_cvt_f32_f16_e32 v2, v2
	s_wait_loadcnt 0x0
	v_cvt_f32_f16_e32 v3, v3
	v_dual_mul_f32 v17, v17, v84 :: v_dual_mul_f32 v2, v2, v3
	s_wait_dscnt 0x5
	s_delay_alu instid0(VALU_DEP_1) | instskip(SKIP_3) | instid1(VALU_DEP_3)
	v_fmac_f32_e32 v83, v17, v9
	v_cvt_f32_f16_e32 v9, v12
	v_cvt_f32_f16_e32 v12, v88
	s_wait_dscnt 0x4
	v_fmac_f32_e32 v83, v10, v14
	s_delay_alu instid0(VALU_DEP_2) | instskip(SKIP_1) | instid1(VALU_DEP_2)
	v_mul_f32_e32 v9, v9, v12
	s_wait_dscnt 0x3
	v_fmac_f32_e32 v83, v11, v13
	s_wait_dscnt 0x2
	s_delay_alu instid0(VALU_DEP_1) | instskip(SKIP_1) | instid1(VALU_DEP_1)
	v_fmac_f32_e32 v83, v9, v5
	s_wait_dscnt 0x1
	v_fmac_f32_e32 v83, v7, v6
	s_wait_dscnt 0x0
	s_delay_alu instid0(VALU_DEP_1) | instskip(NEXT) | instid1(VALU_DEP_1)
	v_fmac_f32_e32 v83, v2, v4
	v_mov_b32_e32 v86, v83
.LBB170_81:                             ;   in Loop: Header=BB170_53 Depth=1
	v_add_co_u32 v51, vcc_lo, v51, s10
	s_wait_alu 0xfffd
	v_add_co_ci_u32_e64 v52, null, s11, v52, vcc_lo
	v_add_co_u32 v53, vcc_lo, v53, s10
	s_wait_alu 0xfffd
	v_add_co_ci_u32_e64 v54, null, s11, v54, vcc_lo
	;; [unrolled: 3-line block ×27, first 2 shown]
	v_add_co_u32 v77, vcc_lo, v77, s10
	s_add_nc_u64 s[14:15], s[14:15], s[16:17]
	s_wait_alu 0xfffd
	v_add_co_ci_u32_e64 v78, null, s11, v78, vcc_lo
	v_add_co_u32 v79, vcc_lo, v79, s10
	s_wait_alu 0xfffe
	v_cmp_ge_i64_e64 s2, s[14:15], s[4:5]
	s_wait_alu 0xfffd
	v_add_co_ci_u32_e64 v80, null, s11, v80, vcc_lo
	v_add_co_u32 v81, vcc_lo, v81, s10
	s_wait_alu 0xfffd
	v_add_co_ci_u32_e64 v82, null, s11, v82, vcc_lo
	s_and_b32 vcc_lo, exec_lo, s2
	s_add_nc_u64 s[18:19], s[18:19], s[16:17]
	s_wait_alu 0xfffe
	s_cbranch_vccnz .LBB170_83
; %bb.82:                               ;   in Loop: Header=BB170_53 Depth=1
	v_mov_b32_e32 v83, v86
	s_branch .LBB170_53
.LBB170_83:
	v_and_b32_e32 v8, 0x3ff, v0
	v_bfe_u32 v0, v0, 10, 10
	v_mov_b32_e32 v4, 0
	s_mov_b32 s2, exec_lo
	s_delay_alu instid0(VALU_DEP_2) | instskip(NEXT) | instid1(VALU_DEP_1)
	v_mad_u32_u24 v1, 0x41, v0, v8
	v_lshl_add_u32 v2, v1, 2, 0
	v_sub_nc_u32_e32 v3, v1, v0
	ds_store_b32 v2, v86
	ds_store_b32 v2, v4 offset:2080
	s_wait_dscnt 0x0
	s_barrier_signal -1
	s_barrier_wait -1
	global_inv scope:SCOPE_SE
	v_cmpx_gt_u32_e32 0x800, v3
	s_cbranch_execz .LBB170_103
; %bb.84:
	s_load_b64 s[2:3], s[0:1], 0x30
	v_and_b32_e32 v0, 31, v8
	v_lshrrev_b32_e32 v2, 5, v3
	s_delay_alu instid0(VALU_DEP_2)
	v_cmp_gt_u32_e32 vcc_lo, 8, v0
	v_mul_u32_u24_e32 v4, 0x41, v0
                                        ; implicit-def: $vgpr0
	s_and_saveexec_b32 s0, vcc_lo
	s_cbranch_execz .LBB170_86
; %bb.85:
	v_lshlrev_b32_e32 v0, 2, v2
	s_delay_alu instid0(VALU_DEP_2) | instskip(NEXT) | instid1(VALU_DEP_1)
	v_lshlrev_b32_e32 v1, 2, v4
	v_add3_u32 v0, 0, v0, v1
	ds_load_b32 v0, v0
.LBB170_86:
	s_or_b32 exec_lo, exec_lo, s0
	v_mbcnt_lo_u32_b32 v1, -1, 0
	s_mov_b32 s4, ttmp9
	s_mov_b32 s5, 0
	s_wait_alu 0xfffe
	s_lshl_b64 s[4:5], s[4:5], 6
	v_xor_b32_e32 v5, 4, v1
	v_xor_b32_e32 v6, 2, v1
	;; [unrolled: 1-line block ×3, first 2 shown]
	s_wait_kmcnt 0x0
	s_cmp_eq_u64 s[2:3], 0
	s_cselect_b32 s8, -1, 0
	v_cmp_gt_i32_e64 s0, 32, v5
	s_delay_alu instid0(VALU_DEP_1) | instskip(SKIP_1) | instid1(VALU_DEP_2)
	v_cndmask_b32_e64 v5, v1, v5, s0
	v_cmp_gt_i32_e64 s0, 32, v6
	v_lshlrev_b32_e32 v5, 2, v5
	s_wait_alu 0xf1ff
	s_delay_alu instid0(VALU_DEP_2)
	v_cndmask_b32_e64 v6, v1, v6, s0
	v_cmp_gt_i32_e64 s0, 32, v9
	s_wait_dscnt 0x0
	ds_bpermute_b32 v7, v5, v0
	s_wait_alu 0xf1ff
	v_cndmask_b32_e64 v1, v1, v9, s0
	v_cmp_ne_u32_e64 s0, 0, v8
	s_wait_dscnt 0x0
	v_add_f32_e32 v0, v0, v7
	v_lshlrev_b32_e32 v6, 2, v6
	ds_bpermute_b32 v7, v6, v0
	s_wait_dscnt 0x0
	v_add_f32_e32 v9, v0, v7
	v_lshlrev_b32_e32 v7, 2, v1
	s_wait_alu 0xfffe
	v_or_b32_e32 v0, s4, v2
	v_mov_b32_e32 v1, s5
	ds_bpermute_b32 v10, v7, v9
	v_cmp_le_i64_e64 s1, s[6:7], v[0:1]
	s_or_b32 s1, s0, s1
	s_wait_alu 0xfffe
	s_nor_b32 s1, s8, s1
	s_wait_dscnt 0x0
	v_add_f32_e32 v8, v9, v10
	s_wait_alu 0xfffe
	s_and_saveexec_b32 s9, s1
	s_cbranch_execz .LBB170_88
; %bb.87:
	v_lshlrev_b64_e32 v[0:1], 1, v[0:1]
	v_cvt_f16_f32_e32 v9, v8
	s_delay_alu instid0(VALU_DEP_2) | instskip(SKIP_1) | instid1(VALU_DEP_3)
	v_add_co_u32 v0, s1, s2, v0
	s_wait_alu 0xf1ff
	v_add_co_ci_u32_e64 v1, null, s3, v1, s1
	global_store_b16 v[0:1], v9, off
.LBB170_88:
	s_wait_alu 0xfffe
	s_or_b32 exec_lo, exec_lo, s9
	v_cmp_gt_u32_e64 s1, 0x600, v3
	s_and_b32 exec_lo, exec_lo, s1
	s_cbranch_execz .LBB170_103
; %bb.89:
	s_and_saveexec_b32 s1, vcc_lo
	s_cbranch_execz .LBB170_91
; %bb.90:
	v_lshlrev_b32_e32 v0, 2, v2
	v_lshlrev_b32_e32 v1, 2, v4
	s_delay_alu instid0(VALU_DEP_1)
	v_add3_u32 v0, 0, v0, v1
	ds_load_b32 v8, v0 offset:64
.LBB170_91:
	s_wait_alu 0xfffe
	s_or_b32 exec_lo, exec_lo, s1
	s_wait_dscnt 0x0
	ds_bpermute_b32 v0, v5, v8
	s_wait_dscnt 0x0
	v_add_f32_e32 v0, v8, v0
	ds_bpermute_b32 v1, v6, v0
	s_wait_dscnt 0x0
	v_add_f32_e32 v8, v0, v1
	v_add_nc_u32_e32 v0, 16, v2
	ds_bpermute_b32 v9, v7, v8
	v_add_co_u32 v0, s1, s4, v0
	s_wait_alu 0xf1ff
	v_add_co_ci_u32_e64 v1, null, s5, 0, s1
	s_delay_alu instid0(VALU_DEP_1)
	v_cmp_le_i64_e64 s1, s[6:7], v[0:1]
	s_or_b32 s1, s0, s1
	s_wait_alu 0xfffe
	s_nor_b32 s1, s8, s1
	s_wait_dscnt 0x0
	v_add_f32_e32 v0, v8, v9
	s_wait_alu 0xfffe
	s_and_saveexec_b32 s9, s1
	s_cbranch_execz .LBB170_93
; %bb.92:
	v_add_co_u32 v8, s1, s4, v2
	s_wait_alu 0xf1ff
	v_add_co_ci_u32_e64 v9, null, s5, 0, s1
	v_cvt_f16_f32_e32 v1, v0
	s_delay_alu instid0(VALU_DEP_2) | instskip(NEXT) | instid1(VALU_DEP_1)
	v_lshlrev_b64_e32 v[8:9], 1, v[8:9]
	v_add_co_u32 v8, s1, s2, v8
	s_wait_alu 0xf1ff
	s_delay_alu instid0(VALU_DEP_2)
	v_add_co_ci_u32_e64 v9, null, s3, v9, s1
	global_store_b16 v[8:9], v1, off offset:32
.LBB170_93:
	s_wait_alu 0xfffe
	s_or_b32 exec_lo, exec_lo, s9
	v_cmp_gt_u32_e64 s1, 0x400, v3
	s_and_b32 exec_lo, exec_lo, s1
	s_cbranch_execz .LBB170_103
; %bb.94:
	s_and_saveexec_b32 s1, vcc_lo
	s_cbranch_execz .LBB170_96
; %bb.95:
	v_lshlrev_b32_e32 v0, 2, v2
	v_lshlrev_b32_e32 v1, 2, v4
	s_delay_alu instid0(VALU_DEP_1)
	v_add3_u32 v0, 0, v0, v1
	ds_load_b32 v0, v0 offset:128
.LBB170_96:
	s_wait_alu 0xfffe
	s_or_b32 exec_lo, exec_lo, s1
	s_wait_dscnt 0x0
	ds_bpermute_b32 v1, v5, v0
	s_wait_dscnt 0x0
	v_add_f32_e32 v0, v0, v1
	ds_bpermute_b32 v1, v6, v0
	s_wait_dscnt 0x0
	v_add_f32_e32 v8, v0, v1
	v_dual_mov_b32 v1, s5 :: v_dual_add_nc_u32 v0, 32, v2
	ds_bpermute_b32 v9, v7, v8
	v_or_b32_e32 v0, s4, v0
	s_delay_alu instid0(VALU_DEP_1)
	v_cmp_le_i64_e64 s1, s[6:7], v[0:1]
	s_or_b32 s1, s0, s1
	s_wait_alu 0xfffe
	s_nor_b32 s1, s8, s1
	s_wait_dscnt 0x0
	v_add_f32_e32 v0, v8, v9
	s_wait_alu 0xfffe
	s_and_saveexec_b32 s9, s1
	s_cbranch_execz .LBB170_98
; %bb.97:
	v_add_co_u32 v8, s1, s4, v2
	s_wait_alu 0xf1ff
	v_add_co_ci_u32_e64 v9, null, s5, 0, s1
	v_cvt_f16_f32_e32 v1, v0
	s_delay_alu instid0(VALU_DEP_2) | instskip(NEXT) | instid1(VALU_DEP_1)
	v_lshlrev_b64_e32 v[8:9], 1, v[8:9]
	v_add_co_u32 v8, s1, s2, v8
	s_wait_alu 0xf1ff
	s_delay_alu instid0(VALU_DEP_2)
	v_add_co_ci_u32_e64 v9, null, s3, v9, s1
	global_store_b16 v[8:9], v1, off offset:64
.LBB170_98:
	s_wait_alu 0xfffe
	s_or_b32 exec_lo, exec_lo, s9
	v_cmp_gt_u32_e64 s1, 0x200, v3
	s_and_b32 exec_lo, exec_lo, s1
	s_cbranch_execz .LBB170_103
; %bb.99:
	s_and_saveexec_b32 s1, vcc_lo
	s_cbranch_execz .LBB170_101
; %bb.100:
	v_lshlrev_b32_e32 v0, 2, v2
	v_lshlrev_b32_e32 v1, 2, v4
	s_delay_alu instid0(VALU_DEP_1)
	v_add3_u32 v0, 0, v0, v1
	ds_load_b32 v0, v0 offset:192
.LBB170_101:
	s_wait_alu 0xfffe
	s_or_b32 exec_lo, exec_lo, s1
	s_wait_dscnt 0x0
	ds_bpermute_b32 v1, v5, v0
	v_dual_mov_b32 v4, s5 :: v_dual_add_nc_u32 v3, 48, v2
	s_delay_alu instid0(VALU_DEP_1) | instskip(NEXT) | instid1(VALU_DEP_1)
	v_or_b32_e32 v3, s4, v3
	v_cmp_le_i64_e32 vcc_lo, s[6:7], v[3:4]
	s_or_b32 s0, s0, vcc_lo
	s_wait_dscnt 0x0
	v_add_f32_e32 v0, v0, v1
	s_wait_alu 0xfffe
	s_nor_b32 s0, s8, s0
	ds_bpermute_b32 v1, v6, v0
	s_wait_dscnt 0x0
	v_add_f32_e32 v0, v0, v1
	ds_bpermute_b32 v1, v7, v0
	s_wait_alu 0xfffe
	s_and_saveexec_b32 s1, s0
	s_wait_alu 0xfffe
	s_xor_b32 s1, exec_lo, s1
	s_cbranch_execz .LBB170_103
; %bb.102:
	v_add_co_u32 v2, s0, s4, v2
	s_wait_alu 0xf1ff
	v_add_co_ci_u32_e64 v3, null, s5, 0, s0
	s_wait_dscnt 0x0
	v_add_f32_e32 v4, v0, v1
	s_delay_alu instid0(VALU_DEP_2) | instskip(NEXT) | instid1(VALU_DEP_1)
	v_lshlrev_b64_e32 v[2:3], 1, v[2:3]
	v_add_co_u32 v0, vcc_lo, s2, v2
	s_wait_alu 0xfffd
	s_delay_alu instid0(VALU_DEP_2)
	v_add_co_ci_u32_e64 v1, null, s3, v3, vcc_lo
	v_cvt_f16_f32_e32 v2, v4
	global_store_b16 v[0:1], v2, off offset:96
.LBB170_103:
	s_endpgm
	.section	.rodata,"a",@progbits
	.p2align	6, 0x0
	.amdhsa_kernel _ZN2at6native12_GLOBAL__N_135GammaBetaBackwardCUDAKernelTemplateIN3c104HalfEfLj64ELj8ELj64ELb0ELb0ELb1EEEvllPKT_S7_PKT0_SA_PS5_SB_
		.amdhsa_group_segment_fixed_size 0
		.amdhsa_private_segment_fixed_size 0
		.amdhsa_kernarg_size 320
		.amdhsa_user_sgpr_count 2
		.amdhsa_user_sgpr_dispatch_ptr 0
		.amdhsa_user_sgpr_queue_ptr 0
		.amdhsa_user_sgpr_kernarg_segment_ptr 1
		.amdhsa_user_sgpr_dispatch_id 0
		.amdhsa_user_sgpr_private_segment_size 0
		.amdhsa_wavefront_size32 1
		.amdhsa_uses_dynamic_stack 0
		.amdhsa_enable_private_segment 0
		.amdhsa_system_sgpr_workgroup_id_x 1
		.amdhsa_system_sgpr_workgroup_id_y 1
		.amdhsa_system_sgpr_workgroup_id_z 0
		.amdhsa_system_sgpr_workgroup_info 0
		.amdhsa_system_vgpr_workitem_id 1
		.amdhsa_next_free_vgpr 92
		.amdhsa_next_free_sgpr 32
		.amdhsa_reserve_vcc 1
		.amdhsa_float_round_mode_32 0
		.amdhsa_float_round_mode_16_64 0
		.amdhsa_float_denorm_mode_32 3
		.amdhsa_float_denorm_mode_16_64 3
		.amdhsa_fp16_overflow 0
		.amdhsa_workgroup_processor_mode 1
		.amdhsa_memory_ordered 1
		.amdhsa_forward_progress 1
		.amdhsa_inst_pref_size 80
		.amdhsa_round_robin_scheduling 0
		.amdhsa_exception_fp_ieee_invalid_op 0
		.amdhsa_exception_fp_denorm_src 0
		.amdhsa_exception_fp_ieee_div_zero 0
		.amdhsa_exception_fp_ieee_overflow 0
		.amdhsa_exception_fp_ieee_underflow 0
		.amdhsa_exception_fp_ieee_inexact 0
		.amdhsa_exception_int_div_zero 0
	.end_amdhsa_kernel
	.section	.text._ZN2at6native12_GLOBAL__N_135GammaBetaBackwardCUDAKernelTemplateIN3c104HalfEfLj64ELj8ELj64ELb0ELb0ELb1EEEvllPKT_S7_PKT0_SA_PS5_SB_,"axG",@progbits,_ZN2at6native12_GLOBAL__N_135GammaBetaBackwardCUDAKernelTemplateIN3c104HalfEfLj64ELj8ELj64ELb0ELb0ELb1EEEvllPKT_S7_PKT0_SA_PS5_SB_,comdat
.Lfunc_end170:
	.size	_ZN2at6native12_GLOBAL__N_135GammaBetaBackwardCUDAKernelTemplateIN3c104HalfEfLj64ELj8ELj64ELb0ELb0ELb1EEEvllPKT_S7_PKT0_SA_PS5_SB_, .Lfunc_end170-_ZN2at6native12_GLOBAL__N_135GammaBetaBackwardCUDAKernelTemplateIN3c104HalfEfLj64ELj8ELj64ELb0ELb0ELb1EEEvllPKT_S7_PKT0_SA_PS5_SB_
                                        ; -- End function
	.set _ZN2at6native12_GLOBAL__N_135GammaBetaBackwardCUDAKernelTemplateIN3c104HalfEfLj64ELj8ELj64ELb0ELb0ELb1EEEvllPKT_S7_PKT0_SA_PS5_SB_.num_vgpr, 92
	.set _ZN2at6native12_GLOBAL__N_135GammaBetaBackwardCUDAKernelTemplateIN3c104HalfEfLj64ELj8ELj64ELb0ELb0ELb1EEEvllPKT_S7_PKT0_SA_PS5_SB_.num_agpr, 0
	.set _ZN2at6native12_GLOBAL__N_135GammaBetaBackwardCUDAKernelTemplateIN3c104HalfEfLj64ELj8ELj64ELb0ELb0ELb1EEEvllPKT_S7_PKT0_SA_PS5_SB_.numbered_sgpr, 32
	.set _ZN2at6native12_GLOBAL__N_135GammaBetaBackwardCUDAKernelTemplateIN3c104HalfEfLj64ELj8ELj64ELb0ELb0ELb1EEEvllPKT_S7_PKT0_SA_PS5_SB_.num_named_barrier, 0
	.set _ZN2at6native12_GLOBAL__N_135GammaBetaBackwardCUDAKernelTemplateIN3c104HalfEfLj64ELj8ELj64ELb0ELb0ELb1EEEvllPKT_S7_PKT0_SA_PS5_SB_.private_seg_size, 0
	.set _ZN2at6native12_GLOBAL__N_135GammaBetaBackwardCUDAKernelTemplateIN3c104HalfEfLj64ELj8ELj64ELb0ELb0ELb1EEEvllPKT_S7_PKT0_SA_PS5_SB_.uses_vcc, 1
	.set _ZN2at6native12_GLOBAL__N_135GammaBetaBackwardCUDAKernelTemplateIN3c104HalfEfLj64ELj8ELj64ELb0ELb0ELb1EEEvllPKT_S7_PKT0_SA_PS5_SB_.uses_flat_scratch, 0
	.set _ZN2at6native12_GLOBAL__N_135GammaBetaBackwardCUDAKernelTemplateIN3c104HalfEfLj64ELj8ELj64ELb0ELb0ELb1EEEvllPKT_S7_PKT0_SA_PS5_SB_.has_dyn_sized_stack, 0
	.set _ZN2at6native12_GLOBAL__N_135GammaBetaBackwardCUDAKernelTemplateIN3c104HalfEfLj64ELj8ELj64ELb0ELb0ELb1EEEvllPKT_S7_PKT0_SA_PS5_SB_.has_recursion, 0
	.set _ZN2at6native12_GLOBAL__N_135GammaBetaBackwardCUDAKernelTemplateIN3c104HalfEfLj64ELj8ELj64ELb0ELb0ELb1EEEvllPKT_S7_PKT0_SA_PS5_SB_.has_indirect_call, 0
	.section	.AMDGPU.csdata,"",@progbits
; Kernel info:
; codeLenInByte = 10196
; TotalNumSgprs: 34
; NumVgprs: 92
; ScratchSize: 0
; MemoryBound: 0
; FloatMode: 240
; IeeeMode: 1
; LDSByteSize: 0 bytes/workgroup (compile time only)
; SGPRBlocks: 0
; VGPRBlocks: 11
; NumSGPRsForWavesPerEU: 34
; NumVGPRsForWavesPerEU: 92
; Occupancy: 16
; WaveLimiterHint : 0
; COMPUTE_PGM_RSRC2:SCRATCH_EN: 0
; COMPUTE_PGM_RSRC2:USER_SGPR: 2
; COMPUTE_PGM_RSRC2:TRAP_HANDLER: 0
; COMPUTE_PGM_RSRC2:TGID_X_EN: 1
; COMPUTE_PGM_RSRC2:TGID_Y_EN: 1
; COMPUTE_PGM_RSRC2:TGID_Z_EN: 0
; COMPUTE_PGM_RSRC2:TIDIG_COMP_CNT: 1
	.section	.text._ZN2at6native12_GLOBAL__N_135GammaBetaBackwardCUDAKernelTemplateIN3c104HalfEfLj64ELj16ELj128ELb0ELb1ELb1EEEvllPKT_S7_PKT0_SA_PS5_SB_,"axG",@progbits,_ZN2at6native12_GLOBAL__N_135GammaBetaBackwardCUDAKernelTemplateIN3c104HalfEfLj64ELj16ELj128ELb0ELb1ELb1EEEvllPKT_S7_PKT0_SA_PS5_SB_,comdat
	.globl	_ZN2at6native12_GLOBAL__N_135GammaBetaBackwardCUDAKernelTemplateIN3c104HalfEfLj64ELj16ELj128ELb0ELb1ELb1EEEvllPKT_S7_PKT0_SA_PS5_SB_ ; -- Begin function _ZN2at6native12_GLOBAL__N_135GammaBetaBackwardCUDAKernelTemplateIN3c104HalfEfLj64ELj16ELj128ELb0ELb1ELb1EEEvllPKT_S7_PKT0_SA_PS5_SB_
	.p2align	8
	.type	_ZN2at6native12_GLOBAL__N_135GammaBetaBackwardCUDAKernelTemplateIN3c104HalfEfLj64ELj16ELj128ELb0ELb1ELb1EEEvllPKT_S7_PKT0_SA_PS5_SB_,@function
_ZN2at6native12_GLOBAL__N_135GammaBetaBackwardCUDAKernelTemplateIN3c104HalfEfLj64ELj16ELj128ELb0ELb1ELb1EEEvllPKT_S7_PKT0_SA_PS5_SB_: ; @_ZN2at6native12_GLOBAL__N_135GammaBetaBackwardCUDAKernelTemplateIN3c104HalfEfLj64ELj16ELj128ELb0ELb1ELb1EEEvllPKT_S7_PKT0_SA_PS5_SB_
; %bb.0:
	s_load_b128 s[4:7], s[0:1], 0x0
	s_lshl_b32 s12, ttmp7, 7
	s_mov_b32 s13, 0
	v_bfe_u32 v7, v0, 10, 10
	s_wait_kmcnt 0x0
	v_cmp_gt_i64_e64 s2, s[4:5], s[12:13]
	s_and_b32 vcc_lo, exec_lo, s2
	s_cbranch_vccnz .LBB171_2
; %bb.1:
	v_bfe_u32 v1, v0, 10, 10
	s_mov_b32 s2, s13
	v_and_b32_e32 v6, 0x3ff, v0
	v_mov_b32_e32 v0, 0
	s_and_not1_b32 vcc_lo, exec_lo, s2
	s_cbranch_vccz .LBB171_3
	s_branch .LBB171_10
.LBB171_2:
                                        ; implicit-def: $vgpr1
	v_and_b32_e32 v6, 0x3ff, v0
	v_mov_b32_e32 v0, 0
.LBB171_3:
	s_load_b32 s2, s[0:1], 0x4c
	v_dual_mov_b32 v1, 0 :: v_dual_lshlrev_b32 v0, 3, v7
	s_clause 0x2
	s_load_b32 s3, s[0:1], 0x44
	s_load_b128 s[8:11], s[0:1], 0x10
	s_load_b64 s[16:17], s[0:1], 0x28
	s_mov_b32 s15, 0
	v_dual_mov_b32 v8, 8 :: v_dual_mov_b32 v9, 4
	v_add_co_u32 v2, s14, v0, s12
	s_delay_alu instid0(VALU_DEP_1) | instskip(SKIP_1) | instid1(VALU_DEP_3)
	v_add_co_ci_u32_e64 v3, null, 0, 0, s14
	v_lshl_add_u32 v0, ttmp9, 6, v6
	v_mul_lo_u32 v13, s7, v2
	v_mad_co_u64_u32 v[4:5], null, s6, v2, 0
	s_delay_alu instid0(VALU_DEP_4) | instskip(NEXT) | instid1(VALU_DEP_4)
	v_mul_lo_u32 v14, s6, v3
	v_lshlrev_b64_e32 v[15:16], 1, v[0:1]
	v_dual_mov_b32 v10, 12 :: v_dual_mov_b32 v11, 16
	v_mov_b32_e32 v0, 0
	s_wait_kmcnt 0x0
	s_and_b32 s2, s2, 0xffff
	s_lshl_b32 s14, s3, 7
	v_mad_u32_u24 v12, v7, s2, v6
	v_add3_u32 v5, v5, v14, v13
	v_dual_mov_b32 v13, 24 :: v_dual_mov_b32 v14, 28
	s_wait_alu 0xfffe
	s_mul_u64 s[18:19], s[6:7], s[14:15]
	v_dual_mov_b32 v12, 20 :: v_dual_and_b32 v19, 31, v12
	v_lshlrev_b64_e32 v[4:5], 1, v[4:5]
	s_lshl_b64 s[18:19], s[18:19], 1
	s_lshl_b64 s[6:7], s[6:7], 1
	s_delay_alu instid0(VALU_DEP_2) | instskip(NEXT) | instid1(VALU_DEP_1)
	v_add_co_u32 v2, vcc_lo, v2, v19
	v_add_co_ci_u32_e64 v3, null, 0, v3, vcc_lo
	s_delay_alu instid0(VALU_DEP_3) | instskip(SKIP_2) | instid1(VALU_DEP_3)
	v_add_co_u32 v15, vcc_lo, v4, v15
	s_wait_alu 0xfffd
	v_add_co_ci_u32_e64 v16, null, v5, v16, vcc_lo
	v_lshlrev_b64_e32 v[17:18], 2, v[2:3]
	v_cmp_gt_u32_e64 s2, 8, v19
	s_delay_alu instid0(VALU_DEP_2) | instskip(SKIP_1) | instid1(VALU_DEP_3)
	v_add_co_u32 v4, vcc_lo, s16, v17
	s_wait_alu 0xfffd
	v_add_co_ci_u32_e64 v5, null, s17, v18, vcc_lo
	s_lshl_b64 s[16:17], s[14:15], 2
	s_branch .LBB171_6
.LBB171_4:                              ;   in Loop: Header=BB171_6 Depth=1
	s_or_b32 exec_lo, exec_lo, s20
.LBB171_5:                              ;   in Loop: Header=BB171_6 Depth=1
	s_wait_alu 0xfffe
	s_or_b32 exec_lo, exec_lo, s3
	v_add_co_u32 v18, vcc_lo, s8, v15
	s_wait_alu 0xfffd
	v_add_co_ci_u32_e64 v19, null, s9, v16, vcc_lo
	v_add_co_u32 v20, vcc_lo, s10, v15
	s_wait_alu 0xfffd
	v_add_co_ci_u32_e64 v21, null, s11, v16, vcc_lo
	;; [unrolled: 3-line block ×4, first 2 shown]
	global_load_u16 v28, v[18:19], off
	global_load_u16 v29, v[20:21], off
	;; [unrolled: 1-line block ×4, first 2 shown]
	v_add_co_u32 v18, vcc_lo, v22, s6
	s_wait_alu 0xfffd
	v_add_co_ci_u32_e64 v19, null, s7, v23, vcc_lo
	v_add_co_u32 v20, vcc_lo, v24, s6
	s_wait_alu 0xfffd
	v_add_co_ci_u32_e64 v21, null, s7, v25, vcc_lo
	;; [unrolled: 3-line block ×5, first 2 shown]
	global_load_u16 v32, v[18:19], off
	global_load_u16 v33, v[20:21], off
	;; [unrolled: 1-line block ×5, first 2 shown]
	v_add_co_u32 v18, vcc_lo, v24, s6
	s_wait_alu 0xfffd
	v_add_co_ci_u32_e64 v19, null, s7, v25, vcc_lo
	v_add_co_u32 v20, vcc_lo, v26, s6
	s_wait_alu 0xfffd
	v_add_co_ci_u32_e64 v21, null, s7, v27, vcc_lo
	;; [unrolled: 3-line block ×5, first 2 shown]
	global_load_u16 v37, v[18:19], off
	global_load_u16 v38, v[20:21], off
	;; [unrolled: 1-line block ×5, first 2 shown]
	v_add_co_u32 v18, vcc_lo, v24, s6
	s_wait_alu 0xfffd
	v_add_co_ci_u32_e64 v19, null, s7, v25, vcc_lo
	v_add_co_u32 v20, vcc_lo, v26, s6
	s_wait_alu 0xfffd
	v_add_co_ci_u32_e64 v21, null, s7, v27, vcc_lo
	global_load_u16 v18, v[18:19], off
	global_load_u16 v19, v[20:21], off
	s_wait_loadcnt 0x10
	ds_bpermute_b32 v20, v1, v17
	ds_bpermute_b32 v21, v9, v17
	;; [unrolled: 1-line block ×3, first 2 shown]
	v_add_co_u32 v4, vcc_lo, v4, s16
	s_add_nc_u64 s[12:13], s[12:13], s[14:15]
	s_wait_alu 0xfffd
	v_add_co_ci_u32_e64 v5, null, s17, v5, vcc_lo
	v_add_co_u32 v2, vcc_lo, v2, s14
	s_wait_alu 0xfffe
	v_cmp_lt_i64_e64 s3, s[12:13], s[4:5]
	s_wait_alu 0xfffd
	v_add_co_ci_u32_e64 v3, null, 0, v3, vcc_lo
	v_add_co_u32 v15, vcc_lo, v15, s18
	s_wait_alu 0xfffd
	v_add_co_ci_u32_e64 v16, null, s19, v16, vcc_lo
	s_and_b32 vcc_lo, exec_lo, s3
	s_wait_loadcnt 0xf
	v_cvt_f32_f16_e32 v24, v28
	s_wait_loadcnt 0xe
	v_cvt_f32_f16_e32 v25, v29
	;; [unrolled: 2-line block ×3, first 2 shown]
	ds_bpermute_b32 v28, v10, v17
	v_mul_f32_e32 v24, v24, v25
	s_wait_loadcnt 0xc
	v_cvt_f32_f16_e32 v25, v31
	s_wait_dscnt 0x3
	s_delay_alu instid0(VALU_DEP_2) | instskip(NEXT) | instid1(VALU_DEP_2)
	v_fmac_f32_e32 v0, v24, v20
	v_mul_f32_e32 v20, v27, v25
	ds_bpermute_b32 v25, v11, v17
	s_wait_dscnt 0x3
	v_fmac_f32_e32 v0, v20, v21
	s_wait_loadcnt 0xb
	v_cvt_f32_f16_e32 v29, v32
	s_wait_loadcnt 0xa
	v_cvt_f32_f16_e32 v24, v33
	;; [unrolled: 2-line block ×4, first 2 shown]
	v_mul_f32_e32 v20, v29, v24
	ds_bpermute_b32 v24, v12, v17
	s_wait_loadcnt 0x7
	v_cvt_f32_f16_e32 v29, v36
	s_wait_dscnt 0x3
	v_fmac_f32_e32 v0, v20, v26
	v_mul_f32_e32 v20, v27, v21
	ds_bpermute_b32 v26, v13, v17
	ds_bpermute_b32 v17, v14, v17
	s_wait_dscnt 0x4
	v_fmac_f32_e32 v0, v20, v28
	s_wait_loadcnt 0x6
	v_cvt_f32_f16_e32 v21, v37
	s_wait_loadcnt 0x5
	v_cvt_f32_f16_e32 v27, v38
	s_delay_alu instid0(VALU_DEP_2)
	v_mul_f32_e32 v20, v29, v21
	s_wait_loadcnt 0x4
	v_cvt_f32_f16_e32 v21, v22
	s_wait_loadcnt 0x3
	v_cvt_f32_f16_e32 v22, v23
	;; [unrolled: 2-line block ×3, first 2 shown]
	s_wait_dscnt 0x3
	v_fmac_f32_e32 v0, v20, v25
	v_mul_f32_e32 v20, v27, v21
	s_wait_loadcnt 0x1
	v_cvt_f32_f16_e32 v18, v18
	s_wait_loadcnt 0x0
	v_cvt_f32_f16_e32 v19, v19
	s_wait_dscnt 0x2
	v_fmac_f32_e32 v0, v20, v24
	v_mul_f32_e32 v20, v22, v23
	s_delay_alu instid0(VALU_DEP_3) | instskip(SKIP_1) | instid1(VALU_DEP_2)
	v_mul_f32_e32 v18, v18, v19
	s_wait_dscnt 0x1
	v_fmac_f32_e32 v0, v20, v26
	s_wait_dscnt 0x0
	s_delay_alu instid0(VALU_DEP_1)
	v_fmac_f32_e32 v0, v18, v17
	s_wait_alu 0xfffe
	s_cbranch_vccz .LBB171_9
.LBB171_6:                              ; =>This Inner Loop Header: Depth=1
	v_mov_b32_e32 v17, 0
	s_and_saveexec_b32 s3, s2
	s_cbranch_execz .LBB171_5
; %bb.7:                                ;   in Loop: Header=BB171_6 Depth=1
	v_mov_b32_e32 v17, 0
	s_mov_b32 s20, exec_lo
	v_cmpx_gt_i64_e64 s[4:5], v[2:3]
	s_cbranch_execz .LBB171_4
; %bb.8:                                ;   in Loop: Header=BB171_6 Depth=1
	global_load_b32 v17, v[4:5], off
	s_branch .LBB171_4
.LBB171_9:
	v_mov_b32_e32 v1, v7
.LBB171_10:
	s_load_b64 s[2:3], s[0:1], 0x30
	s_delay_alu instid0(VALU_DEP_1) | instskip(SKIP_2) | instid1(VALU_DEP_2)
	v_mad_u32_u24 v2, 0x41, v1, v6
	v_mov_b32_e32 v4, 0
	s_mov_b32 s0, exec_lo
	v_lshl_add_u32 v3, v2, 2, 0
	v_sub_nc_u32_e32 v1, v2, v1
	ds_store_b32 v3, v0
	ds_store_b32 v3, v4 offset:4160
	s_wait_dscnt 0x0
	s_barrier_signal -1
	s_barrier_wait -1
	global_inv scope:SCOPE_SE
	v_cmpx_gt_u32_e32 0x800, v1
	s_cbranch_execz .LBB171_20
; %bb.11:
	v_and_b32_e32 v2, 31, v6
	v_lshrrev_b32_e32 v0, 5, v1
                                        ; implicit-def: $vgpr5
	s_delay_alu instid0(VALU_DEP_2)
	v_cmp_gt_u32_e32 vcc_lo, 16, v2
	v_mul_u32_u24_e32 v2, 0x41, v2
	s_and_saveexec_b32 s0, vcc_lo
	s_cbranch_execz .LBB171_13
; %bb.12:
	v_lshlrev_b32_e32 v3, 2, v0
	s_delay_alu instid0(VALU_DEP_2) | instskip(NEXT) | instid1(VALU_DEP_1)
	v_lshlrev_b32_e32 v4, 2, v2
	v_add3_u32 v3, 0, v3, v4
	ds_load_b32 v5, v3
.LBB171_13:
	s_wait_alu 0xfffe
	s_or_b32 exec_lo, exec_lo, s0
	v_mbcnt_lo_u32_b32 v7, -1, 0
	s_mov_b32 s4, ttmp9
	s_wait_kmcnt 0x0
	s_cmp_lg_u64 s[2:3], 0
	s_mov_b32 s5, 0
	s_cselect_b32 s1, -1, 0
	v_xor_b32_e32 v3, 8, v7
	v_xor_b32_e32 v4, 4, v7
	;; [unrolled: 1-line block ×3, first 2 shown]
	s_wait_alu 0xfffe
	s_lshl_b64 s[4:5], s[4:5], 7
	s_wait_alu 0xfffe
	s_add_nc_u64 s[2:3], s[2:3], s[4:5]
	v_cmp_gt_i32_e64 s0, 32, v3
	s_wait_alu 0xf1ff
	s_delay_alu instid0(VALU_DEP_1) | instskip(SKIP_1) | instid1(VALU_DEP_2)
	v_cndmask_b32_e64 v3, v7, v3, s0
	v_cmp_gt_i32_e64 s0, 32, v4
	v_lshlrev_b32_e32 v3, 2, v3
	s_wait_alu 0xf1ff
	s_delay_alu instid0(VALU_DEP_2)
	v_cndmask_b32_e64 v4, v7, v4, s0
	s_wait_dscnt 0x0
	ds_bpermute_b32 v8, v3, v5
	v_lshlrev_b32_e32 v4, 2, v4
	s_wait_dscnt 0x0
	v_add_f32_e32 v8, v5, v8
	v_xor_b32_e32 v5, 2, v7
	ds_bpermute_b32 v9, v4, v8
	v_cmp_gt_i32_e64 s0, 32, v5
	s_wait_alu 0xf1ff
	s_delay_alu instid0(VALU_DEP_1) | instskip(SKIP_1) | instid1(VALU_DEP_2)
	v_cndmask_b32_e64 v5, v7, v5, s0
	v_cmp_gt_i32_e64 s0, 32, v10
	v_lshlrev_b32_e32 v5, 2, v5
	s_wait_alu 0xf1ff
	s_delay_alu instid0(VALU_DEP_2) | instskip(SKIP_1) | instid1(VALU_DEP_2)
	v_cndmask_b32_e64 v7, v7, v10, s0
	v_cmp_eq_u32_e64 s0, 0, v6
	v_lshlrev_b32_e32 v7, 2, v7
	s_and_b32 s1, s0, s1
	s_wait_dscnt 0x0
	v_add_f32_e32 v8, v8, v9
	ds_bpermute_b32 v9, v5, v8
	s_wait_dscnt 0x0
	v_add_f32_e32 v8, v8, v9
	ds_bpermute_b32 v9, v7, v8
	s_wait_dscnt 0x0
	v_add_f32_e32 v6, v8, v9
	s_wait_alu 0xfffe
	s_and_saveexec_b32 s0, s1
	s_cbranch_execz .LBB171_15
; %bb.14:
	s_delay_alu instid0(VALU_DEP_1)
	v_cvt_f16_f32_e32 v8, v6
	v_lshlrev_b32_e32 v9, 1, v0
	global_store_b16 v9, v8, s[2:3]
.LBB171_15:
	s_wait_alu 0xfffe
	s_or_b32 exec_lo, exec_lo, s0
	v_cmp_gt_u32_e64 s0, 0x400, v1
	s_and_b32 exec_lo, exec_lo, s0
	s_cbranch_execz .LBB171_20
; %bb.16:
	s_and_saveexec_b32 s0, vcc_lo
	s_cbranch_execz .LBB171_18
; %bb.17:
	v_lshlrev_b32_e32 v1, 2, v0
	v_lshlrev_b32_e32 v2, 2, v2
	s_delay_alu instid0(VALU_DEP_1)
	v_add3_u32 v1, 0, v1, v2
	ds_load_b32 v6, v1 offset:128
.LBB171_18:
	s_wait_alu 0xfffe
	s_or_b32 exec_lo, exec_lo, s0
	s_wait_dscnt 0x0
	ds_bpermute_b32 v1, v3, v6
	s_wait_dscnt 0x0
	v_add_f32_e32 v1, v6, v1
	ds_bpermute_b32 v2, v4, v1
	s_wait_dscnt 0x0
	v_add_f32_e32 v1, v1, v2
	;; [unrolled: 3-line block ×3, first 2 shown]
	ds_bpermute_b32 v2, v7, v1
	s_and_saveexec_b32 s0, s1
	s_wait_alu 0xfffe
	s_xor_b32 s0, exec_lo, s0
	s_cbranch_execz .LBB171_20
; %bb.19:
	s_wait_dscnt 0x0
	v_dual_add_f32 v1, v1, v2 :: v_dual_lshlrev_b32 v0, 1, v0
	s_delay_alu instid0(VALU_DEP_1)
	v_cvt_f16_f32_e32 v1, v1
	global_store_b16 v0, v1, s[2:3] offset:64
.LBB171_20:
	s_endpgm
	.section	.rodata,"a",@progbits
	.p2align	6, 0x0
	.amdhsa_kernel _ZN2at6native12_GLOBAL__N_135GammaBetaBackwardCUDAKernelTemplateIN3c104HalfEfLj64ELj16ELj128ELb0ELb1ELb1EEEvllPKT_S7_PKT0_SA_PS5_SB_
		.amdhsa_group_segment_fixed_size 0
		.amdhsa_private_segment_fixed_size 0
		.amdhsa_kernarg_size 320
		.amdhsa_user_sgpr_count 2
		.amdhsa_user_sgpr_dispatch_ptr 0
		.amdhsa_user_sgpr_queue_ptr 0
		.amdhsa_user_sgpr_kernarg_segment_ptr 1
		.amdhsa_user_sgpr_dispatch_id 0
		.amdhsa_user_sgpr_private_segment_size 0
		.amdhsa_wavefront_size32 1
		.amdhsa_uses_dynamic_stack 0
		.amdhsa_enable_private_segment 0
		.amdhsa_system_sgpr_workgroup_id_x 1
		.amdhsa_system_sgpr_workgroup_id_y 1
		.amdhsa_system_sgpr_workgroup_id_z 0
		.amdhsa_system_sgpr_workgroup_info 0
		.amdhsa_system_vgpr_workitem_id 1
		.amdhsa_next_free_vgpr 40
		.amdhsa_next_free_sgpr 21
		.amdhsa_reserve_vcc 1
		.amdhsa_float_round_mode_32 0
		.amdhsa_float_round_mode_16_64 0
		.amdhsa_float_denorm_mode_32 3
		.amdhsa_float_denorm_mode_16_64 3
		.amdhsa_fp16_overflow 0
		.amdhsa_workgroup_processor_mode 1
		.amdhsa_memory_ordered 1
		.amdhsa_forward_progress 1
		.amdhsa_inst_pref_size 16
		.amdhsa_round_robin_scheduling 0
		.amdhsa_exception_fp_ieee_invalid_op 0
		.amdhsa_exception_fp_denorm_src 0
		.amdhsa_exception_fp_ieee_div_zero 0
		.amdhsa_exception_fp_ieee_overflow 0
		.amdhsa_exception_fp_ieee_underflow 0
		.amdhsa_exception_fp_ieee_inexact 0
		.amdhsa_exception_int_div_zero 0
	.end_amdhsa_kernel
	.section	.text._ZN2at6native12_GLOBAL__N_135GammaBetaBackwardCUDAKernelTemplateIN3c104HalfEfLj64ELj16ELj128ELb0ELb1ELb1EEEvllPKT_S7_PKT0_SA_PS5_SB_,"axG",@progbits,_ZN2at6native12_GLOBAL__N_135GammaBetaBackwardCUDAKernelTemplateIN3c104HalfEfLj64ELj16ELj128ELb0ELb1ELb1EEEvllPKT_S7_PKT0_SA_PS5_SB_,comdat
.Lfunc_end171:
	.size	_ZN2at6native12_GLOBAL__N_135GammaBetaBackwardCUDAKernelTemplateIN3c104HalfEfLj64ELj16ELj128ELb0ELb1ELb1EEEvllPKT_S7_PKT0_SA_PS5_SB_, .Lfunc_end171-_ZN2at6native12_GLOBAL__N_135GammaBetaBackwardCUDAKernelTemplateIN3c104HalfEfLj64ELj16ELj128ELb0ELb1ELb1EEEvllPKT_S7_PKT0_SA_PS5_SB_
                                        ; -- End function
	.set _ZN2at6native12_GLOBAL__N_135GammaBetaBackwardCUDAKernelTemplateIN3c104HalfEfLj64ELj16ELj128ELb0ELb1ELb1EEEvllPKT_S7_PKT0_SA_PS5_SB_.num_vgpr, 40
	.set _ZN2at6native12_GLOBAL__N_135GammaBetaBackwardCUDAKernelTemplateIN3c104HalfEfLj64ELj16ELj128ELb0ELb1ELb1EEEvllPKT_S7_PKT0_SA_PS5_SB_.num_agpr, 0
	.set _ZN2at6native12_GLOBAL__N_135GammaBetaBackwardCUDAKernelTemplateIN3c104HalfEfLj64ELj16ELj128ELb0ELb1ELb1EEEvllPKT_S7_PKT0_SA_PS5_SB_.numbered_sgpr, 21
	.set _ZN2at6native12_GLOBAL__N_135GammaBetaBackwardCUDAKernelTemplateIN3c104HalfEfLj64ELj16ELj128ELb0ELb1ELb1EEEvllPKT_S7_PKT0_SA_PS5_SB_.num_named_barrier, 0
	.set _ZN2at6native12_GLOBAL__N_135GammaBetaBackwardCUDAKernelTemplateIN3c104HalfEfLj64ELj16ELj128ELb0ELb1ELb1EEEvllPKT_S7_PKT0_SA_PS5_SB_.private_seg_size, 0
	.set _ZN2at6native12_GLOBAL__N_135GammaBetaBackwardCUDAKernelTemplateIN3c104HalfEfLj64ELj16ELj128ELb0ELb1ELb1EEEvllPKT_S7_PKT0_SA_PS5_SB_.uses_vcc, 1
	.set _ZN2at6native12_GLOBAL__N_135GammaBetaBackwardCUDAKernelTemplateIN3c104HalfEfLj64ELj16ELj128ELb0ELb1ELb1EEEvllPKT_S7_PKT0_SA_PS5_SB_.uses_flat_scratch, 0
	.set _ZN2at6native12_GLOBAL__N_135GammaBetaBackwardCUDAKernelTemplateIN3c104HalfEfLj64ELj16ELj128ELb0ELb1ELb1EEEvllPKT_S7_PKT0_SA_PS5_SB_.has_dyn_sized_stack, 0
	.set _ZN2at6native12_GLOBAL__N_135GammaBetaBackwardCUDAKernelTemplateIN3c104HalfEfLj64ELj16ELj128ELb0ELb1ELb1EEEvllPKT_S7_PKT0_SA_PS5_SB_.has_recursion, 0
	.set _ZN2at6native12_GLOBAL__N_135GammaBetaBackwardCUDAKernelTemplateIN3c104HalfEfLj64ELj16ELj128ELb0ELb1ELb1EEEvllPKT_S7_PKT0_SA_PS5_SB_.has_indirect_call, 0
	.section	.AMDGPU.csdata,"",@progbits
; Kernel info:
; codeLenInByte = 1984
; TotalNumSgprs: 23
; NumVgprs: 40
; ScratchSize: 0
; MemoryBound: 0
; FloatMode: 240
; IeeeMode: 1
; LDSByteSize: 0 bytes/workgroup (compile time only)
; SGPRBlocks: 0
; VGPRBlocks: 4
; NumSGPRsForWavesPerEU: 23
; NumVGPRsForWavesPerEU: 40
; Occupancy: 16
; WaveLimiterHint : 0
; COMPUTE_PGM_RSRC2:SCRATCH_EN: 0
; COMPUTE_PGM_RSRC2:USER_SGPR: 2
; COMPUTE_PGM_RSRC2:TRAP_HANDLER: 0
; COMPUTE_PGM_RSRC2:TGID_X_EN: 1
; COMPUTE_PGM_RSRC2:TGID_Y_EN: 1
; COMPUTE_PGM_RSRC2:TGID_Z_EN: 0
; COMPUTE_PGM_RSRC2:TIDIG_COMP_CNT: 1
	.section	.text._ZN2at6native12_GLOBAL__N_135GammaBetaBackwardCUDAKernelTemplateIN3c104HalfEfLj64ELj16ELj128ELb0ELb0ELb1EEEvllPKT_S7_PKT0_SA_PS5_SB_,"axG",@progbits,_ZN2at6native12_GLOBAL__N_135GammaBetaBackwardCUDAKernelTemplateIN3c104HalfEfLj64ELj16ELj128ELb0ELb0ELb1EEEvllPKT_S7_PKT0_SA_PS5_SB_,comdat
	.globl	_ZN2at6native12_GLOBAL__N_135GammaBetaBackwardCUDAKernelTemplateIN3c104HalfEfLj64ELj16ELj128ELb0ELb0ELb1EEEvllPKT_S7_PKT0_SA_PS5_SB_ ; -- Begin function _ZN2at6native12_GLOBAL__N_135GammaBetaBackwardCUDAKernelTemplateIN3c104HalfEfLj64ELj16ELj128ELb0ELb0ELb1EEEvllPKT_S7_PKT0_SA_PS5_SB_
	.p2align	8
	.type	_ZN2at6native12_GLOBAL__N_135GammaBetaBackwardCUDAKernelTemplateIN3c104HalfEfLj64ELj16ELj128ELb0ELb0ELb1EEEvllPKT_S7_PKT0_SA_PS5_SB_,@function
_ZN2at6native12_GLOBAL__N_135GammaBetaBackwardCUDAKernelTemplateIN3c104HalfEfLj64ELj16ELj128ELb0ELb0ELb1EEEvllPKT_S7_PKT0_SA_PS5_SB_: ; @_ZN2at6native12_GLOBAL__N_135GammaBetaBackwardCUDAKernelTemplateIN3c104HalfEfLj64ELj16ELj128ELb0ELb0ELb1EEEvllPKT_S7_PKT0_SA_PS5_SB_
; %bb.0:
	s_clause 0x1
	s_load_b256 s[4:11], s[0:1], 0x0
	s_load_b64 s[12:13], s[0:1], 0x28
	s_lshl_b32 s28, ttmp9, 6
	s_mov_b32 s15, 0
	s_or_b32 s14, s28, 63
	s_wait_kmcnt 0x0
	v_cmp_le_i64_e64 s2, s[6:7], s[14:15]
	s_lshl_b32 s14, ttmp7, 7
	s_wait_alu 0xfffe
	v_cmp_gt_i64_e64 s29, s[4:5], s[14:15]
	s_and_b32 vcc_lo, exec_lo, s2
	v_cndmask_b32_e64 v1, 0, 1, s29
	s_delay_alu instid0(VALU_DEP_1)
	v_cmp_ne_u32_e64 s2, 1, v1
	s_cbranch_vccz .LBB172_49
; %bb.1:
	v_mov_b32_e32 v86, 0
	s_and_b32 vcc_lo, exec_lo, s2
	s_cbranch_vccnz .LBB172_50
; %bb.2:
	v_bfe_u32 v20, v0, 10, 10
	v_dual_mov_b32 v1, 0 :: v_dual_and_b32 v22, 0x3ff, v0
	s_load_b32 s3, s[0:1], 0x44
	s_mov_b32 s17, 0
	s_delay_alu instid0(VALU_DEP_2) | instskip(NEXT) | instid1(VALU_DEP_2)
	v_lshlrev_b32_e32 v21, 3, v20
	v_dual_mov_b32 v3, v1 :: v_dual_add_nc_u32 v2, s28, v22
	s_mov_b32 s21, s17
	v_mov_b32_e32 v55, 0
	s_delay_alu instid0(VALU_DEP_3) | instskip(NEXT) | instid1(VALU_DEP_1)
	v_add_co_u32 v10, s2, v21, s14
	v_add_co_ci_u32_e64 v11, null, 0, 0, s2
	v_cmp_gt_i64_e64 s2, s[6:7], v[2:3]
	s_delay_alu instid0(VALU_DEP_3) | instskip(SKIP_1) | instid1(VALU_DEP_4)
	v_mul_lo_u32 v6, s7, v10
	v_mad_co_u64_u32 v[4:5], null, s6, v10, 0
	v_mul_lo_u32 v7, s6, v11
	v_add_co_u32 v8, vcc_lo, v10, 7
	s_delay_alu instid0(VALU_DEP_1) | instskip(SKIP_1) | instid1(VALU_DEP_3)
	v_add_co_ci_u32_e64 v9, null, 0, v11, vcc_lo
	v_lshlrev_b64_e32 v[18:19], 1, v[2:3]
	v_mul_lo_u32 v12, s7, v8
	s_wait_kmcnt 0x0
	s_lshl_b32 s20, s3, 7
	v_add3_u32 v5, v5, v7, v6
	v_mad_co_u64_u32 v[6:7], null, s6, v8, 0
	v_add_co_u32 v8, vcc_lo, v10, 6
	v_mul_lo_u32 v13, s6, v9
	s_wait_alu 0xfffd
	v_add_co_ci_u32_e64 v9, null, 0, v11, vcc_lo
	v_lshlrev_b64_e32 v[2:3], 1, v[4:5]
	v_mul_lo_u32 v14, s7, v8
	s_mul_u64 s[22:23], s[6:7], s[20:21]
	s_delay_alu instid0(VALU_DEP_3) | instskip(SKIP_1) | instid1(VALU_DEP_4)
	v_mul_lo_u32 v15, s6, v9
	v_mad_co_u64_u32 v[8:9], null, s6, v8, 0
	v_add_co_u32 v23, vcc_lo, s8, v2
	s_wait_alu 0xfffd
	v_add_co_ci_u32_e64 v24, null, s9, v3, vcc_lo
	v_add_co_u32 v25, vcc_lo, s10, v2
	v_add3_u32 v7, v7, v13, v12
	s_wait_alu 0xfffd
	v_add_co_ci_u32_e64 v26, null, s11, v3, vcc_lo
	v_add_co_u32 v12, vcc_lo, v10, 5
	v_add3_u32 v9, v9, v15, v14
	s_wait_alu 0xfffd
	v_add_co_ci_u32_e64 v13, null, 0, v11, vcc_lo
	v_lshlrev_b64_e32 v[2:3], 1, v[6:7]
	v_mul_lo_u32 v14, s7, v12
	v_lshlrev_b64_e32 v[6:7], 1, v[8:9]
	s_delay_alu instid0(VALU_DEP_4)
	v_mul_lo_u32 v13, s6, v13
	v_mad_co_u64_u32 v[8:9], null, s6, v12, 0
	v_add_co_u32 v27, vcc_lo, s8, v2
	s_wait_alu 0xfffd
	v_add_co_ci_u32_e64 v28, null, s9, v3, vcc_lo
	v_add_co_u32 v29, vcc_lo, s10, v2
	s_wait_alu 0xfffd
	v_add_co_ci_u32_e64 v30, null, s11, v3, vcc_lo
	v_add_co_u32 v31, vcc_lo, s8, v6
	v_add3_u32 v9, v9, v13, v14
	s_wait_alu 0xfffd
	v_add_co_ci_u32_e64 v32, null, s9, v7, vcc_lo
	v_add_co_u32 v12, vcc_lo, v10, 4
	v_add_co_u32 v33, s3, s10, v6
	s_wait_alu 0xfffd
	v_add_co_ci_u32_e64 v6, null, 0, v11, vcc_lo
	v_lshlrev_b64_e32 v[2:3], 1, v[8:9]
	v_add_co_u32 v8, vcc_lo, v10, 3
	s_wait_alu 0xfffd
	v_add_co_ci_u32_e64 v9, null, 0, v11, vcc_lo
	s_wait_alu 0xf1ff
	v_add_co_ci_u32_e64 v34, null, s11, v7, s3
	v_mul_lo_u32 v13, s7, v12
	v_mul_lo_u32 v14, s6, v6
	v_mad_co_u64_u32 v[6:7], null, s6, v12, 0
	v_mul_lo_u32 v12, s7, v8
	v_mul_lo_u32 v15, s6, v9
	v_mad_co_u64_u32 v[8:9], null, s6, v8, 0
	v_add_co_u32 v35, vcc_lo, s8, v2
	s_wait_alu 0xfffd
	v_add_co_ci_u32_e64 v36, null, s9, v3, vcc_lo
	v_add3_u32 v7, v7, v14, v13
	v_add_co_u32 v37, vcc_lo, s10, v2
	s_wait_alu 0xfffd
	v_add_co_ci_u32_e64 v38, null, s11, v3, vcc_lo
	v_add_co_u32 v10, vcc_lo, v10, 2
	v_add3_u32 v9, v9, v15, v12
	s_wait_alu 0xfffd
	v_add_co_ci_u32_e64 v11, null, 0, v11, vcc_lo
	v_lshlrev_b64_e32 v[2:3], 1, v[6:7]
	v_mul_lo_u32 v12, s7, v10
	v_lshlrev_b64_e32 v[6:7], 1, v[8:9]
	s_delay_alu instid0(VALU_DEP_4)
	v_mul_lo_u32 v11, s6, v11
	v_mad_co_u64_u32 v[8:9], null, s6, v10, 0
	v_add_co_u32 v39, vcc_lo, s8, v2
	s_wait_alu 0xfffd
	v_add_co_ci_u32_e64 v40, null, s9, v3, vcc_lo
	v_add_co_u32 v41, vcc_lo, s10, v2
	s_wait_alu 0xfffd
	v_add_co_ci_u32_e64 v42, null, s11, v3, vcc_lo
	;; [unrolled: 3-line block ×3, first 2 shown]
	v_add3_u32 v9, v9, v11, v12
	v_add_co_u32 v45, vcc_lo, s10, v6
	s_wait_alu 0xfffd
	v_add_co_ci_u32_e64 v46, null, s11, v7, vcc_lo
	v_add_co_u32 v4, vcc_lo, v4, s6
	s_wait_alu 0xfffd
	v_add_co_ci_u32_e64 v5, null, s7, v5, vcc_lo
	v_lshlrev_b64_e32 v[2:3], 1, v[8:9]
	s_add_nc_u64 s[18:19], s[0:1], 64
	s_lshl_b64 s[22:23], s[22:23], 1
	s_delay_alu instid0(VALU_DEP_2)
	v_lshlrev_b64_e32 v[4:5], 1, v[4:5]
	s_add_nc_u64 s[24:25], s[14:15], 0x7f
	s_mov_b64 s[26:27], s[14:15]
	v_add_co_u32 v47, vcc_lo, s8, v2
	s_wait_alu 0xfffd
	v_add_co_ci_u32_e64 v48, null, s9, v3, vcc_lo
	v_add_co_u32 v49, vcc_lo, s10, v2
	s_wait_alu 0xfffd
	v_add_co_ci_u32_e64 v50, null, s11, v3, vcc_lo
	;; [unrolled: 3-line block ×4, first 2 shown]
.LBB172_3:                              ; =>This Inner Loop Header: Depth=1
	v_cmp_ge_i64_e64 s3, s[24:25], s[4:5]
	v_add_co_u32 v56, s16, v21, s24
	s_wait_alu 0xf1ff
	v_add_co_ci_u32_e64 v57, null, 0, s25, s16
                                        ; implicit-def: $vgpr2_vgpr3_vgpr4_vgpr5_vgpr6_vgpr7_vgpr8_vgpr9
                                        ; implicit-def: $vgpr86
                                        ; implicit-def: $vgpr10_vgpr11_vgpr12_vgpr13_vgpr14_vgpr15_vgpr16_vgpr17
                                        ; implicit-def: $vgpr2
	s_and_b32 vcc_lo, exec_lo, s3
	s_mov_b32 s3, -1
	s_wait_alu 0xfffe
	s_cbranch_vccz .LBB172_25
; %bb.4:                                ;   in Loop: Header=BB172_3 Depth=1
	s_load_b32 s3, s[18:19], 0xc
	v_mov_b32_e32 v58, 0
	s_wait_kmcnt 0x0
	s_and_b32 s3, s3, 0xffff
	s_wait_alu 0xfffe
	v_mad_u32_u24 v2, v20, s3, v22
	s_mov_b32 s3, exec_lo
	s_delay_alu instid0(VALU_DEP_1) | instskip(NEXT) | instid1(VALU_DEP_1)
	v_and_b32_e32 v2, 31, v2
	v_cmpx_gt_u32_e32 8, v2
	s_cbranch_execz .LBB172_8
; %bb.5:                                ;   in Loop: Header=BB172_3 Depth=1
	v_add_co_u32 v2, vcc_lo, v56, v2
	s_wait_alu 0xfffd
	v_add_co_ci_u32_e64 v3, null, 0, v57, vcc_lo
	v_mov_b32_e32 v58, 0
	s_delay_alu instid0(VALU_DEP_3) | instskip(SKIP_1) | instid1(VALU_DEP_3)
	v_add_co_u32 v2, vcc_lo, 0xffffff81, v2
	s_wait_alu 0xfffd
	v_add_co_ci_u32_e64 v3, null, -1, v3, vcc_lo
	s_mov_b32 s16, exec_lo
	v_cmpx_gt_i64_e64 s[4:5], v[2:3]
	s_cbranch_execz .LBB172_7
; %bb.6:                                ;   in Loop: Header=BB172_3 Depth=1
	v_lshlrev_b64_e32 v[2:3], 2, v[2:3]
	s_delay_alu instid0(VALU_DEP_1) | instskip(SKIP_1) | instid1(VALU_DEP_2)
	v_add_co_u32 v2, vcc_lo, s12, v2
	s_wait_alu 0xfffd
	v_add_co_ci_u32_e64 v3, null, s13, v3, vcc_lo
	global_load_b32 v58, v[2:3], off
.LBB172_7:                              ;   in Loop: Header=BB172_3 Depth=1
	s_wait_alu 0xfffe
	s_or_b32 exec_lo, exec_lo, s16
.LBB172_8:                              ;   in Loop: Header=BB172_3 Depth=1
	s_wait_alu 0xfffe
	s_or_b32 exec_lo, exec_lo, s3
	v_add_co_u32 v9, vcc_lo, 0xffffff81, v56
	s_wait_alu 0xfffd
	v_add_co_ci_u32_e64 v10, null, -1, v57, vcc_lo
	v_mov_b32_e32 v8, v1
	v_dual_mov_b32 v2, v1 :: v_dual_mov_b32 v3, v1
	v_dual_mov_b32 v4, v1 :: v_dual_mov_b32 v5, v1
	;; [unrolled: 1-line block ×3, first 2 shown]
	v_cmp_gt_i64_e32 vcc_lo, s[4:5], v[9:10]
	s_delay_alu instid0(VALU_DEP_3) | instskip(NEXT) | instid1(VALU_DEP_3)
	v_dual_mov_b32 v17, v8 :: v_dual_mov_b32 v14, v5
	v_dual_mov_b32 v15, v6 :: v_dual_mov_b32 v16, v7
	;; [unrolled: 1-line block ×4, first 2 shown]
	v_mov_b32_e32 v9, v8
	v_mov_b32_e32 v8, v7
	v_mov_b32_e32 v7, v6
	v_mov_b32_e32 v6, v5
	v_mov_b32_e32 v5, v4
	v_mov_b32_e32 v4, v3
	v_mov_b32_e32 v3, v2
	v_mov_b32_e32 v2, v1
	s_and_b32 s16, s2, vcc_lo
	s_wait_alu 0xfffe
	s_and_saveexec_b32 s3, s16
	s_cbranch_execz .LBB172_10
; %bb.9:                                ;   in Loop: Header=BB172_3 Depth=1
	v_add_co_u32 v2, vcc_lo, v23, v18
	s_wait_alu 0xfffd
	v_add_co_ci_u32_e64 v3, null, v24, v19, vcc_lo
	v_add_co_u32 v4, vcc_lo, v25, v18
	s_wait_alu 0xfffd
	v_add_co_ci_u32_e64 v5, null, v26, v19, vcc_lo
	global_load_u16 v2, v[2:3], off
	global_load_u16 v10, v[4:5], off
	v_dual_mov_b32 v3, v1 :: v_dual_mov_b32 v4, v1
	v_dual_mov_b32 v5, v1 :: v_dual_mov_b32 v6, v1
	;; [unrolled: 1-line block ×6, first 2 shown]
	v_mov_b32_e32 v15, v1
	v_mov_b32_e32 v17, v1
	s_wait_loadcnt 0x1
	v_cvt_f32_f16_e32 v2, v2
	s_wait_loadcnt 0x0
	v_cvt_f32_f16_e32 v10, v10
.LBB172_10:                             ;   in Loop: Header=BB172_3 Depth=1
	s_wait_alu 0xfffe
	s_or_b32 exec_lo, exec_lo, s3
	v_add_co_u32 v59, vcc_lo, 0xffffff82, v56
	s_wait_alu 0xfffd
	v_add_co_ci_u32_e64 v60, null, -1, v57, vcc_lo
	s_delay_alu instid0(VALU_DEP_1)
	v_cmp_gt_i64_e32 vcc_lo, s[4:5], v[59:60]
	s_and_b32 s16, s2, vcc_lo
	s_wait_alu 0xfffe
	s_and_saveexec_b32 s3, s16
	s_cbranch_execz .LBB172_12
; %bb.11:                               ;   in Loop: Header=BB172_3 Depth=1
	v_add_co_u32 v59, vcc_lo, v51, v18
	s_wait_alu 0xfffd
	v_add_co_ci_u32_e64 v60, null, v52, v19, vcc_lo
	v_add_co_u32 v61, vcc_lo, v53, v18
	s_wait_alu 0xfffd
	v_add_co_ci_u32_e64 v62, null, v54, v19, vcc_lo
	global_load_u16 v3, v[59:60], off
	global_load_u16 v11, v[61:62], off
	s_wait_loadcnt 0x1
	v_cvt_f32_f16_e32 v3, v3
	s_wait_loadcnt 0x0
	v_cvt_f32_f16_e32 v11, v11
.LBB172_12:                             ;   in Loop: Header=BB172_3 Depth=1
	s_wait_alu 0xfffe
	s_or_b32 exec_lo, exec_lo, s3
	v_add_co_u32 v59, vcc_lo, 0xffffff83, v56
	s_wait_alu 0xfffd
	v_add_co_ci_u32_e64 v60, null, -1, v57, vcc_lo
	s_delay_alu instid0(VALU_DEP_1)
	v_cmp_gt_i64_e32 vcc_lo, s[4:5], v[59:60]
	s_and_b32 s16, s2, vcc_lo
	s_wait_alu 0xfffe
	s_and_saveexec_b32 s3, s16
	s_cbranch_execz .LBB172_14
; %bb.13:                               ;   in Loop: Header=BB172_3 Depth=1
	v_add_co_u32 v59, vcc_lo, v47, v18
	s_wait_alu 0xfffd
	v_add_co_ci_u32_e64 v60, null, v48, v19, vcc_lo
	v_add_co_u32 v61, vcc_lo, v49, v18
	s_wait_alu 0xfffd
	v_add_co_ci_u32_e64 v62, null, v50, v19, vcc_lo
	global_load_u16 v4, v[59:60], off
	global_load_u16 v12, v[61:62], off
	s_wait_loadcnt 0x1
	v_cvt_f32_f16_e32 v4, v4
	s_wait_loadcnt 0x0
	v_cvt_f32_f16_e32 v12, v12
.LBB172_14:                             ;   in Loop: Header=BB172_3 Depth=1
	;; [unrolled: 25-line block ×7, first 2 shown]
	s_wait_alu 0xfffe
	s_or_b32 exec_lo, exec_lo, s3
	s_wait_loadcnt 0x0
	ds_bpermute_b32 v59, v1, v58
	ds_bpermute_b32 v60, v1, v58 offset:4
	ds_bpermute_b32 v61, v1, v58 offset:8
	v_dual_mul_f32 v2, v10, v2 :: v_dual_mul_f32 v3, v11, v3
	ds_bpermute_b32 v10, v1, v58 offset:12
	ds_bpermute_b32 v11, v1, v58 offset:16
	v_mul_f32_e32 v6, v14, v6
	s_mov_b32 s3, 0
	s_wait_dscnt 0x4
	v_fma_f32 v86, v2, v59, v55
	v_mul_f32_e32 v2, v12, v4
	ds_bpermute_b32 v4, v1, v58 offset:20
	s_wait_dscnt 0x4
	v_dual_fmac_f32 v86, v3, v60 :: v_dual_mul_f32 v3, v13, v5
	ds_bpermute_b32 v5, v1, v58 offset:24
	s_wait_dscnt 0x4
	v_fmac_f32_e32 v86, v2, v61
	ds_bpermute_b32 v2, v1, v58 offset:28
	s_wait_dscnt 0x4
	v_fmac_f32_e32 v86, v3, v10
	v_mul_f32_e32 v3, v15, v7
	s_wait_dscnt 0x3
	s_delay_alu instid0(VALU_DEP_2) | instskip(SKIP_1) | instid1(VALU_DEP_1)
	v_fmac_f32_e32 v86, v6, v11
	s_wait_dscnt 0x2
	v_fmac_f32_e32 v86, v3, v4
	v_mul_f32_e32 v3, v16, v8
	s_wait_dscnt 0x1
	s_delay_alu instid0(VALU_DEP_1)
	v_fmac_f32_e32 v86, v3, v5
.LBB172_25:                             ;   in Loop: Header=BB172_3 Depth=1
	s_wait_alu 0xfffe
	s_and_b32 vcc_lo, exec_lo, s3
	s_wait_alu 0xfffe
	s_cbranch_vccz .LBB172_40
; %bb.26:                               ;   in Loop: Header=BB172_3 Depth=1
	s_load_b32 s3, s[18:19], 0x0
	v_mov_b32_e32 v58, 0
	s_wait_kmcnt 0x0
	s_cmp_lt_u32 ttmp9, s3
	s_cselect_b32 s16, 12, 18
	s_wait_alu 0xfffe
	s_add_nc_u64 s[30:31], s[18:19], s[16:17]
	s_load_u16 s3, s[30:31], 0x0
	s_wait_dscnt 0x0
	s_wait_kmcnt 0x0
	v_mad_u32_u24 v2, v20, s3, v22
	s_mov_b32 s3, exec_lo
	s_delay_alu instid0(VALU_DEP_1) | instskip(NEXT) | instid1(VALU_DEP_1)
	v_and_b32_e32 v2, 31, v2
	v_cmpx_gt_u32_e32 8, v2
	s_cbranch_execz .LBB172_30
; %bb.27:                               ;   in Loop: Header=BB172_3 Depth=1
	v_add_co_u32 v2, vcc_lo, v56, v2
	s_wait_alu 0xfffd
	v_add_co_ci_u32_e64 v3, null, 0, v57, vcc_lo
	v_mov_b32_e32 v58, 0
	s_delay_alu instid0(VALU_DEP_3) | instskip(SKIP_1) | instid1(VALU_DEP_3)
	v_add_co_u32 v2, vcc_lo, 0xffffff81, v2
	s_wait_alu 0xfffd
	v_add_co_ci_u32_e64 v3, null, -1, v3, vcc_lo
	s_mov_b32 s16, exec_lo
	v_cmpx_gt_i64_e64 s[4:5], v[2:3]
	s_cbranch_execz .LBB172_29
; %bb.28:                               ;   in Loop: Header=BB172_3 Depth=1
	v_lshlrev_b64_e32 v[2:3], 2, v[2:3]
	s_delay_alu instid0(VALU_DEP_1) | instskip(SKIP_1) | instid1(VALU_DEP_2)
	v_add_co_u32 v2, vcc_lo, s12, v2
	s_wait_alu 0xfffd
	v_add_co_ci_u32_e64 v3, null, s13, v3, vcc_lo
	global_load_b32 v58, v[2:3], off
.LBB172_29:                             ;   in Loop: Header=BB172_3 Depth=1
	s_wait_alu 0xfffe
	s_or_b32 exec_lo, exec_lo, s16
.LBB172_30:                             ;   in Loop: Header=BB172_3 Depth=1
	s_wait_alu 0xfffe
	s_or_b32 exec_lo, exec_lo, s3
	v_mov_b32_e32 v8, v1
	v_dual_mov_b32 v2, v1 :: v_dual_mov_b32 v3, v1
	v_dual_mov_b32 v4, v1 :: v_dual_mov_b32 v5, v1
	;; [unrolled: 1-line block ×3, first 2 shown]
	s_delay_alu instid0(VALU_DEP_4) | instskip(NEXT) | instid1(VALU_DEP_3)
	v_mov_b32_e32 v17, v8
	v_dual_mov_b32 v13, v4 :: v_dual_mov_b32 v12, v3
	s_delay_alu instid0(VALU_DEP_3) | instskip(NEXT) | instid1(VALU_DEP_4)
	v_dual_mov_b32 v15, v6 :: v_dual_mov_b32 v14, v5
	v_dual_mov_b32 v16, v7 :: v_dual_mov_b32 v11, v2
	;; [unrolled: 1-line block ×3, first 2 shown]
	v_mov_b32_e32 v8, v7
	v_mov_b32_e32 v7, v6
	;; [unrolled: 1-line block ×7, first 2 shown]
	s_and_saveexec_b32 s3, s2
	s_cbranch_execnz .LBB172_42
; %bb.31:                               ;   in Loop: Header=BB172_3 Depth=1
	s_wait_alu 0xfffe
	s_or_b32 exec_lo, exec_lo, s3
	s_and_saveexec_b32 s3, s2
	s_cbranch_execnz .LBB172_43
.LBB172_32:                             ;   in Loop: Header=BB172_3 Depth=1
	s_wait_alu 0xfffe
	s_or_b32 exec_lo, exec_lo, s3
	s_and_saveexec_b32 s3, s2
	s_cbranch_execnz .LBB172_44
.LBB172_33:                             ;   in Loop: Header=BB172_3 Depth=1
	s_wait_alu 0xfffe
	s_or_b32 exec_lo, exec_lo, s3
	s_and_saveexec_b32 s3, s2
	s_cbranch_execnz .LBB172_45
.LBB172_34:                             ;   in Loop: Header=BB172_3 Depth=1
	s_wait_alu 0xfffe
	s_or_b32 exec_lo, exec_lo, s3
	s_and_saveexec_b32 s3, s2
	s_cbranch_execnz .LBB172_46
.LBB172_35:                             ;   in Loop: Header=BB172_3 Depth=1
	s_wait_alu 0xfffe
	s_or_b32 exec_lo, exec_lo, s3
	s_and_saveexec_b32 s3, s2
	s_cbranch_execnz .LBB172_47
.LBB172_36:                             ;   in Loop: Header=BB172_3 Depth=1
	s_wait_alu 0xfffe
	s_or_b32 exec_lo, exec_lo, s3
	s_and_saveexec_b32 s3, s2
	s_cbranch_execnz .LBB172_48
.LBB172_37:                             ;   in Loop: Header=BB172_3 Depth=1
	s_wait_alu 0xfffe
	s_or_b32 exec_lo, exec_lo, s3
	s_and_saveexec_b32 s3, s2
	s_cbranch_execz .LBB172_39
.LBB172_38:                             ;   in Loop: Header=BB172_3 Depth=1
	v_add_co_u32 v56, vcc_lo, v27, v18
	s_wait_alu 0xfffd
	v_add_co_ci_u32_e64 v57, null, v28, v19, vcc_lo
	v_add_co_u32 v59, vcc_lo, v29, v18
	s_wait_alu 0xfffd
	v_add_co_ci_u32_e64 v60, null, v30, v19, vcc_lo
	global_load_u16 v9, v[56:57], off
	global_load_u16 v17, v[59:60], off
	s_wait_loadcnt 0x1
	v_cvt_f32_f16_e32 v9, v9
	s_wait_loadcnt 0x0
	v_cvt_f32_f16_e32 v17, v17
.LBB172_39:                             ;   in Loop: Header=BB172_3 Depth=1
	s_wait_alu 0xfffe
	s_or_b32 exec_lo, exec_lo, s3
	s_wait_loadcnt 0x0
	ds_bpermute_b32 v56, v1, v58
	ds_bpermute_b32 v57, v1, v58 offset:4
	ds_bpermute_b32 v59, v1, v58 offset:8
	v_dual_mul_f32 v2, v10, v2 :: v_dual_mul_f32 v3, v11, v3
	ds_bpermute_b32 v10, v1, v58 offset:12
	ds_bpermute_b32 v11, v1, v58 offset:16
	s_wait_dscnt 0x4
	v_fmac_f32_e32 v55, v2, v56
	v_mul_f32_e32 v2, v12, v4
	ds_bpermute_b32 v4, v1, v58 offset:20
	s_wait_dscnt 0x4
	v_fmac_f32_e32 v55, v3, v57
	v_mul_f32_e32 v3, v13, v5
	;; [unrolled: 4-line block ×3, first 2 shown]
	s_wait_dscnt 0x3
	s_delay_alu instid0(VALU_DEP_2) | instskip(SKIP_2) | instid1(VALU_DEP_2)
	v_fmac_f32_e32 v55, v3, v10
	v_mul_f32_e32 v3, v15, v7
	s_wait_dscnt 0x2
	v_fmac_f32_e32 v55, v2, v11
	ds_bpermute_b32 v2, v1, v58 offset:28
	s_wait_dscnt 0x2
	v_fmac_f32_e32 v55, v3, v4
	v_mul_f32_e32 v3, v16, v8
	s_wait_dscnt 0x1
	s_delay_alu instid0(VALU_DEP_1) | instskip(NEXT) | instid1(VALU_DEP_1)
	v_fmac_f32_e32 v55, v3, v5
	v_mov_b32_e32 v86, v55
.LBB172_40:                             ;   in Loop: Header=BB172_3 Depth=1
	v_add_co_u32 v23, vcc_lo, v23, s22
	s_wait_alu 0xfffd
	v_add_co_ci_u32_e64 v24, null, s23, v24, vcc_lo
	v_add_co_u32 v25, vcc_lo, v25, s22
	s_wait_alu 0xfffd
	v_add_co_ci_u32_e64 v26, null, s23, v26, vcc_lo
	v_add_co_u32 v27, vcc_lo, v27, s22
	s_wait_alu 0xfffd
	v_add_co_ci_u32_e64 v28, null, s23, v28, vcc_lo
	v_add_co_u32 v29, vcc_lo, v29, s22
	s_wait_alu 0xfffd
	v_add_co_ci_u32_e64 v30, null, s23, v30, vcc_lo
	v_add_co_u32 v31, vcc_lo, v31, s22
	s_wait_alu 0xfffd
	v_add_co_ci_u32_e64 v32, null, s23, v32, vcc_lo
	v_add_co_u32 v33, vcc_lo, v33, s22
	s_wait_alu 0xfffd
	v_add_co_ci_u32_e64 v34, null, s23, v34, vcc_lo
	v_add_co_u32 v35, vcc_lo, v35, s22
	s_wait_alu 0xfffd
	v_add_co_ci_u32_e64 v36, null, s23, v36, vcc_lo
	v_add_co_u32 v37, vcc_lo, v37, s22
	s_wait_alu 0xfffd
	v_add_co_ci_u32_e64 v38, null, s23, v38, vcc_lo
	v_add_co_u32 v39, vcc_lo, v39, s22
	s_wait_alu 0xfffd
	v_add_co_ci_u32_e64 v40, null, s23, v40, vcc_lo
	v_add_co_u32 v41, vcc_lo, v41, s22
	s_wait_alu 0xfffd
	v_add_co_ci_u32_e64 v42, null, s23, v42, vcc_lo
	v_add_co_u32 v43, vcc_lo, v43, s22
	s_wait_alu 0xfffd
	v_add_co_ci_u32_e64 v44, null, s23, v44, vcc_lo
	v_add_co_u32 v45, vcc_lo, v45, s22
	s_wait_alu 0xfffd
	v_add_co_ci_u32_e64 v46, null, s23, v46, vcc_lo
	v_add_co_u32 v47, vcc_lo, v47, s22
	s_wait_alu 0xfffd
	v_add_co_ci_u32_e64 v48, null, s23, v48, vcc_lo
	v_add_co_u32 v49, vcc_lo, v49, s22
	v_mul_f32_e32 v3, v9, v17
	s_add_nc_u64 s[26:27], s[26:27], s[20:21]
	s_wait_alu 0xfffd
	v_add_co_ci_u32_e64 v50, null, s23, v50, vcc_lo
	v_add_co_u32 v51, vcc_lo, v51, s22
	s_wait_alu 0xfffe
	v_cmp_lt_i64_e64 s3, s[26:27], s[4:5]
	s_wait_alu 0xfffd
	v_add_co_ci_u32_e64 v52, null, s23, v52, vcc_lo
	v_add_co_u32 v53, vcc_lo, v53, s22
	s_wait_dscnt 0x0
	v_fmac_f32_e32 v86, v3, v2
	s_wait_alu 0xfffd
	v_add_co_ci_u32_e64 v54, null, s23, v54, vcc_lo
	s_and_b32 vcc_lo, exec_lo, s3
	s_add_nc_u64 s[24:25], s[24:25], s[20:21]
	s_wait_alu 0xfffe
	s_cbranch_vccz .LBB172_50
; %bb.41:                               ;   in Loop: Header=BB172_3 Depth=1
	v_mov_b32_e32 v55, v86
	s_branch .LBB172_3
.LBB172_42:                             ;   in Loop: Header=BB172_3 Depth=1
	v_add_co_u32 v2, vcc_lo, v23, v18
	s_wait_alu 0xfffd
	v_add_co_ci_u32_e64 v3, null, v24, v19, vcc_lo
	v_add_co_u32 v4, vcc_lo, v25, v18
	s_wait_alu 0xfffd
	v_add_co_ci_u32_e64 v5, null, v26, v19, vcc_lo
	global_load_u16 v2, v[2:3], off
	global_load_u16 v10, v[4:5], off
	v_dual_mov_b32 v3, v1 :: v_dual_mov_b32 v4, v1
	v_dual_mov_b32 v5, v1 :: v_dual_mov_b32 v6, v1
	;; [unrolled: 1-line block ×6, first 2 shown]
	v_mov_b32_e32 v15, v1
	v_mov_b32_e32 v17, v1
	s_wait_loadcnt 0x1
	v_cvt_f32_f16_e32 v2, v2
	s_wait_loadcnt 0x0
	v_cvt_f32_f16_e32 v10, v10
	s_wait_alu 0xfffe
	s_or_b32 exec_lo, exec_lo, s3
	s_and_saveexec_b32 s3, s2
	s_cbranch_execz .LBB172_32
.LBB172_43:                             ;   in Loop: Header=BB172_3 Depth=1
	v_add_co_u32 v56, vcc_lo, v51, v18
	s_wait_alu 0xfffd
	v_add_co_ci_u32_e64 v57, null, v52, v19, vcc_lo
	v_add_co_u32 v59, vcc_lo, v53, v18
	s_wait_alu 0xfffd
	v_add_co_ci_u32_e64 v60, null, v54, v19, vcc_lo
	global_load_u16 v3, v[56:57], off
	global_load_u16 v11, v[59:60], off
	s_wait_loadcnt 0x1
	v_cvt_f32_f16_e32 v3, v3
	s_wait_loadcnt 0x0
	v_cvt_f32_f16_e32 v11, v11
	s_wait_alu 0xfffe
	s_or_b32 exec_lo, exec_lo, s3
	s_and_saveexec_b32 s3, s2
	s_cbranch_execz .LBB172_33
.LBB172_44:                             ;   in Loop: Header=BB172_3 Depth=1
	v_add_co_u32 v56, vcc_lo, v47, v18
	s_wait_alu 0xfffd
	v_add_co_ci_u32_e64 v57, null, v48, v19, vcc_lo
	v_add_co_u32 v59, vcc_lo, v49, v18
	s_wait_alu 0xfffd
	v_add_co_ci_u32_e64 v60, null, v50, v19, vcc_lo
	global_load_u16 v4, v[56:57], off
	global_load_u16 v12, v[59:60], off
	s_wait_loadcnt 0x1
	v_cvt_f32_f16_e32 v4, v4
	s_wait_loadcnt 0x0
	v_cvt_f32_f16_e32 v12, v12
	s_wait_alu 0xfffe
	s_or_b32 exec_lo, exec_lo, s3
	s_and_saveexec_b32 s3, s2
	s_cbranch_execz .LBB172_34
.LBB172_45:                             ;   in Loop: Header=BB172_3 Depth=1
	v_add_co_u32 v56, vcc_lo, v43, v18
	s_wait_alu 0xfffd
	v_add_co_ci_u32_e64 v57, null, v44, v19, vcc_lo
	v_add_co_u32 v59, vcc_lo, v45, v18
	s_wait_alu 0xfffd
	v_add_co_ci_u32_e64 v60, null, v46, v19, vcc_lo
	global_load_u16 v5, v[56:57], off
	global_load_u16 v13, v[59:60], off
	s_wait_loadcnt 0x1
	v_cvt_f32_f16_e32 v5, v5
	s_wait_loadcnt 0x0
	v_cvt_f32_f16_e32 v13, v13
	s_wait_alu 0xfffe
	s_or_b32 exec_lo, exec_lo, s3
	s_and_saveexec_b32 s3, s2
	s_cbranch_execz .LBB172_35
.LBB172_46:                             ;   in Loop: Header=BB172_3 Depth=1
	v_add_co_u32 v56, vcc_lo, v39, v18
	s_wait_alu 0xfffd
	v_add_co_ci_u32_e64 v57, null, v40, v19, vcc_lo
	v_add_co_u32 v59, vcc_lo, v41, v18
	s_wait_alu 0xfffd
	v_add_co_ci_u32_e64 v60, null, v42, v19, vcc_lo
	global_load_u16 v6, v[56:57], off
	global_load_u16 v14, v[59:60], off
	s_wait_loadcnt 0x1
	v_cvt_f32_f16_e32 v6, v6
	s_wait_loadcnt 0x0
	v_cvt_f32_f16_e32 v14, v14
	s_wait_alu 0xfffe
	s_or_b32 exec_lo, exec_lo, s3
	s_and_saveexec_b32 s3, s2
	s_cbranch_execz .LBB172_36
.LBB172_47:                             ;   in Loop: Header=BB172_3 Depth=1
	v_add_co_u32 v56, vcc_lo, v35, v18
	s_wait_alu 0xfffd
	v_add_co_ci_u32_e64 v57, null, v36, v19, vcc_lo
	v_add_co_u32 v59, vcc_lo, v37, v18
	s_wait_alu 0xfffd
	v_add_co_ci_u32_e64 v60, null, v38, v19, vcc_lo
	global_load_u16 v7, v[56:57], off
	global_load_u16 v15, v[59:60], off
	s_wait_loadcnt 0x1
	v_cvt_f32_f16_e32 v7, v7
	s_wait_loadcnt 0x0
	v_cvt_f32_f16_e32 v15, v15
	s_wait_alu 0xfffe
	s_or_b32 exec_lo, exec_lo, s3
	s_and_saveexec_b32 s3, s2
	s_cbranch_execz .LBB172_37
.LBB172_48:                             ;   in Loop: Header=BB172_3 Depth=1
	v_add_co_u32 v56, vcc_lo, v31, v18
	s_wait_alu 0xfffd
	v_add_co_ci_u32_e64 v57, null, v32, v19, vcc_lo
	v_add_co_u32 v59, vcc_lo, v33, v18
	s_wait_alu 0xfffd
	v_add_co_ci_u32_e64 v60, null, v34, v19, vcc_lo
	global_load_u16 v8, v[56:57], off
	global_load_u16 v16, v[59:60], off
	s_wait_loadcnt 0x1
	v_cvt_f32_f16_e32 v8, v8
	s_wait_loadcnt 0x0
	v_cvt_f32_f16_e32 v16, v16
	s_wait_alu 0xfffe
	s_or_b32 exec_lo, exec_lo, s3
	s_and_saveexec_b32 s3, s2
	s_cbranch_execnz .LBB172_38
	s_branch .LBB172_39
.LBB172_49:
                                        ; implicit-def: $vgpr86
	s_branch .LBB172_51
.LBB172_50:
	s_cbranch_execnz .LBB172_83
.LBB172_51:
	v_mov_b32_e32 v86, 0
	s_and_not1_b32 vcc_lo, exec_lo, s29
	s_wait_alu 0xfffe
	s_cbranch_vccnz .LBB172_83
; %bb.52:
	v_bfe_u32 v48, v0, 10, 10
	v_dual_mov_b32 v1, 0 :: v_dual_and_b32 v50, 0x3ff, v0
	s_lshl_b64 s[18:19], s[14:15], 1
	s_mov_b32 s3, 0
	s_delay_alu instid0(VALU_DEP_2) | instskip(SKIP_2) | instid1(VALU_DEP_3)
	v_lshlrev_b32_e32 v49, 3, v48
	v_dual_mov_b32 v83, 0 :: v_dual_lshlrev_b32 v8, 4, v48
	v_dual_mov_b32 v5, v1 :: v_dual_add_nc_u32 v4, s28, v50
	v_add_co_u32 v10, s2, v49, s14
	s_wait_alu 0xf1ff
	v_add_co_ci_u32_e64 v11, null, 0, 0, s2
	s_delay_alu instid0(VALU_DEP_3) | instskip(NEXT) | instid1(VALU_DEP_3)
	v_lshlrev_b64_e32 v[18:19], 1, v[4:5]
	v_mul_lo_u32 v6, s7, v10
	v_mad_co_u64_u32 v[2:3], null, s6, v10, 0
	s_delay_alu instid0(VALU_DEP_4) | instskip(SKIP_2) | instid1(VALU_DEP_1)
	v_mul_lo_u32 v7, s6, v11
	s_load_b32 s2, s[0:1], 0x44
	s_mov_b32 s17, s3
	v_add3_u32 v3, v3, v7, v6
	v_add_co_u32 v6, s16, v8, s18
	s_wait_alu 0xf1ff
	v_add_co_ci_u32_e64 v7, null, 0, s19, s16
	s_delay_alu instid0(VALU_DEP_3) | instskip(NEXT) | instid1(VALU_DEP_3)
	v_lshlrev_b64_e32 v[4:5], 1, v[2:3]
	v_add_co_u32 v8, vcc_lo, v6, 2
	s_wait_alu 0xfffd
	s_delay_alu instid0(VALU_DEP_3) | instskip(NEXT) | instid1(VALU_DEP_3)
	v_add_co_ci_u32_e64 v9, null, 0, v7, vcc_lo
	v_add_co_u32 v51, vcc_lo, s8, v4
	s_wait_alu 0xfffd
	v_add_co_ci_u32_e64 v52, null, s9, v5, vcc_lo
	v_add_co_u32 v53, vcc_lo, s10, v4
	s_wait_alu 0xfffd
	;; [unrolled: 3-line block ×5, first 2 shown]
	v_add_co_ci_u32_e64 v28, null, 0, v7, vcc_lo
	v_add_co_u32 v42, vcc_lo, v6, 10
	v_mad_co_u64_u32 v[22:23], null, s6, v4, s[8:9]
	v_mul_lo_u32 v5, s6, v5
	v_mul_lo_u32 v15, s7, v4
	v_mad_co_u64_u32 v[36:37], null, s6, v4, s[10:11]
	s_wait_alu 0xfffd
	v_add_co_ci_u32_e64 v30, null, 0, v7, vcc_lo
	v_add_co_u32 v44, vcc_lo, v6, 12
	s_wait_alu 0xfffd
	v_add_co_ci_u32_e64 v32, null, 0, v7, vcc_lo
	v_add_co_u32 v6, vcc_lo, v6, 14
	v_mad_co_u64_u32 v[20:21], null, s6, v8, s[8:9]
	v_mul_lo_u32 v9, s6, v9
	v_mul_lo_u32 v12, s7, v8
	v_mad_co_u64_u32 v[34:35], null, s6, v8, s[10:11]
	s_wait_alu 0xfffd
	v_add_co_ci_u32_e64 v7, null, 0, v7, vcc_lo
	v_add_co_u32 v4, vcc_lo, v10, 7
	v_add3_u32 v23, v15, v23, v5
	v_add3_u32 v37, v15, v37, v5
	s_wait_alu 0xfffd
	v_add_co_ci_u32_e64 v5, null, 0, v11, vcc_lo
	v_mul_lo_u32 v61, s6, v7
	v_add_co_u32 v7, vcc_lo, v10, 6
	v_add3_u32 v21, v12, v21, v9
	v_add3_u32 v35, v12, v35, v9
	s_wait_alu 0xfffd
	v_add_co_ci_u32_e64 v12, null, 0, v11, vcc_lo
	v_mul_lo_u32 v8, s7, v4
	v_mul_lo_u32 v9, s6, v5
	v_mad_co_u64_u32 v[4:5], null, s6, v4, 0
	v_mad_co_u64_u32 v[24:25], null, s6, v13, s[8:9]
	v_mul_lo_u32 v17, s7, v13
	v_mul_lo_u32 v59, s6, v32
	v_mad_co_u64_u32 v[32:33], null, s6, v6, s[8:9]
	v_mul_lo_u32 v62, s7, v6
	v_mad_co_u64_u32 v[38:39], null, s6, v13, s[10:11]
	v_mad_co_u64_u32 v[46:47], null, s6, v6, s[10:11]
	v_mul_lo_u32 v13, s7, v7
	v_mul_lo_u32 v12, s6, v12
	v_mad_co_u64_u32 v[6:7], null, s6, v7, 0
	v_add3_u32 v5, v5, v9, v8
	v_add_co_u32 v8, vcc_lo, v10, 5
	v_mad_co_u64_u32 v[26:27], null, s6, v16, s[8:9]
	v_mul_lo_u32 v55, s6, v28
	v_mul_lo_u32 v56, s7, v16
	v_mad_co_u64_u32 v[40:41], null, s6, v16, s[10:11]
	s_wait_alu 0xfffd
	v_add_co_ci_u32_e64 v9, null, 0, v11, vcc_lo
	v_add3_u32 v7, v7, v12, v13
	v_mad_co_u64_u32 v[28:29], null, s6, v42, s[8:9]
	v_mul_lo_u32 v57, s6, v30
	v_mul_lo_u32 v58, s7, v42
	v_mad_co_u64_u32 v[42:43], null, s6, v42, s[10:11]
	v_lshlrev_b64_e32 v[4:5], 1, v[4:5]
	v_mad_co_u64_u32 v[30:31], null, s6, v44, s[8:9]
	v_mul_lo_u32 v60, s7, v44
	v_mad_co_u64_u32 v[44:45], null, s6, v44, s[10:11]
	v_mul_lo_u32 v12, s7, v8
	v_mul_lo_u32 v13, s6, v9
	v_mad_co_u64_u32 v[8:9], null, s6, v8, 0
	v_lshlrev_b64_e32 v[6:7], 1, v[6:7]
	v_add3_u32 v27, v56, v27, v55
	v_add3_u32 v41, v56, v41, v55
	v_add_co_u32 v55, vcc_lo, s8, v4
	v_add3_u32 v29, v58, v29, v57
	v_add3_u32 v43, v58, v43, v57
	s_wait_alu 0xfffd
	v_add_co_ci_u32_e64 v56, null, s9, v5, vcc_lo
	v_add_co_u32 v57, vcc_lo, s10, v4
	v_add3_u32 v31, v60, v31, v59
	v_add3_u32 v45, v60, v45, v59
	s_wait_alu 0xfffd
	v_add_co_ci_u32_e64 v58, null, s11, v5, vcc_lo
	v_add_co_u32 v59, vcc_lo, s8, v6
	v_mul_lo_u32 v14, s6, v14
	v_add3_u32 v9, v9, v13, v12
	s_wait_alu 0xfffd
	v_add_co_ci_u32_e64 v60, null, s9, v7, vcc_lo
	v_add_co_u32 v12, vcc_lo, v10, 4
	s_wait_kmcnt 0x0
	s_lshl_b32 s16, s2, 7
	v_add3_u32 v33, v62, v33, v61
	v_add3_u32 v47, v62, v47, v61
	v_add_co_u32 v61, s2, s10, v6
	s_wait_alu 0xfffd
	v_add_co_ci_u32_e64 v6, null, 0, v11, vcc_lo
	v_lshlrev_b64_e32 v[4:5], 1, v[8:9]
	v_add_co_u32 v8, vcc_lo, v10, 3
	s_wait_alu 0xfffd
	v_add_co_ci_u32_e64 v9, null, 0, v11, vcc_lo
	v_add3_u32 v25, v17, v25, v14
	v_add3_u32 v39, v17, v39, v14
	s_wait_alu 0xf1ff
	v_add_co_ci_u32_e64 v62, null, s11, v7, s2
	v_mul_lo_u32 v13, s7, v12
	v_mul_lo_u32 v14, s6, v6
	v_mad_co_u64_u32 v[6:7], null, s6, v12, 0
	v_mul_lo_u32 v12, s7, v8
	v_mul_lo_u32 v15, s6, v9
	v_mad_co_u64_u32 v[8:9], null, s6, v8, 0
	v_add_co_u32 v63, vcc_lo, s8, v4
	s_wait_alu 0xfffd
	v_add_co_ci_u32_e64 v64, null, s9, v5, vcc_lo
	v_add3_u32 v7, v7, v14, v13
	v_add_co_u32 v65, vcc_lo, s10, v4
	s_wait_alu 0xfffd
	v_add_co_ci_u32_e64 v66, null, s11, v5, vcc_lo
	v_add_co_u32 v10, vcc_lo, v10, 2
	v_add3_u32 v9, v9, v15, v12
	s_wait_alu 0xfffd
	v_add_co_ci_u32_e64 v11, null, 0, v11, vcc_lo
	v_lshlrev_b64_e32 v[4:5], 1, v[6:7]
	v_mul_lo_u32 v12, s7, v10
	v_lshlrev_b64_e32 v[6:7], 1, v[8:9]
	s_delay_alu instid0(VALU_DEP_4)
	v_mul_lo_u32 v11, s6, v11
	v_mad_co_u64_u32 v[8:9], null, s6, v10, 0
	v_add_co_u32 v67, vcc_lo, s8, v4
	s_wait_alu 0xfffd
	v_add_co_ci_u32_e64 v68, null, s9, v5, vcc_lo
	v_add_co_u32 v69, vcc_lo, s10, v4
	s_wait_alu 0xfffd
	v_add_co_ci_u32_e64 v70, null, s11, v5, vcc_lo
	;; [unrolled: 3-line block ×3, first 2 shown]
	v_add3_u32 v9, v9, v11, v12
	v_add_co_u32 v73, vcc_lo, s10, v6
	s_wait_alu 0xfffd
	v_add_co_ci_u32_e64 v74, null, s11, v7, vcc_lo
	v_add_co_u32 v2, vcc_lo, v2, s6
	s_wait_alu 0xfffd
	v_add_co_ci_u32_e64 v3, null, s7, v3, vcc_lo
	v_lshlrev_b64_e32 v[4:5], 1, v[8:9]
	s_wait_alu 0xfffe
	s_mul_u64 s[18:19], s[6:7], s[16:17]
	s_delay_alu instid0(VALU_DEP_2) | instskip(NEXT) | instid1(VALU_DEP_2)
	v_lshlrev_b64_e32 v[2:3], 1, v[2:3]
	v_add_co_u32 v75, vcc_lo, s8, v4
	s_wait_alu 0xfffd
	v_add_co_ci_u32_e64 v76, null, s9, v5, vcc_lo
	v_add_co_u32 v77, vcc_lo, s10, v4
	s_wait_alu 0xfffd
	v_add_co_ci_u32_e64 v78, null, s11, v5, vcc_lo
	v_add_co_u32 v79, vcc_lo, s8, v2
	s_wait_alu 0xfffd
	v_add_co_ci_u32_e64 v80, null, s9, v3, vcc_lo
	v_add_co_u32 v81, vcc_lo, s10, v2
	s_wait_alu 0xfffd
	v_add_co_ci_u32_e64 v82, null, s11, v3, vcc_lo
	s_add_nc_u64 s[8:9], s[0:1], 64
	s_wait_alu 0xfffe
	s_lshl_b64 s[10:11], s[18:19], 1
	s_add_nc_u64 s[18:19], s[14:15], 0x7f
.LBB172_53:                             ; =>This Inner Loop Header: Depth=1
	s_wait_alu 0xfffe
	v_cmp_ge_i64_e64 s2, s[18:19], s[4:5]
	v_add_co_u32 v84, s20, v49, s18
	s_wait_alu 0xf1ff
	v_add_co_ci_u32_e64 v85, null, 0, s19, s20
                                        ; implicit-def: $vgpr86
	s_and_b32 vcc_lo, exec_lo, s2
	s_mov_b32 s2, -1
	s_wait_alu 0xfffe
	s_cbranch_vccz .LBB172_75
; %bb.54:                               ;   in Loop: Header=BB172_53 Depth=1
	s_load_b32 s2, s[8:9], 0xc
	v_mov_b32_e32 v87, 0
	s_wait_kmcnt 0x0
	s_and_b32 s2, s2, 0xffff
	s_wait_alu 0xfffe
	v_mad_u32_u24 v2, v48, s2, v50
	s_mov_b32 s2, exec_lo
	s_delay_alu instid0(VALU_DEP_1) | instskip(NEXT) | instid1(VALU_DEP_1)
	v_and_b32_e32 v2, 31, v2
	v_cmpx_gt_u32_e32 8, v2
	s_cbranch_execz .LBB172_58
; %bb.55:                               ;   in Loop: Header=BB172_53 Depth=1
	v_add_co_u32 v2, vcc_lo, v84, v2
	s_wait_alu 0xfffd
	v_add_co_ci_u32_e64 v3, null, 0, v85, vcc_lo
	v_mov_b32_e32 v87, 0
	s_delay_alu instid0(VALU_DEP_3) | instskip(SKIP_1) | instid1(VALU_DEP_3)
	v_add_co_u32 v2, vcc_lo, 0xffffff81, v2
	s_wait_alu 0xfffd
	v_add_co_ci_u32_e64 v3, null, -1, v3, vcc_lo
	s_mov_b32 s20, exec_lo
	v_cmpx_gt_i64_e64 s[4:5], v[2:3]
	s_cbranch_execz .LBB172_57
; %bb.56:                               ;   in Loop: Header=BB172_53 Depth=1
	v_lshlrev_b64_e32 v[2:3], 2, v[2:3]
	s_delay_alu instid0(VALU_DEP_1) | instskip(SKIP_1) | instid1(VALU_DEP_2)
	v_add_co_u32 v2, vcc_lo, s12, v2
	s_wait_alu 0xfffd
	v_add_co_ci_u32_e64 v3, null, s13, v3, vcc_lo
	global_load_b32 v87, v[2:3], off
.LBB172_57:                             ;   in Loop: Header=BB172_53 Depth=1
	s_wait_alu 0xfffe
	s_or_b32 exec_lo, exec_lo, s20
.LBB172_58:                             ;   in Loop: Header=BB172_53 Depth=1
	s_wait_alu 0xfffe
	s_or_b32 exec_lo, exec_lo, s2
	v_add_co_u32 v9, vcc_lo, 0xffffff81, v84
	s_wait_alu 0xfffd
	v_add_co_ci_u32_e64 v10, null, -1, v85, vcc_lo
	v_mov_b32_e32 v8, v1
	v_dual_mov_b32 v2, v1 :: v_dual_mov_b32 v3, v1
	v_dual_mov_b32 v4, v1 :: v_dual_mov_b32 v5, v1
	v_dual_mov_b32 v6, v1 :: v_dual_mov_b32 v7, v1
	v_cmp_gt_i64_e32 vcc_lo, s[4:5], v[9:10]
	s_delay_alu instid0(VALU_DEP_3) | instskip(NEXT) | instid1(VALU_DEP_3)
	v_dual_mov_b32 v17, v8 :: v_dual_mov_b32 v14, v5
	v_dual_mov_b32 v15, v6 :: v_dual_mov_b32 v16, v7
	;; [unrolled: 1-line block ×4, first 2 shown]
	v_mov_b32_e32 v9, v8
	v_mov_b32_e32 v8, v7
	;; [unrolled: 1-line block ×8, first 2 shown]
	s_and_saveexec_b32 s2, vcc_lo
	s_cbranch_execz .LBB172_60
; %bb.59:                               ;   in Loop: Header=BB172_53 Depth=1
	v_add_co_u32 v2, vcc_lo, v51, v18
	s_wait_alu 0xfffd
	v_add_co_ci_u32_e64 v3, null, v52, v19, vcc_lo
	v_add_co_u32 v4, vcc_lo, v53, v18
	s_wait_alu 0xfffd
	v_add_co_ci_u32_e64 v5, null, v54, v19, vcc_lo
	global_load_u16 v2, v[2:3], off
	global_load_u16 v10, v[4:5], off
	v_dual_mov_b32 v3, v1 :: v_dual_mov_b32 v4, v1
	v_dual_mov_b32 v5, v1 :: v_dual_mov_b32 v6, v1
	v_dual_mov_b32 v7, v1 :: v_dual_mov_b32 v8, v1
	v_dual_mov_b32 v9, v1 :: v_dual_mov_b32 v12, v1
	v_dual_mov_b32 v11, v1 :: v_dual_mov_b32 v14, v1
	v_dual_mov_b32 v13, v1 :: v_dual_mov_b32 v16, v1
	v_mov_b32_e32 v15, v1
	v_mov_b32_e32 v17, v1
	s_wait_loadcnt 0x1
	v_cvt_f32_f16_e32 v2, v2
	s_wait_loadcnt 0x0
	v_cvt_f32_f16_e32 v10, v10
.LBB172_60:                             ;   in Loop: Header=BB172_53 Depth=1
	s_wait_alu 0xfffe
	s_or_b32 exec_lo, exec_lo, s2
	v_add_co_u32 v88, vcc_lo, 0xffffff82, v84
	s_wait_alu 0xfffd
	v_add_co_ci_u32_e64 v89, null, -1, v85, vcc_lo
	s_mov_b32 s2, exec_lo
	v_cmpx_gt_i64_e64 s[4:5], v[88:89]
	s_cbranch_execz .LBB172_62
; %bb.61:                               ;   in Loop: Header=BB172_53 Depth=1
	v_add_co_u32 v88, vcc_lo, v79, v18
	s_wait_alu 0xfffd
	v_add_co_ci_u32_e64 v89, null, v80, v19, vcc_lo
	v_add_co_u32 v90, vcc_lo, v81, v18
	s_wait_alu 0xfffd
	v_add_co_ci_u32_e64 v91, null, v82, v19, vcc_lo
	global_load_u16 v3, v[88:89], off
	global_load_u16 v11, v[90:91], off
	s_wait_loadcnt 0x1
	v_cvt_f32_f16_e32 v3, v3
	s_wait_loadcnt 0x0
	v_cvt_f32_f16_e32 v11, v11
.LBB172_62:                             ;   in Loop: Header=BB172_53 Depth=1
	s_wait_alu 0xfffe
	s_or_b32 exec_lo, exec_lo, s2
	v_add_co_u32 v88, vcc_lo, 0xffffff83, v84
	s_wait_alu 0xfffd
	v_add_co_ci_u32_e64 v89, null, -1, v85, vcc_lo
	s_mov_b32 s2, exec_lo
	v_cmpx_gt_i64_e64 s[4:5], v[88:89]
	s_cbranch_execz .LBB172_64
; %bb.63:                               ;   in Loop: Header=BB172_53 Depth=1
	v_add_co_u32 v88, vcc_lo, v75, v18
	s_wait_alu 0xfffd
	v_add_co_ci_u32_e64 v89, null, v76, v19, vcc_lo
	v_add_co_u32 v90, vcc_lo, v77, v18
	s_wait_alu 0xfffd
	v_add_co_ci_u32_e64 v91, null, v78, v19, vcc_lo
	global_load_u16 v4, v[88:89], off
	global_load_u16 v12, v[90:91], off
	s_wait_loadcnt 0x1
	v_cvt_f32_f16_e32 v4, v4
	s_wait_loadcnt 0x0
	v_cvt_f32_f16_e32 v12, v12
.LBB172_64:                             ;   in Loop: Header=BB172_53 Depth=1
	;; [unrolled: 22-line block ×7, first 2 shown]
	s_wait_alu 0xfffe
	s_or_b32 exec_lo, exec_lo, s2
	s_wait_loadcnt 0x0
	ds_bpermute_b32 v86, v1, v87
	ds_bpermute_b32 v88, v1, v87 offset:4
	ds_bpermute_b32 v89, v1, v87 offset:8
	v_dual_mul_f32 v2, v10, v2 :: v_dual_mul_f32 v3, v11, v3
	ds_bpermute_b32 v10, v1, v87 offset:12
	ds_bpermute_b32 v11, v1, v87 offset:16
	s_mov_b32 s2, 0
	s_wait_dscnt 0x4
	v_fma_f32 v86, v2, v86, v83
	v_mul_f32_e32 v2, v12, v4
	ds_bpermute_b32 v4, v1, v87 offset:20
	s_wait_dscnt 0x4
	v_dual_fmac_f32 v86, v3, v88 :: v_dual_mul_f32 v3, v13, v5
	ds_bpermute_b32 v5, v1, v87 offset:24
	s_wait_dscnt 0x4
	v_fmac_f32_e32 v86, v2, v89
	v_mul_f32_e32 v2, v14, v6
	v_mul_f32_e32 v6, v15, v7
	s_wait_dscnt 0x3
	s_delay_alu instid0(VALU_DEP_3)
	v_fmac_f32_e32 v86, v3, v10
	ds_bpermute_b32 v3, v1, v87 offset:28
	s_wait_dscnt 0x3
	v_fmac_f32_e32 v86, v2, v11
	v_mul_f32_e32 v2, v16, v8
	s_wait_dscnt 0x2
	s_delay_alu instid0(VALU_DEP_2) | instskip(SKIP_1) | instid1(VALU_DEP_1)
	v_fmac_f32_e32 v86, v6, v4
	s_wait_dscnt 0x1
	v_fmac_f32_e32 v86, v2, v5
	v_mul_f32_e32 v2, v17, v9
	s_wait_dscnt 0x0
	s_delay_alu instid0(VALU_DEP_1)
	v_fmac_f32_e32 v86, v2, v3
.LBB172_75:                             ;   in Loop: Header=BB172_53 Depth=1
	s_wait_alu 0xfffe
	s_and_b32 vcc_lo, exec_lo, s2
	s_wait_alu 0xfffe
	s_cbranch_vccz .LBB172_81
; %bb.76:                               ;   in Loop: Header=BB172_53 Depth=1
	s_load_b32 s2, s[8:9], 0x0
	v_mov_b32_e32 v4, 0
	s_wait_kmcnt 0x0
	s_cmp_lt_u32 ttmp9, s2
	s_cselect_b32 s2, 12, 18
	s_wait_alu 0xfffe
	s_add_nc_u64 s[20:21], s[8:9], s[2:3]
	s_load_u16 s2, s[20:21], 0x0
	s_wait_kmcnt 0x0
	v_mad_u32_u24 v2, v48, s2, v50
	s_mov_b32 s2, exec_lo
	s_delay_alu instid0(VALU_DEP_1) | instskip(NEXT) | instid1(VALU_DEP_1)
	v_and_b32_e32 v2, 31, v2
	v_cmpx_gt_u32_e32 8, v2
	s_cbranch_execz .LBB172_80
; %bb.77:                               ;   in Loop: Header=BB172_53 Depth=1
	v_add_co_u32 v2, vcc_lo, v84, v2
	s_wait_alu 0xfffd
	v_add_co_ci_u32_e64 v3, null, 0, v85, vcc_lo
	v_mov_b32_e32 v4, 0
	s_delay_alu instid0(VALU_DEP_3) | instskip(SKIP_1) | instid1(VALU_DEP_3)
	v_add_co_u32 v2, vcc_lo, 0xffffff81, v2
	s_wait_alu 0xfffd
	v_add_co_ci_u32_e64 v3, null, -1, v3, vcc_lo
	s_mov_b32 s20, exec_lo
	v_cmpx_gt_i64_e64 s[4:5], v[2:3]
	s_cbranch_execz .LBB172_79
; %bb.78:                               ;   in Loop: Header=BB172_53 Depth=1
	v_lshlrev_b64_e32 v[2:3], 2, v[2:3]
	s_delay_alu instid0(VALU_DEP_1) | instskip(SKIP_1) | instid1(VALU_DEP_2)
	v_add_co_u32 v2, vcc_lo, s12, v2
	s_wait_alu 0xfffd
	v_add_co_ci_u32_e64 v3, null, s13, v3, vcc_lo
	global_load_b32 v4, v[2:3], off
.LBB172_79:                             ;   in Loop: Header=BB172_53 Depth=1
	s_wait_alu 0xfffe
	s_or_b32 exec_lo, exec_lo, s20
.LBB172_80:                             ;   in Loop: Header=BB172_53 Depth=1
	s_wait_alu 0xfffe
	s_or_b32 exec_lo, exec_lo, s2
	v_add_co_u32 v2, vcc_lo, v51, v18
	s_wait_alu 0xfffd
	v_add_co_ci_u32_e64 v3, null, v52, v19, vcc_lo
	v_add_co_u32 v5, vcc_lo, v53, v18
	s_wait_alu 0xfffd
	v_add_co_ci_u32_e64 v6, null, v54, v19, vcc_lo
	;; [unrolled: 3-line block ×5, first 2 shown]
	global_load_u16 v13, v[2:3], off
	global_load_u16 v14, v[5:6], off
	;; [unrolled: 1-line block ×5, first 2 shown]
	v_add_co_u32 v2, vcc_lo, v36, v18
	s_wait_alu 0xfffd
	v_add_co_ci_u32_e64 v3, null, v37, v19, vcc_lo
	v_add_co_u32 v5, vcc_lo, v24, v18
	s_wait_alu 0xfffd
	v_add_co_ci_u32_e64 v6, null, v25, v19, vcc_lo
	;; [unrolled: 3-line block ×5, first 2 shown]
	global_load_u16 v84, v[2:3], off
	global_load_u16 v85, v[5:6], off
	;; [unrolled: 1-line block ×5, first 2 shown]
	v_add_co_u32 v2, vcc_lo, v28, v18
	s_wait_alu 0xfffd
	v_add_co_ci_u32_e64 v3, null, v29, v19, vcc_lo
	v_add_co_u32 v5, vcc_lo, v42, v18
	s_wait_alu 0xfffd
	v_add_co_ci_u32_e64 v6, null, v43, v19, vcc_lo
	;; [unrolled: 3-line block ×4, first 2 shown]
	global_load_u16 v12, v[2:3], off
	global_load_u16 v88, v[5:6], off
	;; [unrolled: 1-line block ×4, first 2 shown]
	v_add_co_u32 v2, vcc_lo, v32, v18
	s_wait_alu 0xfffd
	v_add_co_ci_u32_e64 v3, null, v33, v19, vcc_lo
	v_add_co_u32 v5, vcc_lo, v46, v18
	s_wait_alu 0xfffd
	v_add_co_ci_u32_e64 v6, null, v47, v19, vcc_lo
	global_load_u16 v2, v[2:3], off
	global_load_u16 v3, v[5:6], off
	s_wait_loadcnt 0x10
	ds_bpermute_b32 v5, v1, v4
	ds_bpermute_b32 v6, v1, v4 offset:4
	ds_bpermute_b32 v9, v1, v4 offset:8
	s_wait_loadcnt 0xf
	v_cvt_f32_f16_e32 v10, v13
	s_wait_loadcnt 0xe
	v_cvt_f32_f16_e32 v13, v14
	ds_bpermute_b32 v14, v1, v4 offset:12
	s_wait_loadcnt 0xd
	v_cvt_f32_f16_e32 v15, v15
	s_wait_loadcnt 0xc
	v_cvt_f32_f16_e32 v16, v16
	;; [unrolled: 2-line block ×3, first 2 shown]
	v_mul_f32_e32 v10, v10, v13
	ds_bpermute_b32 v13, v1, v4 offset:16
	v_mul_f32_e32 v15, v15, v16
	s_wait_dscnt 0x4
	v_fmac_f32_e32 v83, v10, v5
	ds_bpermute_b32 v5, v1, v4 offset:20
	s_wait_loadcnt 0xa
	v_cvt_f32_f16_e32 v84, v84
	s_wait_loadcnt 0x9
	v_cvt_f32_f16_e32 v10, v85
	s_wait_loadcnt 0x8
	v_cvt_f32_f16_e32 v16, v86
	s_wait_dscnt 0x4
	v_fmac_f32_e32 v83, v15, v6
	ds_bpermute_b32 v6, v1, v4 offset:24
	s_wait_loadcnt 0x7
	v_cvt_f32_f16_e32 v15, v87
	s_wait_loadcnt 0x6
	v_cvt_f32_f16_e32 v11, v11
	v_mul_f32_e32 v10, v10, v16
	ds_bpermute_b32 v4, v1, v4 offset:28
	v_mul_f32_e32 v11, v15, v11
	s_wait_loadcnt 0x3
	v_cvt_f32_f16_e32 v7, v7
	s_wait_loadcnt 0x2
	v_cvt_f32_f16_e32 v8, v8
	s_delay_alu instid0(VALU_DEP_1) | instskip(SKIP_4) | instid1(VALU_DEP_1)
	v_mul_f32_e32 v7, v7, v8
	s_wait_loadcnt 0x1
	v_cvt_f32_f16_e32 v2, v2
	s_wait_loadcnt 0x0
	v_cvt_f32_f16_e32 v3, v3
	v_dual_mul_f32 v17, v17, v84 :: v_dual_mul_f32 v2, v2, v3
	s_wait_dscnt 0x5
	s_delay_alu instid0(VALU_DEP_1) | instskip(SKIP_3) | instid1(VALU_DEP_3)
	v_fmac_f32_e32 v83, v17, v9
	v_cvt_f32_f16_e32 v9, v12
	v_cvt_f32_f16_e32 v12, v88
	s_wait_dscnt 0x4
	v_fmac_f32_e32 v83, v10, v14
	s_delay_alu instid0(VALU_DEP_2) | instskip(SKIP_1) | instid1(VALU_DEP_2)
	v_mul_f32_e32 v9, v9, v12
	s_wait_dscnt 0x3
	v_fmac_f32_e32 v83, v11, v13
	s_wait_dscnt 0x2
	s_delay_alu instid0(VALU_DEP_1) | instskip(SKIP_1) | instid1(VALU_DEP_1)
	v_fmac_f32_e32 v83, v9, v5
	s_wait_dscnt 0x1
	v_fmac_f32_e32 v83, v7, v6
	s_wait_dscnt 0x0
	s_delay_alu instid0(VALU_DEP_1) | instskip(NEXT) | instid1(VALU_DEP_1)
	v_fmac_f32_e32 v83, v2, v4
	v_mov_b32_e32 v86, v83
.LBB172_81:                             ;   in Loop: Header=BB172_53 Depth=1
	v_add_co_u32 v51, vcc_lo, v51, s10
	s_wait_alu 0xfffd
	v_add_co_ci_u32_e64 v52, null, s11, v52, vcc_lo
	v_add_co_u32 v53, vcc_lo, v53, s10
	s_wait_alu 0xfffd
	v_add_co_ci_u32_e64 v54, null, s11, v54, vcc_lo
	;; [unrolled: 3-line block ×27, first 2 shown]
	v_add_co_u32 v77, vcc_lo, v77, s10
	s_add_nc_u64 s[14:15], s[14:15], s[16:17]
	s_wait_alu 0xfffd
	v_add_co_ci_u32_e64 v78, null, s11, v78, vcc_lo
	v_add_co_u32 v79, vcc_lo, v79, s10
	s_wait_alu 0xfffe
	v_cmp_ge_i64_e64 s2, s[14:15], s[4:5]
	s_wait_alu 0xfffd
	v_add_co_ci_u32_e64 v80, null, s11, v80, vcc_lo
	v_add_co_u32 v81, vcc_lo, v81, s10
	s_wait_alu 0xfffd
	v_add_co_ci_u32_e64 v82, null, s11, v82, vcc_lo
	s_and_b32 vcc_lo, exec_lo, s2
	s_add_nc_u64 s[18:19], s[18:19], s[16:17]
	s_wait_alu 0xfffe
	s_cbranch_vccnz .LBB172_83
; %bb.82:                               ;   in Loop: Header=BB172_53 Depth=1
	v_mov_b32_e32 v83, v86
	s_branch .LBB172_53
.LBB172_83:
	v_dual_mov_b32 v4, 0 :: v_dual_and_b32 v5, 0x3ff, v0
	v_bfe_u32 v0, v0, 10, 10
	s_mov_b32 s2, exec_lo
	s_delay_alu instid0(VALU_DEP_1) | instskip(NEXT) | instid1(VALU_DEP_1)
	v_mad_u32_u24 v1, 0x41, v0, v5
	v_lshl_add_u32 v2, v1, 2, 0
	v_sub_nc_u32_e32 v3, v1, v0
	ds_store_b32 v2, v86
	ds_store_b32 v2, v4 offset:4160
	s_wait_dscnt 0x0
	s_barrier_signal -1
	s_barrier_wait -1
	global_inv scope:SCOPE_SE
	v_cmpx_gt_u32_e32 0x800, v3
	s_cbranch_execz .LBB172_93
; %bb.84:
	s_load_b64 s[2:3], s[0:1], 0x30
	v_and_b32_e32 v0, 31, v5
	v_lshrrev_b32_e32 v2, 5, v3
	s_delay_alu instid0(VALU_DEP_2)
	v_cmp_gt_u32_e32 vcc_lo, 16, v0
	v_mul_u32_u24_e32 v4, 0x41, v0
                                        ; implicit-def: $vgpr0
	s_and_saveexec_b32 s0, vcc_lo
	s_cbranch_execz .LBB172_86
; %bb.85:
	v_lshlrev_b32_e32 v0, 2, v2
	s_delay_alu instid0(VALU_DEP_2) | instskip(NEXT) | instid1(VALU_DEP_1)
	v_lshlrev_b32_e32 v1, 2, v4
	v_add3_u32 v0, 0, v0, v1
	ds_load_b32 v0, v0
.LBB172_86:
	s_or_b32 exec_lo, exec_lo, s0
	v_mbcnt_lo_u32_b32 v1, -1, 0
	s_mov_b32 s4, ttmp9
	s_mov_b32 s5, 0
	s_wait_alu 0xfffe
	s_lshl_b64 s[4:5], s[4:5], 6
	v_xor_b32_e32 v6, 8, v1
	v_xor_b32_e32 v7, 4, v1
	;; [unrolled: 1-line block ×3, first 2 shown]
	s_wait_kmcnt 0x0
	s_cmp_eq_u64 s[2:3], 0
	s_cselect_b32 s8, -1, 0
	v_cmp_gt_i32_e64 s0, 32, v6
	s_delay_alu instid0(VALU_DEP_1) | instskip(SKIP_1) | instid1(VALU_DEP_2)
	v_cndmask_b32_e64 v6, v1, v6, s0
	v_cmp_gt_i32_e64 s0, 32, v7
	v_lshlrev_b32_e32 v6, 2, v6
	s_wait_alu 0xf1ff
	s_delay_alu instid0(VALU_DEP_2)
	v_cndmask_b32_e64 v7, v1, v7, s0
	s_wait_dscnt 0x0
	ds_bpermute_b32 v8, v6, v0
	s_wait_dscnt 0x0
	v_dual_add_f32 v0, v0, v8 :: v_dual_lshlrev_b32 v7, 2, v7
	v_xor_b32_e32 v8, 2, v1
	ds_bpermute_b32 v9, v7, v0
	v_cmp_gt_i32_e64 s0, 32, v8
	s_wait_alu 0xf1ff
	s_delay_alu instid0(VALU_DEP_1) | instskip(SKIP_1) | instid1(VALU_DEP_2)
	v_cndmask_b32_e64 v8, v1, v8, s0
	v_cmp_gt_i32_e64 s0, 32, v10
	v_lshlrev_b32_e32 v8, 2, v8
	s_wait_alu 0xf1ff
	s_delay_alu instid0(VALU_DEP_2)
	v_cndmask_b32_e64 v1, v1, v10, s0
	v_cmp_ne_u32_e64 s0, 0, v5
	s_wait_dscnt 0x0
	v_add_f32_e32 v0, v0, v9
	ds_bpermute_b32 v9, v8, v0
	s_wait_dscnt 0x0
	v_add_f32_e32 v10, v0, v9
	v_lshlrev_b32_e32 v9, 2, v1
	s_wait_alu 0xfffe
	v_or_b32_e32 v0, s4, v2
	v_mov_b32_e32 v1, s5
	ds_bpermute_b32 v11, v9, v10
	v_cmp_le_i64_e64 s1, s[6:7], v[0:1]
	s_or_b32 s1, s0, s1
	s_wait_alu 0xfffe
	s_nor_b32 s1, s8, s1
	s_wait_dscnt 0x0
	v_add_f32_e32 v5, v10, v11
	s_wait_alu 0xfffe
	s_and_saveexec_b32 s9, s1
	s_cbranch_execz .LBB172_88
; %bb.87:
	v_lshlrev_b64_e32 v[0:1], 1, v[0:1]
	v_cvt_f16_f32_e32 v10, v5
	s_delay_alu instid0(VALU_DEP_2) | instskip(SKIP_1) | instid1(VALU_DEP_3)
	v_add_co_u32 v0, s1, s2, v0
	s_wait_alu 0xf1ff
	v_add_co_ci_u32_e64 v1, null, s3, v1, s1
	global_store_b16 v[0:1], v10, off
.LBB172_88:
	s_wait_alu 0xfffe
	s_or_b32 exec_lo, exec_lo, s9
	v_cmp_gt_u32_e64 s1, 0x400, v3
	s_and_b32 exec_lo, exec_lo, s1
	s_cbranch_execz .LBB172_93
; %bb.89:
	s_and_saveexec_b32 s1, vcc_lo
	s_cbranch_execz .LBB172_91
; %bb.90:
	v_lshlrev_b32_e32 v0, 2, v2
	v_lshlrev_b32_e32 v1, 2, v4
	s_delay_alu instid0(VALU_DEP_1)
	v_add3_u32 v0, 0, v0, v1
	ds_load_b32 v5, v0 offset:128
.LBB172_91:
	s_wait_alu 0xfffe
	s_or_b32 exec_lo, exec_lo, s1
	s_wait_dscnt 0x0
	ds_bpermute_b32 v0, v6, v5
	v_dual_mov_b32 v4, s5 :: v_dual_add_nc_u32 v3, 32, v2
	s_delay_alu instid0(VALU_DEP_1) | instskip(NEXT) | instid1(VALU_DEP_1)
	v_or_b32_e32 v3, s4, v3
	v_cmp_le_i64_e32 vcc_lo, s[6:7], v[3:4]
	s_or_b32 s0, s0, vcc_lo
	s_wait_dscnt 0x0
	v_add_f32_e32 v0, v5, v0
	s_wait_alu 0xfffe
	s_nor_b32 s0, s8, s0
	ds_bpermute_b32 v1, v7, v0
	s_wait_dscnt 0x0
	v_add_f32_e32 v0, v0, v1
	ds_bpermute_b32 v1, v8, v0
	s_wait_dscnt 0x0
	v_add_f32_e32 v0, v0, v1
	ds_bpermute_b32 v1, v9, v0
	s_wait_alu 0xfffe
	s_and_saveexec_b32 s1, s0
	s_wait_alu 0xfffe
	s_xor_b32 s1, exec_lo, s1
	s_cbranch_execz .LBB172_93
; %bb.92:
	v_add_co_u32 v2, s0, s4, v2
	s_wait_alu 0xf1ff
	v_add_co_ci_u32_e64 v3, null, s5, 0, s0
	s_wait_dscnt 0x0
	v_add_f32_e32 v4, v0, v1
	s_delay_alu instid0(VALU_DEP_2) | instskip(NEXT) | instid1(VALU_DEP_1)
	v_lshlrev_b64_e32 v[2:3], 1, v[2:3]
	v_add_co_u32 v0, vcc_lo, s2, v2
	s_wait_alu 0xfffd
	s_delay_alu instid0(VALU_DEP_2)
	v_add_co_ci_u32_e64 v1, null, s3, v3, vcc_lo
	v_cvt_f16_f32_e32 v2, v4
	global_store_b16 v[0:1], v2, off offset:64
.LBB172_93:
	s_endpgm
	.section	.rodata,"a",@progbits
	.p2align	6, 0x0
	.amdhsa_kernel _ZN2at6native12_GLOBAL__N_135GammaBetaBackwardCUDAKernelTemplateIN3c104HalfEfLj64ELj16ELj128ELb0ELb0ELb1EEEvllPKT_S7_PKT0_SA_PS5_SB_
		.amdhsa_group_segment_fixed_size 0
		.amdhsa_private_segment_fixed_size 0
		.amdhsa_kernarg_size 320
		.amdhsa_user_sgpr_count 2
		.amdhsa_user_sgpr_dispatch_ptr 0
		.amdhsa_user_sgpr_queue_ptr 0
		.amdhsa_user_sgpr_kernarg_segment_ptr 1
		.amdhsa_user_sgpr_dispatch_id 0
		.amdhsa_user_sgpr_private_segment_size 0
		.amdhsa_wavefront_size32 1
		.amdhsa_uses_dynamic_stack 0
		.amdhsa_enable_private_segment 0
		.amdhsa_system_sgpr_workgroup_id_x 1
		.amdhsa_system_sgpr_workgroup_id_y 1
		.amdhsa_system_sgpr_workgroup_id_z 0
		.amdhsa_system_sgpr_workgroup_info 0
		.amdhsa_system_vgpr_workitem_id 1
		.amdhsa_next_free_vgpr 92
		.amdhsa_next_free_sgpr 32
		.amdhsa_reserve_vcc 1
		.amdhsa_float_round_mode_32 0
		.amdhsa_float_round_mode_16_64 0
		.amdhsa_float_denorm_mode_32 3
		.amdhsa_float_denorm_mode_16_64 3
		.amdhsa_fp16_overflow 0
		.amdhsa_workgroup_processor_mode 1
		.amdhsa_memory_ordered 1
		.amdhsa_forward_progress 1
		.amdhsa_inst_pref_size 77
		.amdhsa_round_robin_scheduling 0
		.amdhsa_exception_fp_ieee_invalid_op 0
		.amdhsa_exception_fp_denorm_src 0
		.amdhsa_exception_fp_ieee_div_zero 0
		.amdhsa_exception_fp_ieee_overflow 0
		.amdhsa_exception_fp_ieee_underflow 0
		.amdhsa_exception_fp_ieee_inexact 0
		.amdhsa_exception_int_div_zero 0
	.end_amdhsa_kernel
	.section	.text._ZN2at6native12_GLOBAL__N_135GammaBetaBackwardCUDAKernelTemplateIN3c104HalfEfLj64ELj16ELj128ELb0ELb0ELb1EEEvllPKT_S7_PKT0_SA_PS5_SB_,"axG",@progbits,_ZN2at6native12_GLOBAL__N_135GammaBetaBackwardCUDAKernelTemplateIN3c104HalfEfLj64ELj16ELj128ELb0ELb0ELb1EEEvllPKT_S7_PKT0_SA_PS5_SB_,comdat
.Lfunc_end172:
	.size	_ZN2at6native12_GLOBAL__N_135GammaBetaBackwardCUDAKernelTemplateIN3c104HalfEfLj64ELj16ELj128ELb0ELb0ELb1EEEvllPKT_S7_PKT0_SA_PS5_SB_, .Lfunc_end172-_ZN2at6native12_GLOBAL__N_135GammaBetaBackwardCUDAKernelTemplateIN3c104HalfEfLj64ELj16ELj128ELb0ELb0ELb1EEEvllPKT_S7_PKT0_SA_PS5_SB_
                                        ; -- End function
	.set _ZN2at6native12_GLOBAL__N_135GammaBetaBackwardCUDAKernelTemplateIN3c104HalfEfLj64ELj16ELj128ELb0ELb0ELb1EEEvllPKT_S7_PKT0_SA_PS5_SB_.num_vgpr, 92
	.set _ZN2at6native12_GLOBAL__N_135GammaBetaBackwardCUDAKernelTemplateIN3c104HalfEfLj64ELj16ELj128ELb0ELb0ELb1EEEvllPKT_S7_PKT0_SA_PS5_SB_.num_agpr, 0
	.set _ZN2at6native12_GLOBAL__N_135GammaBetaBackwardCUDAKernelTemplateIN3c104HalfEfLj64ELj16ELj128ELb0ELb0ELb1EEEvllPKT_S7_PKT0_SA_PS5_SB_.numbered_sgpr, 32
	.set _ZN2at6native12_GLOBAL__N_135GammaBetaBackwardCUDAKernelTemplateIN3c104HalfEfLj64ELj16ELj128ELb0ELb0ELb1EEEvllPKT_S7_PKT0_SA_PS5_SB_.num_named_barrier, 0
	.set _ZN2at6native12_GLOBAL__N_135GammaBetaBackwardCUDAKernelTemplateIN3c104HalfEfLj64ELj16ELj128ELb0ELb0ELb1EEEvllPKT_S7_PKT0_SA_PS5_SB_.private_seg_size, 0
	.set _ZN2at6native12_GLOBAL__N_135GammaBetaBackwardCUDAKernelTemplateIN3c104HalfEfLj64ELj16ELj128ELb0ELb0ELb1EEEvllPKT_S7_PKT0_SA_PS5_SB_.uses_vcc, 1
	.set _ZN2at6native12_GLOBAL__N_135GammaBetaBackwardCUDAKernelTemplateIN3c104HalfEfLj64ELj16ELj128ELb0ELb0ELb1EEEvllPKT_S7_PKT0_SA_PS5_SB_.uses_flat_scratch, 0
	.set _ZN2at6native12_GLOBAL__N_135GammaBetaBackwardCUDAKernelTemplateIN3c104HalfEfLj64ELj16ELj128ELb0ELb0ELb1EEEvllPKT_S7_PKT0_SA_PS5_SB_.has_dyn_sized_stack, 0
	.set _ZN2at6native12_GLOBAL__N_135GammaBetaBackwardCUDAKernelTemplateIN3c104HalfEfLj64ELj16ELj128ELb0ELb0ELb1EEEvllPKT_S7_PKT0_SA_PS5_SB_.has_recursion, 0
	.set _ZN2at6native12_GLOBAL__N_135GammaBetaBackwardCUDAKernelTemplateIN3c104HalfEfLj64ELj16ELj128ELb0ELb0ELb1EEEvllPKT_S7_PKT0_SA_PS5_SB_.has_indirect_call, 0
	.section	.AMDGPU.csdata,"",@progbits
; Kernel info:
; codeLenInByte = 9780
; TotalNumSgprs: 34
; NumVgprs: 92
; ScratchSize: 0
; MemoryBound: 0
; FloatMode: 240
; IeeeMode: 1
; LDSByteSize: 0 bytes/workgroup (compile time only)
; SGPRBlocks: 0
; VGPRBlocks: 11
; NumSGPRsForWavesPerEU: 34
; NumVGPRsForWavesPerEU: 92
; Occupancy: 16
; WaveLimiterHint : 0
; COMPUTE_PGM_RSRC2:SCRATCH_EN: 0
; COMPUTE_PGM_RSRC2:USER_SGPR: 2
; COMPUTE_PGM_RSRC2:TRAP_HANDLER: 0
; COMPUTE_PGM_RSRC2:TGID_X_EN: 1
; COMPUTE_PGM_RSRC2:TGID_Y_EN: 1
; COMPUTE_PGM_RSRC2:TGID_Z_EN: 0
; COMPUTE_PGM_RSRC2:TIDIG_COMP_CNT: 1
	.section	.text._ZN2at6native12_GLOBAL__N_135GammaBetaBackwardCUDAKernelTemplateIN3c104HalfEfLj64ELj16ELj256ELb0ELb1ELb1EEEvllPKT_S7_PKT0_SA_PS5_SB_,"axG",@progbits,_ZN2at6native12_GLOBAL__N_135GammaBetaBackwardCUDAKernelTemplateIN3c104HalfEfLj64ELj16ELj256ELb0ELb1ELb1EEEvllPKT_S7_PKT0_SA_PS5_SB_,comdat
	.globl	_ZN2at6native12_GLOBAL__N_135GammaBetaBackwardCUDAKernelTemplateIN3c104HalfEfLj64ELj16ELj256ELb0ELb1ELb1EEEvllPKT_S7_PKT0_SA_PS5_SB_ ; -- Begin function _ZN2at6native12_GLOBAL__N_135GammaBetaBackwardCUDAKernelTemplateIN3c104HalfEfLj64ELj16ELj256ELb0ELb1ELb1EEEvllPKT_S7_PKT0_SA_PS5_SB_
	.p2align	8
	.type	_ZN2at6native12_GLOBAL__N_135GammaBetaBackwardCUDAKernelTemplateIN3c104HalfEfLj64ELj16ELj256ELb0ELb1ELb1EEEvllPKT_S7_PKT0_SA_PS5_SB_,@function
_ZN2at6native12_GLOBAL__N_135GammaBetaBackwardCUDAKernelTemplateIN3c104HalfEfLj64ELj16ELj256ELb0ELb1ELb1EEEvllPKT_S7_PKT0_SA_PS5_SB_: ; @_ZN2at6native12_GLOBAL__N_135GammaBetaBackwardCUDAKernelTemplateIN3c104HalfEfLj64ELj16ELj256ELb0ELb1ELb1EEEvllPKT_S7_PKT0_SA_PS5_SB_
; %bb.0:
	s_load_b128 s[4:7], s[0:1], 0x0
	s_lshl_b32 s12, ttmp7, 8
	s_mov_b32 s13, 0
	v_bfe_u32 v7, v0, 10, 10
	s_wait_kmcnt 0x0
	v_cmp_gt_i64_e64 s2, s[4:5], s[12:13]
	s_and_b32 vcc_lo, exec_lo, s2
	s_cbranch_vccnz .LBB173_2
; %bb.1:
	v_bfe_u32 v1, v0, 10, 10
	s_mov_b32 s2, s13
	v_and_b32_e32 v6, 0x3ff, v0
	v_mov_b32_e32 v0, 0
	s_and_not1_b32 vcc_lo, exec_lo, s2
	s_cbranch_vccz .LBB173_3
	s_branch .LBB173_10
.LBB173_2:
                                        ; implicit-def: $vgpr1
	v_and_b32_e32 v6, 0x3ff, v0
	v_mov_b32_e32 v0, 0
.LBB173_3:
	s_clause 0x3
	s_load_b32 s2, s[0:1], 0x4c
	s_load_b32 s3, s[0:1], 0x44
	s_load_b128 s[8:11], s[0:1], 0x10
	s_load_b64 s[16:17], s[0:1], 0x28
	v_dual_mov_b32 v1, 0 :: v_dual_lshlrev_b32 v2, 4, v7
	v_lshl_add_u32 v0, ttmp9, 6, v6
	s_mov_b32 s15, 0
	v_dual_mov_b32 v8, 16 :: v_dual_mov_b32 v9, 4
	v_dual_mov_b32 v10, 8 :: v_dual_mov_b32 v11, 12
	s_delay_alu instid0(VALU_DEP_3)
	v_lshlrev_b64_e32 v[27:28], 1, v[0:1]
	v_dual_mov_b32 v12, 20 :: v_dual_mov_b32 v13, 24
	v_dual_mov_b32 v14, 28 :: v_dual_mov_b32 v15, 32
	;; [unrolled: 1-line block ×3, first 2 shown]
	v_mov_b32_e32 v0, 0
	s_wait_kmcnt 0x0
	s_and_b32 s2, s2, 0xffff
	s_lshl_b32 s14, s3, 8
	v_mad_u32_u24 v3, v7, s2, v6
	v_add_co_u32 v2, s2, v2, s12
	s_wait_alu 0xf1ff
	v_add_co_ci_u32_e64 v19, null, 0, 0, s2
	s_delay_alu instid0(VALU_DEP_3) | instskip(NEXT) | instid1(VALU_DEP_3)
	v_dual_mov_b32 v18, 44 :: v_dual_and_b32 v3, 31, v3
	v_mul_lo_u32 v21, s7, v2
	s_delay_alu instid0(VALU_DEP_3) | instskip(SKIP_1) | instid1(VALU_DEP_4)
	v_mul_lo_u32 v22, s6, v19
	v_mad_co_u64_u32 v[4:5], null, s6, v2, 0
	v_add_co_u32 v2, vcc_lo, v2, v3
	v_cmp_gt_u32_e64 s2, 16, v3
	v_add_co_ci_u32_e64 v3, null, 0, v19, vcc_lo
	v_dual_mov_b32 v19, 48 :: v_dual_mov_b32 v20, 52
	v_add3_u32 v5, v5, v22, v21
	s_delay_alu instid0(VALU_DEP_3) | instskip(SKIP_2) | instid1(VALU_DEP_3)
	v_lshlrev_b64_e32 v[23:24], 2, v[2:3]
	v_dual_mov_b32 v21, 56 :: v_dual_mov_b32 v22, 60
	s_mul_u64 s[18:19], s[6:7], s[14:15]
	v_lshlrev_b64_e32 v[25:26], 1, v[4:5]
	s_lshl_b64 s[18:19], s[18:19], 1
	s_delay_alu instid0(VALU_DEP_3) | instskip(SKIP_2) | instid1(VALU_DEP_3)
	v_add_co_u32 v4, vcc_lo, s16, v23
	s_wait_alu 0xfffd
	v_add_co_ci_u32_e64 v5, null, s17, v24, vcc_lo
	v_add_co_u32 v23, vcc_lo, v25, v27
	s_wait_alu 0xfffd
	v_add_co_ci_u32_e64 v24, null, v26, v28, vcc_lo
	s_lshl_b64 s[16:17], s[14:15], 2
	s_lshl_b64 s[6:7], s[6:7], 1
	s_branch .LBB173_6
.LBB173_4:                              ;   in Loop: Header=BB173_6 Depth=1
	s_or_b32 exec_lo, exec_lo, s20
.LBB173_5:                              ;   in Loop: Header=BB173_6 Depth=1
	s_wait_alu 0xfffe
	s_or_b32 exec_lo, exec_lo, s3
	v_add_co_u32 v26, vcc_lo, s8, v23
	s_wait_alu 0xfffd
	v_add_co_ci_u32_e64 v27, null, s9, v24, vcc_lo
	v_add_co_u32 v28, vcc_lo, s10, v23
	s_wait_alu 0xfffd
	v_add_co_ci_u32_e64 v29, null, s11, v24, vcc_lo
	v_add_co_u32 v30, vcc_lo, v26, s6
	s_wait_alu 0xfffd
	v_add_co_ci_u32_e64 v31, null, s7, v27, vcc_lo
	v_add_co_u32 v32, vcc_lo, v28, s6
	s_wait_alu 0xfffd
	v_add_co_ci_u32_e64 v33, null, s7, v29, vcc_lo
	v_add_co_u32 v34, vcc_lo, v30, s6
	s_wait_alu 0xfffd
	v_add_co_ci_u32_e64 v35, null, s7, v31, vcc_lo
	global_load_u16 v36, v[26:27], off
	global_load_u16 v37, v[28:29], off
	global_load_u16 v38, v[30:31], off
	global_load_u16 v39, v[32:33], off
	global_load_u16 v40, v[34:35], off
	v_add_co_u32 v26, vcc_lo, v32, s6
	s_wait_alu 0xfffd
	v_add_co_ci_u32_e64 v27, null, s7, v33, vcc_lo
	v_add_co_u32 v28, vcc_lo, v34, s6
	s_wait_alu 0xfffd
	v_add_co_ci_u32_e64 v29, null, s7, v35, vcc_lo
	v_add_co_u32 v30, vcc_lo, v26, s6
	s_wait_alu 0xfffd
	v_add_co_ci_u32_e64 v31, null, s7, v27, vcc_lo
	v_add_co_u32 v32, vcc_lo, v28, s6
	s_wait_alu 0xfffd
	v_add_co_ci_u32_e64 v33, null, s7, v29, vcc_lo
	v_add_co_u32 v34, vcc_lo, v30, s6
	s_wait_alu 0xfffd
	v_add_co_ci_u32_e64 v35, null, s7, v31, vcc_lo
	global_load_u16 v41, v[26:27], off
	global_load_u16 v42, v[28:29], off
	global_load_u16 v43, v[30:31], off
	global_load_u16 v44, v[32:33], off
	global_load_u16 v45, v[34:35], off
	;; [unrolled: 20-line block ×6, first 2 shown]
	v_add_co_u32 v26, vcc_lo, v32, s6
	s_wait_alu 0xfffd
	v_add_co_ci_u32_e64 v27, null, s7, v33, vcc_lo
	v_add_co_u32 v28, vcc_lo, v34, s6
	s_wait_alu 0xfffd
	v_add_co_ci_u32_e64 v29, null, s7, v35, vcc_lo
	global_load_u16 v26, v[26:27], off
	global_load_u16 v27, v[28:29], off
	s_wait_loadcnt 0x20
	ds_bpermute_b32 v28, v1, v25
	ds_bpermute_b32 v29, v9, v25
	;; [unrolled: 1-line block ×3, first 2 shown]
	v_add_co_u32 v4, vcc_lo, v4, s16
	s_add_nc_u64 s[12:13], s[12:13], s[14:15]
	s_wait_alu 0xfffd
	v_add_co_ci_u32_e64 v5, null, s17, v5, vcc_lo
	v_add_co_u32 v2, vcc_lo, v2, s14
	s_wait_alu 0xfffe
	v_cmp_lt_i64_e64 s3, s[12:13], s[4:5]
	s_wait_alu 0xfffd
	v_add_co_ci_u32_e64 v3, null, 0, v3, vcc_lo
	v_add_co_u32 v23, vcc_lo, v23, s18
	s_wait_alu 0xfffd
	v_add_co_ci_u32_e64 v24, null, s19, v24, vcc_lo
	s_and_b32 vcc_lo, exec_lo, s3
	s_wait_loadcnt 0x1f
	v_cvt_f32_f16_e32 v32, v36
	s_wait_loadcnt 0x1e
	v_cvt_f32_f16_e32 v33, v37
	;; [unrolled: 2-line block ×3, first 2 shown]
	ds_bpermute_b32 v36, v11, v25
	s_wait_loadcnt 0x1b
	v_cvt_f32_f16_e32 v37, v40
	v_mul_f32_e32 v32, v32, v33
	v_cvt_f32_f16_e32 v33, v39
	s_wait_dscnt 0x3
	s_delay_alu instid0(VALU_DEP_2) | instskip(NEXT) | instid1(VALU_DEP_2)
	v_fmac_f32_e32 v0, v32, v28
	v_mul_f32_e32 v28, v35, v33
	ds_bpermute_b32 v33, v8, v25
	s_wait_dscnt 0x3
	v_fmac_f32_e32 v0, v28, v29
	s_wait_loadcnt 0x1a
	v_cvt_f32_f16_e32 v32, v41
	s_wait_loadcnt 0x19
	v_cvt_f32_f16_e32 v35, v42
	;; [unrolled: 2-line block ×3, first 2 shown]
	v_mul_f32_e32 v28, v37, v32
	ds_bpermute_b32 v32, v12, v25
	s_wait_loadcnt 0x17
	v_cvt_f32_f16_e32 v37, v44
	s_wait_dscnt 0x3
	v_fmac_f32_e32 v0, v28, v34
	v_mul_f32_e32 v28, v35, v29
	s_wait_loadcnt 0x16
	v_cvt_f32_f16_e32 v29, v45
	ds_bpermute_b32 v34, v13, v25
	s_wait_dscnt 0x3
	v_fmac_f32_e32 v0, v28, v36
	v_mul_f32_e32 v28, v37, v29
	ds_bpermute_b32 v36, v14, v25
	s_wait_loadcnt 0x15
	v_cvt_f32_f16_e32 v35, v46
	s_wait_loadcnt 0x14
	v_cvt_f32_f16_e32 v29, v47
	;; [unrolled: 2-line block ×3, first 2 shown]
	s_wait_dscnt 0x3
	v_fmac_f32_e32 v0, v28, v33
	ds_bpermute_b32 v33, v15, v25
	v_mul_f32_e32 v28, v35, v29
	s_wait_loadcnt 0x12
	v_cvt_f32_f16_e32 v29, v49
	s_wait_loadcnt 0x11
	v_cvt_f32_f16_e32 v35, v50
	s_wait_dscnt 0x3
	v_fmac_f32_e32 v0, v28, v32
	v_mul_f32_e32 v28, v37, v29
	ds_bpermute_b32 v32, v16, v25
	s_wait_dscnt 0x3
	v_fmac_f32_e32 v0, v28, v34
	ds_bpermute_b32 v34, v17, v25
	s_wait_loadcnt 0x10
	v_cvt_f32_f16_e32 v29, v51
	s_wait_loadcnt 0xf
	v_cvt_f32_f16_e32 v37, v52
	s_delay_alu instid0(VALU_DEP_2)
	v_mul_f32_e32 v28, v35, v29
	s_wait_loadcnt 0xe
	v_cvt_f32_f16_e32 v29, v53
	s_wait_loadcnt 0xd
	v_cvt_f32_f16_e32 v35, v54
	s_wait_dscnt 0x3
	v_fmac_f32_e32 v0, v28, v36
	v_mul_f32_e32 v28, v37, v29
	s_wait_loadcnt 0xc
	v_cvt_f32_f16_e32 v29, v55
	ds_bpermute_b32 v36, v18, v25
	s_wait_dscnt 0x3
	v_fmac_f32_e32 v0, v28, v33
	v_mul_f32_e32 v28, v35, v29
	ds_bpermute_b32 v33, v19, v25
	s_wait_loadcnt 0xb
	v_cvt_f32_f16_e32 v37, v56
	s_wait_loadcnt 0xa
	v_cvt_f32_f16_e32 v29, v57
	s_wait_loadcnt 0x9
	v_cvt_f32_f16_e32 v35, v58
	s_wait_dscnt 0x3
	v_fmac_f32_e32 v0, v28, v32
	ds_bpermute_b32 v32, v20, v25
	v_mul_f32_e32 v28, v37, v29
	s_wait_loadcnt 0x8
	v_cvt_f32_f16_e32 v29, v59
	s_wait_loadcnt 0x7
	v_cvt_f32_f16_e32 v37, v60
	s_wait_dscnt 0x3
	v_fmac_f32_e32 v0, v28, v34
	v_mul_f32_e32 v28, v35, v29
	ds_bpermute_b32 v34, v21, v25
	ds_bpermute_b32 v25, v22, v25
	s_wait_dscnt 0x4
	v_fmac_f32_e32 v0, v28, v36
	s_wait_loadcnt 0x6
	v_cvt_f32_f16_e32 v29, v61
	s_wait_loadcnt 0x5
	v_cvt_f32_f16_e32 v35, v62
	s_delay_alu instid0(VALU_DEP_2)
	v_mul_f32_e32 v28, v37, v29
	s_wait_loadcnt 0x4
	v_cvt_f32_f16_e32 v29, v30
	s_wait_loadcnt 0x3
	v_cvt_f32_f16_e32 v30, v31
	;; [unrolled: 2-line block ×3, first 2 shown]
	s_wait_dscnt 0x3
	v_fmac_f32_e32 v0, v28, v33
	v_mul_f32_e32 v28, v35, v29
	s_wait_loadcnt 0x1
	v_cvt_f32_f16_e32 v26, v26
	s_wait_loadcnt 0x0
	v_cvt_f32_f16_e32 v27, v27
	s_wait_dscnt 0x2
	v_fmac_f32_e32 v0, v28, v32
	v_mul_f32_e32 v28, v30, v31
	s_delay_alu instid0(VALU_DEP_3) | instskip(SKIP_1) | instid1(VALU_DEP_2)
	v_mul_f32_e32 v26, v26, v27
	s_wait_dscnt 0x1
	v_fmac_f32_e32 v0, v28, v34
	s_wait_dscnt 0x0
	s_delay_alu instid0(VALU_DEP_1)
	v_fmac_f32_e32 v0, v26, v25
	s_wait_alu 0xfffe
	s_cbranch_vccz .LBB173_9
.LBB173_6:                              ; =>This Inner Loop Header: Depth=1
	v_mov_b32_e32 v25, 0
	s_and_saveexec_b32 s3, s2
	s_cbranch_execz .LBB173_5
; %bb.7:                                ;   in Loop: Header=BB173_6 Depth=1
	v_mov_b32_e32 v25, 0
	s_mov_b32 s20, exec_lo
	v_cmpx_gt_i64_e64 s[4:5], v[2:3]
	s_cbranch_execz .LBB173_4
; %bb.8:                                ;   in Loop: Header=BB173_6 Depth=1
	global_load_b32 v25, v[4:5], off
	s_branch .LBB173_4
.LBB173_9:
	v_mov_b32_e32 v1, v7
.LBB173_10:
	s_load_b64 s[2:3], s[0:1], 0x30
	s_delay_alu instid0(VALU_DEP_1) | instskip(SKIP_2) | instid1(VALU_DEP_2)
	v_mad_u32_u24 v2, 0x41, v1, v6
	v_mov_b32_e32 v4, 0
	s_mov_b32 s0, exec_lo
	v_lshl_add_u32 v3, v2, 2, 0
	v_sub_nc_u32_e32 v1, v2, v1
	ds_store_b32 v3, v0
	ds_store_b32 v3, v4 offset:4160
	s_wait_dscnt 0x0
	s_barrier_signal -1
	s_barrier_wait -1
	global_inv scope:SCOPE_SE
	v_cmpx_gt_u32_e32 0x800, v1
	s_cbranch_execz .LBB173_20
; %bb.11:
	v_and_b32_e32 v2, 31, v6
	v_lshrrev_b32_e32 v0, 5, v1
                                        ; implicit-def: $vgpr5
	s_delay_alu instid0(VALU_DEP_2)
	v_cmp_gt_u32_e32 vcc_lo, 16, v2
	v_mul_u32_u24_e32 v2, 0x41, v2
	s_and_saveexec_b32 s0, vcc_lo
	s_cbranch_execz .LBB173_13
; %bb.12:
	v_lshlrev_b32_e32 v3, 2, v0
	s_delay_alu instid0(VALU_DEP_2) | instskip(NEXT) | instid1(VALU_DEP_1)
	v_lshlrev_b32_e32 v4, 2, v2
	v_add3_u32 v3, 0, v3, v4
	ds_load_b32 v5, v3
.LBB173_13:
	s_wait_alu 0xfffe
	s_or_b32 exec_lo, exec_lo, s0
	v_mbcnt_lo_u32_b32 v7, -1, 0
	s_mov_b32 s4, ttmp9
	s_wait_kmcnt 0x0
	s_cmp_lg_u64 s[2:3], 0
	s_mov_b32 s5, 0
	s_cselect_b32 s1, -1, 0
	v_xor_b32_e32 v3, 8, v7
	v_xor_b32_e32 v4, 4, v7
	;; [unrolled: 1-line block ×3, first 2 shown]
	s_wait_alu 0xfffe
	s_lshl_b64 s[4:5], s[4:5], 7
	s_wait_alu 0xfffe
	s_add_nc_u64 s[2:3], s[2:3], s[4:5]
	v_cmp_gt_i32_e64 s0, 32, v3
	s_wait_alu 0xf1ff
	s_delay_alu instid0(VALU_DEP_1) | instskip(SKIP_1) | instid1(VALU_DEP_2)
	v_cndmask_b32_e64 v3, v7, v3, s0
	v_cmp_gt_i32_e64 s0, 32, v4
	v_lshlrev_b32_e32 v3, 2, v3
	s_wait_alu 0xf1ff
	s_delay_alu instid0(VALU_DEP_2)
	v_cndmask_b32_e64 v4, v7, v4, s0
	s_wait_dscnt 0x0
	ds_bpermute_b32 v8, v3, v5
	v_lshlrev_b32_e32 v4, 2, v4
	s_wait_dscnt 0x0
	v_add_f32_e32 v8, v5, v8
	v_xor_b32_e32 v5, 2, v7
	ds_bpermute_b32 v9, v4, v8
	v_cmp_gt_i32_e64 s0, 32, v5
	s_wait_alu 0xf1ff
	s_delay_alu instid0(VALU_DEP_1) | instskip(SKIP_1) | instid1(VALU_DEP_2)
	v_cndmask_b32_e64 v5, v7, v5, s0
	v_cmp_gt_i32_e64 s0, 32, v10
	v_lshlrev_b32_e32 v5, 2, v5
	s_wait_alu 0xf1ff
	s_delay_alu instid0(VALU_DEP_2) | instskip(SKIP_1) | instid1(VALU_DEP_2)
	v_cndmask_b32_e64 v7, v7, v10, s0
	v_cmp_eq_u32_e64 s0, 0, v6
	v_lshlrev_b32_e32 v7, 2, v7
	s_and_b32 s1, s0, s1
	s_wait_dscnt 0x0
	v_add_f32_e32 v8, v8, v9
	ds_bpermute_b32 v9, v5, v8
	s_wait_dscnt 0x0
	v_add_f32_e32 v8, v8, v9
	ds_bpermute_b32 v9, v7, v8
	s_wait_dscnt 0x0
	v_add_f32_e32 v6, v8, v9
	s_wait_alu 0xfffe
	s_and_saveexec_b32 s0, s1
	s_cbranch_execz .LBB173_15
; %bb.14:
	s_delay_alu instid0(VALU_DEP_1)
	v_cvt_f16_f32_e32 v8, v6
	v_lshlrev_b32_e32 v9, 1, v0
	global_store_b16 v9, v8, s[2:3]
.LBB173_15:
	s_wait_alu 0xfffe
	s_or_b32 exec_lo, exec_lo, s0
	v_cmp_gt_u32_e64 s0, 0x400, v1
	s_and_b32 exec_lo, exec_lo, s0
	s_cbranch_execz .LBB173_20
; %bb.16:
	s_and_saveexec_b32 s0, vcc_lo
	s_cbranch_execz .LBB173_18
; %bb.17:
	v_lshlrev_b32_e32 v1, 2, v0
	v_lshlrev_b32_e32 v2, 2, v2
	s_delay_alu instid0(VALU_DEP_1)
	v_add3_u32 v1, 0, v1, v2
	ds_load_b32 v6, v1 offset:128
.LBB173_18:
	s_wait_alu 0xfffe
	s_or_b32 exec_lo, exec_lo, s0
	s_wait_dscnt 0x0
	ds_bpermute_b32 v1, v3, v6
	s_wait_dscnt 0x0
	v_add_f32_e32 v1, v6, v1
	ds_bpermute_b32 v2, v4, v1
	s_wait_dscnt 0x0
	v_add_f32_e32 v1, v1, v2
	;; [unrolled: 3-line block ×3, first 2 shown]
	ds_bpermute_b32 v2, v7, v1
	s_and_saveexec_b32 s0, s1
	s_wait_alu 0xfffe
	s_xor_b32 s0, exec_lo, s0
	s_cbranch_execz .LBB173_20
; %bb.19:
	s_wait_dscnt 0x0
	v_dual_add_f32 v1, v1, v2 :: v_dual_lshlrev_b32 v0, 1, v0
	s_delay_alu instid0(VALU_DEP_1)
	v_cvt_f16_f32_e32 v1, v1
	global_store_b16 v0, v1, s[2:3] offset:64
.LBB173_20:
	s_endpgm
	.section	.rodata,"a",@progbits
	.p2align	6, 0x0
	.amdhsa_kernel _ZN2at6native12_GLOBAL__N_135GammaBetaBackwardCUDAKernelTemplateIN3c104HalfEfLj64ELj16ELj256ELb0ELb1ELb1EEEvllPKT_S7_PKT0_SA_PS5_SB_
		.amdhsa_group_segment_fixed_size 0
		.amdhsa_private_segment_fixed_size 0
		.amdhsa_kernarg_size 320
		.amdhsa_user_sgpr_count 2
		.amdhsa_user_sgpr_dispatch_ptr 0
		.amdhsa_user_sgpr_queue_ptr 0
		.amdhsa_user_sgpr_kernarg_segment_ptr 1
		.amdhsa_user_sgpr_dispatch_id 0
		.amdhsa_user_sgpr_private_segment_size 0
		.amdhsa_wavefront_size32 1
		.amdhsa_uses_dynamic_stack 0
		.amdhsa_enable_private_segment 0
		.amdhsa_system_sgpr_workgroup_id_x 1
		.amdhsa_system_sgpr_workgroup_id_y 1
		.amdhsa_system_sgpr_workgroup_id_z 0
		.amdhsa_system_sgpr_workgroup_info 0
		.amdhsa_system_vgpr_workitem_id 1
		.amdhsa_next_free_vgpr 64
		.amdhsa_next_free_sgpr 21
		.amdhsa_reserve_vcc 1
		.amdhsa_float_round_mode_32 0
		.amdhsa_float_round_mode_16_64 0
		.amdhsa_float_denorm_mode_32 3
		.amdhsa_float_denorm_mode_16_64 3
		.amdhsa_fp16_overflow 0
		.amdhsa_workgroup_processor_mode 1
		.amdhsa_memory_ordered 1
		.amdhsa_forward_progress 1
		.amdhsa_inst_pref_size 22
		.amdhsa_round_robin_scheduling 0
		.amdhsa_exception_fp_ieee_invalid_op 0
		.amdhsa_exception_fp_denorm_src 0
		.amdhsa_exception_fp_ieee_div_zero 0
		.amdhsa_exception_fp_ieee_overflow 0
		.amdhsa_exception_fp_ieee_underflow 0
		.amdhsa_exception_fp_ieee_inexact 0
		.amdhsa_exception_int_div_zero 0
	.end_amdhsa_kernel
	.section	.text._ZN2at6native12_GLOBAL__N_135GammaBetaBackwardCUDAKernelTemplateIN3c104HalfEfLj64ELj16ELj256ELb0ELb1ELb1EEEvllPKT_S7_PKT0_SA_PS5_SB_,"axG",@progbits,_ZN2at6native12_GLOBAL__N_135GammaBetaBackwardCUDAKernelTemplateIN3c104HalfEfLj64ELj16ELj256ELb0ELb1ELb1EEEvllPKT_S7_PKT0_SA_PS5_SB_,comdat
.Lfunc_end173:
	.size	_ZN2at6native12_GLOBAL__N_135GammaBetaBackwardCUDAKernelTemplateIN3c104HalfEfLj64ELj16ELj256ELb0ELb1ELb1EEEvllPKT_S7_PKT0_SA_PS5_SB_, .Lfunc_end173-_ZN2at6native12_GLOBAL__N_135GammaBetaBackwardCUDAKernelTemplateIN3c104HalfEfLj64ELj16ELj256ELb0ELb1ELb1EEEvllPKT_S7_PKT0_SA_PS5_SB_
                                        ; -- End function
	.set _ZN2at6native12_GLOBAL__N_135GammaBetaBackwardCUDAKernelTemplateIN3c104HalfEfLj64ELj16ELj256ELb0ELb1ELb1EEEvllPKT_S7_PKT0_SA_PS5_SB_.num_vgpr, 64
	.set _ZN2at6native12_GLOBAL__N_135GammaBetaBackwardCUDAKernelTemplateIN3c104HalfEfLj64ELj16ELj256ELb0ELb1ELb1EEEvllPKT_S7_PKT0_SA_PS5_SB_.num_agpr, 0
	.set _ZN2at6native12_GLOBAL__N_135GammaBetaBackwardCUDAKernelTemplateIN3c104HalfEfLj64ELj16ELj256ELb0ELb1ELb1EEEvllPKT_S7_PKT0_SA_PS5_SB_.numbered_sgpr, 21
	.set _ZN2at6native12_GLOBAL__N_135GammaBetaBackwardCUDAKernelTemplateIN3c104HalfEfLj64ELj16ELj256ELb0ELb1ELb1EEEvllPKT_S7_PKT0_SA_PS5_SB_.num_named_barrier, 0
	.set _ZN2at6native12_GLOBAL__N_135GammaBetaBackwardCUDAKernelTemplateIN3c104HalfEfLj64ELj16ELj256ELb0ELb1ELb1EEEvllPKT_S7_PKT0_SA_PS5_SB_.private_seg_size, 0
	.set _ZN2at6native12_GLOBAL__N_135GammaBetaBackwardCUDAKernelTemplateIN3c104HalfEfLj64ELj16ELj256ELb0ELb1ELb1EEEvllPKT_S7_PKT0_SA_PS5_SB_.uses_vcc, 1
	.set _ZN2at6native12_GLOBAL__N_135GammaBetaBackwardCUDAKernelTemplateIN3c104HalfEfLj64ELj16ELj256ELb0ELb1ELb1EEEvllPKT_S7_PKT0_SA_PS5_SB_.uses_flat_scratch, 0
	.set _ZN2at6native12_GLOBAL__N_135GammaBetaBackwardCUDAKernelTemplateIN3c104HalfEfLj64ELj16ELj256ELb0ELb1ELb1EEEvllPKT_S7_PKT0_SA_PS5_SB_.has_dyn_sized_stack, 0
	.set _ZN2at6native12_GLOBAL__N_135GammaBetaBackwardCUDAKernelTemplateIN3c104HalfEfLj64ELj16ELj256ELb0ELb1ELb1EEEvllPKT_S7_PKT0_SA_PS5_SB_.has_recursion, 0
	.set _ZN2at6native12_GLOBAL__N_135GammaBetaBackwardCUDAKernelTemplateIN3c104HalfEfLj64ELj16ELj256ELb0ELb1ELb1EEEvllPKT_S7_PKT0_SA_PS5_SB_.has_indirect_call, 0
	.section	.AMDGPU.csdata,"",@progbits
; Kernel info:
; codeLenInByte = 2816
; TotalNumSgprs: 23
; NumVgprs: 64
; ScratchSize: 0
; MemoryBound: 0
; FloatMode: 240
; IeeeMode: 1
; LDSByteSize: 0 bytes/workgroup (compile time only)
; SGPRBlocks: 0
; VGPRBlocks: 7
; NumSGPRsForWavesPerEU: 23
; NumVGPRsForWavesPerEU: 64
; Occupancy: 16
; WaveLimiterHint : 0
; COMPUTE_PGM_RSRC2:SCRATCH_EN: 0
; COMPUTE_PGM_RSRC2:USER_SGPR: 2
; COMPUTE_PGM_RSRC2:TRAP_HANDLER: 0
; COMPUTE_PGM_RSRC2:TGID_X_EN: 1
; COMPUTE_PGM_RSRC2:TGID_Y_EN: 1
; COMPUTE_PGM_RSRC2:TGID_Z_EN: 0
; COMPUTE_PGM_RSRC2:TIDIG_COMP_CNT: 1
	.section	.text._ZN2at6native12_GLOBAL__N_135GammaBetaBackwardCUDAKernelTemplateIN3c104HalfEfLj64ELj16ELj256ELb0ELb0ELb1EEEvllPKT_S7_PKT0_SA_PS5_SB_,"axG",@progbits,_ZN2at6native12_GLOBAL__N_135GammaBetaBackwardCUDAKernelTemplateIN3c104HalfEfLj64ELj16ELj256ELb0ELb0ELb1EEEvllPKT_S7_PKT0_SA_PS5_SB_,comdat
	.globl	_ZN2at6native12_GLOBAL__N_135GammaBetaBackwardCUDAKernelTemplateIN3c104HalfEfLj64ELj16ELj256ELb0ELb0ELb1EEEvllPKT_S7_PKT0_SA_PS5_SB_ ; -- Begin function _ZN2at6native12_GLOBAL__N_135GammaBetaBackwardCUDAKernelTemplateIN3c104HalfEfLj64ELj16ELj256ELb0ELb0ELb1EEEvllPKT_S7_PKT0_SA_PS5_SB_
	.p2align	8
	.type	_ZN2at6native12_GLOBAL__N_135GammaBetaBackwardCUDAKernelTemplateIN3c104HalfEfLj64ELj16ELj256ELb0ELb0ELb1EEEvllPKT_S7_PKT0_SA_PS5_SB_,@function
_ZN2at6native12_GLOBAL__N_135GammaBetaBackwardCUDAKernelTemplateIN3c104HalfEfLj64ELj16ELj256ELb0ELb0ELb1EEEvllPKT_S7_PKT0_SA_PS5_SB_: ; @_ZN2at6native12_GLOBAL__N_135GammaBetaBackwardCUDAKernelTemplateIN3c104HalfEfLj64ELj16ELj256ELb0ELb0ELb1EEEvllPKT_S7_PKT0_SA_PS5_SB_
; %bb.0:
	s_clause 0x1
	s_load_b256 s[4:11], s[0:1], 0x0
	s_load_b64 s[12:13], s[0:1], 0x28
	s_lshl_b32 s28, ttmp9, 6
	s_mov_b32 s15, 0
	s_or_b32 s14, s28, 63
	s_wait_kmcnt 0x0
	v_cmp_le_i64_e64 s2, s[6:7], s[14:15]
	s_lshl_b32 s14, ttmp7, 8
	s_wait_alu 0xfffe
	v_cmp_gt_i64_e64 s29, s[4:5], s[14:15]
	s_and_b32 vcc_lo, exec_lo, s2
	v_cndmask_b32_e64 v1, 0, 1, s29
	s_delay_alu instid0(VALU_DEP_1)
	v_cmp_ne_u32_e64 s2, 1, v1
	s_cbranch_vccz .LBB174_81
; %bb.1:
	v_mov_b32_e32 v166, 0
	s_and_b32 vcc_lo, exec_lo, s2
	s_cbranch_vccnz .LBB174_82
; %bb.2:
	v_bfe_u32 v36, v0, 10, 10
	v_dual_mov_b32 v1, 0 :: v_dual_and_b32 v38, 0x3ff, v0
	s_load_b32 s3, s[0:1], 0x44
	s_mov_b32 s17, 0
	s_delay_alu instid0(VALU_DEP_2) | instskip(NEXT) | instid1(VALU_DEP_2)
	v_lshlrev_b32_e32 v37, 4, v36
	v_dual_mov_b32 v5, v1 :: v_dual_add_nc_u32 v4, s28, v38
	s_mov_b32 s21, s17
	v_mov_b32_e32 v103, 0
	s_delay_alu instid0(VALU_DEP_3) | instskip(NEXT) | instid1(VALU_DEP_1)
	v_add_co_u32 v10, s2, v37, s14
	v_add_co_ci_u32_e64 v11, null, 0, 0, s2
	v_cmp_gt_i64_e64 s2, s[6:7], v[4:5]
	s_delay_alu instid0(VALU_DEP_3) | instskip(SKIP_1) | instid1(VALU_DEP_4)
	v_add_co_u32 v6, vcc_lo, v10, 15
	v_mul_lo_u32 v8, s7, v10
	v_mul_lo_u32 v9, s6, v11
	v_add_co_ci_u32_e64 v7, null, 0, v11, vcc_lo
	v_mad_co_u64_u32 v[2:3], null, s6, v10, 0
	v_mul_lo_u32 v12, s7, v6
	s_delay_alu instid0(VALU_DEP_3)
	v_mul_lo_u32 v13, s6, v7
	v_mad_co_u64_u32 v[6:7], null, s6, v6, 0
	v_lshlrev_b64_e32 v[34:35], 1, v[4:5]
	s_wait_kmcnt 0x0
	s_lshl_b32 s20, s3, 8
	v_add3_u32 v3, v3, v9, v8
	v_add_co_u32 v8, vcc_lo, v10, 14
	s_wait_alu 0xfffd
	v_add_co_ci_u32_e64 v9, null, 0, v11, vcc_lo
	v_add3_u32 v7, v7, v13, v12
	v_lshlrev_b64_e32 v[4:5], 1, v[2:3]
	v_mul_lo_u32 v12, s7, v8
	s_delay_alu instid0(VALU_DEP_4)
	v_mul_lo_u32 v13, s6, v9
	v_mad_co_u64_u32 v[8:9], null, s6, v8, 0
	v_lshlrev_b64_e32 v[6:7], 1, v[6:7]
	v_add_co_u32 v39, vcc_lo, s8, v4
	s_wait_alu 0xfffd
	v_add_co_ci_u32_e64 v40, null, s9, v5, vcc_lo
	v_add_co_u32 v41, vcc_lo, s10, v4
	v_add3_u32 v9, v9, v13, v12
	s_wait_alu 0xfffd
	v_add_co_ci_u32_e64 v42, null, s11, v5, vcc_lo
	v_add_co_u32 v43, vcc_lo, s8, v6
	s_wait_alu 0xfffd
	v_add_co_ci_u32_e64 v44, null, s9, v7, vcc_lo
	v_add_co_u32 v12, vcc_lo, v10, 13
	v_add_co_u32 v45, s3, s10, v6
	v_lshlrev_b64_e32 v[4:5], 1, v[8:9]
	s_wait_alu 0xfffd
	v_add_co_ci_u32_e64 v6, null, 0, v11, vcc_lo
	v_add_co_u32 v8, vcc_lo, v10, 12
	s_wait_alu 0xfffd
	v_add_co_ci_u32_e64 v9, null, 0, v11, vcc_lo
	s_wait_alu 0xf1ff
	v_add_co_ci_u32_e64 v46, null, s11, v7, s3
	v_mul_lo_u32 v13, s7, v12
	v_mul_lo_u32 v14, s6, v6
	v_mad_co_u64_u32 v[6:7], null, s6, v12, 0
	v_mul_lo_u32 v12, s7, v8
	v_mul_lo_u32 v15, s6, v9
	v_mad_co_u64_u32 v[8:9], null, s6, v8, 0
	v_add_co_u32 v47, vcc_lo, s8, v4
	s_wait_alu 0xfffd
	v_add_co_ci_u32_e64 v48, null, s9, v5, vcc_lo
	v_add_co_u32 v49, vcc_lo, s10, v4
	s_wait_alu 0xfffd
	v_add_co_ci_u32_e64 v50, null, s11, v5, vcc_lo
	v_add3_u32 v9, v9, v15, v12
	v_add_co_u32 v12, vcc_lo, v10, 11
	v_add3_u32 v7, v7, v14, v13
	s_wait_alu 0xfffd
	v_add_co_ci_u32_e64 v13, null, 0, v11, vcc_lo
	s_delay_alu instid0(VALU_DEP_3)
	v_mul_lo_u32 v14, s7, v12
	s_mul_u64 s[22:23], s[6:7], s[20:21]
	v_lshlrev_b64_e32 v[4:5], 1, v[6:7]
	v_lshlrev_b64_e32 v[6:7], 1, v[8:9]
	v_mul_lo_u32 v13, s6, v13
	v_mad_co_u64_u32 v[8:9], null, s6, v12, 0
	s_add_nc_u64 s[18:19], s[0:1], 64
	v_add_co_u32 v51, vcc_lo, s8, v4
	s_wait_alu 0xfffd
	v_add_co_ci_u32_e64 v52, null, s9, v5, vcc_lo
	v_add_co_u32 v53, vcc_lo, s10, v4
	v_add3_u32 v9, v9, v13, v14
	s_wait_alu 0xfffd
	v_add_co_ci_u32_e64 v54, null, s11, v5, vcc_lo
	v_add_co_u32 v55, vcc_lo, s8, v6
	s_wait_alu 0xfffd
	v_add_co_ci_u32_e64 v56, null, s9, v7, vcc_lo
	v_add_co_u32 v12, vcc_lo, v10, 10
	v_add_co_u32 v57, s3, s10, v6
	v_lshlrev_b64_e32 v[4:5], 1, v[8:9]
	s_wait_alu 0xfffd
	v_add_co_ci_u32_e64 v6, null, 0, v11, vcc_lo
	v_add_co_u32 v8, vcc_lo, v10, 9
	s_wait_alu 0xfffd
	v_add_co_ci_u32_e64 v9, null, 0, v11, vcc_lo
	s_wait_alu 0xf1ff
	v_add_co_ci_u32_e64 v58, null, s11, v7, s3
	v_mul_lo_u32 v13, s7, v12
	v_mul_lo_u32 v14, s6, v6
	v_mad_co_u64_u32 v[6:7], null, s6, v12, 0
	v_mul_lo_u32 v12, s7, v8
	v_mul_lo_u32 v15, s6, v9
	v_mad_co_u64_u32 v[8:9], null, s6, v8, 0
	v_add_co_u32 v59, vcc_lo, s8, v4
	s_wait_alu 0xfffd
	v_add_co_ci_u32_e64 v60, null, s9, v5, vcc_lo
	v_add_co_u32 v61, vcc_lo, s10, v4
	s_wait_alu 0xfffd
	v_add_co_ci_u32_e64 v62, null, s11, v5, vcc_lo
	v_add3_u32 v9, v9, v15, v12
	v_add_co_u32 v12, vcc_lo, v10, 8
	v_add3_u32 v7, v7, v14, v13
	s_wait_alu 0xfffd
	v_add_co_ci_u32_e64 v13, null, 0, v11, vcc_lo
	s_delay_alu instid0(VALU_DEP_3)
	v_mul_lo_u32 v14, s7, v12
	s_lshl_b64 s[22:23], s[22:23], 1
	v_lshlrev_b64_e32 v[4:5], 1, v[6:7]
	v_lshlrev_b64_e32 v[6:7], 1, v[8:9]
	v_mul_lo_u32 v13, s6, v13
	v_mad_co_u64_u32 v[8:9], null, s6, v12, 0
	s_add_nc_u64 s[24:25], s[14:15], 0xff
	v_add_co_u32 v63, vcc_lo, s8, v4
	s_wait_alu 0xfffd
	v_add_co_ci_u32_e64 v64, null, s9, v5, vcc_lo
	v_add_co_u32 v65, vcc_lo, s10, v4
	v_add3_u32 v9, v9, v13, v14
	s_wait_alu 0xfffd
	v_add_co_ci_u32_e64 v66, null, s11, v5, vcc_lo
	v_add_co_u32 v67, vcc_lo, s8, v6
	s_wait_alu 0xfffd
	v_add_co_ci_u32_e64 v68, null, s9, v7, vcc_lo
	v_add_co_u32 v12, vcc_lo, v10, 7
	v_add_co_u32 v69, s3, s10, v6
	v_lshlrev_b64_e32 v[4:5], 1, v[8:9]
	s_wait_alu 0xfffd
	v_add_co_ci_u32_e64 v6, null, 0, v11, vcc_lo
	v_add_co_u32 v8, vcc_lo, v10, 6
	s_wait_alu 0xfffd
	v_add_co_ci_u32_e64 v9, null, 0, v11, vcc_lo
	s_wait_alu 0xf1ff
	v_add_co_ci_u32_e64 v70, null, s11, v7, s3
	v_mul_lo_u32 v13, s7, v12
	v_mul_lo_u32 v14, s6, v6
	v_mad_co_u64_u32 v[6:7], null, s6, v12, 0
	v_mul_lo_u32 v12, s7, v8
	v_mul_lo_u32 v15, s6, v9
	v_mad_co_u64_u32 v[8:9], null, s6, v8, 0
	v_add_co_u32 v71, vcc_lo, s8, v4
	s_wait_alu 0xfffd
	v_add_co_ci_u32_e64 v72, null, s9, v5, vcc_lo
	v_add_co_u32 v73, vcc_lo, s10, v4
	v_add3_u32 v7, v7, v14, v13
	s_wait_alu 0xfffd
	v_add_co_ci_u32_e64 v74, null, s11, v5, vcc_lo
	v_add3_u32 v9, v9, v15, v12
	v_add_co_u32 v12, vcc_lo, v10, 5
	s_wait_alu 0xfffd
	v_add_co_ci_u32_e64 v13, null, 0, v11, vcc_lo
	v_lshlrev_b64_e32 v[4:5], 1, v[6:7]
	v_lshlrev_b64_e32 v[6:7], 1, v[8:9]
	v_mul_lo_u32 v14, s7, v12
	s_delay_alu instid0(VALU_DEP_4)
	v_mul_lo_u32 v13, s6, v13
	v_mad_co_u64_u32 v[8:9], null, s6, v12, 0
	v_add_co_u32 v75, vcc_lo, s8, v4
	s_wait_alu 0xfffd
	v_add_co_ci_u32_e64 v76, null, s9, v5, vcc_lo
	v_add_co_u32 v77, vcc_lo, s10, v4
	s_wait_alu 0xfffd
	v_add_co_ci_u32_e64 v78, null, s11, v5, vcc_lo
	v_add_co_u32 v79, vcc_lo, s8, v6
	v_add3_u32 v9, v9, v13, v14
	s_wait_alu 0xfffd
	v_add_co_ci_u32_e64 v80, null, s9, v7, vcc_lo
	v_add_co_u32 v12, vcc_lo, v10, 4
	v_add_co_u32 v81, s3, s10, v6
	s_wait_alu 0xfffd
	v_add_co_ci_u32_e64 v6, null, 0, v11, vcc_lo
	v_lshlrev_b64_e32 v[4:5], 1, v[8:9]
	v_add_co_u32 v8, vcc_lo, v10, 3
	s_wait_alu 0xfffd
	v_add_co_ci_u32_e64 v9, null, 0, v11, vcc_lo
	s_wait_alu 0xf1ff
	v_add_co_ci_u32_e64 v82, null, s11, v7, s3
	v_mul_lo_u32 v13, s7, v12
	v_mul_lo_u32 v14, s6, v6
	v_mad_co_u64_u32 v[6:7], null, s6, v12, 0
	v_mul_lo_u32 v12, s7, v8
	v_mul_lo_u32 v15, s6, v9
	v_mad_co_u64_u32 v[8:9], null, s6, v8, 0
	v_add_co_u32 v83, vcc_lo, s8, v4
	s_wait_alu 0xfffd
	v_add_co_ci_u32_e64 v84, null, s9, v5, vcc_lo
	v_add3_u32 v7, v7, v14, v13
	v_add_co_u32 v85, vcc_lo, s10, v4
	s_wait_alu 0xfffd
	v_add_co_ci_u32_e64 v86, null, s11, v5, vcc_lo
	v_add_co_u32 v10, vcc_lo, v10, 2
	v_add3_u32 v9, v9, v15, v12
	s_wait_alu 0xfffd
	v_add_co_ci_u32_e64 v11, null, 0, v11, vcc_lo
	v_lshlrev_b64_e32 v[4:5], 1, v[6:7]
	v_mul_lo_u32 v12, s7, v10
	v_lshlrev_b64_e32 v[6:7], 1, v[8:9]
	s_delay_alu instid0(VALU_DEP_4)
	v_mul_lo_u32 v11, s6, v11
	v_mad_co_u64_u32 v[8:9], null, s6, v10, 0
	v_add_co_u32 v87, vcc_lo, s8, v4
	s_wait_alu 0xfffd
	v_add_co_ci_u32_e64 v88, null, s9, v5, vcc_lo
	v_add_co_u32 v89, vcc_lo, s10, v4
	s_wait_alu 0xfffd
	v_add_co_ci_u32_e64 v90, null, s11, v5, vcc_lo
	;; [unrolled: 3-line block ×3, first 2 shown]
	v_add3_u32 v9, v9, v11, v12
	v_add_co_u32 v93, vcc_lo, s10, v6
	s_wait_alu 0xfffd
	v_add_co_ci_u32_e64 v94, null, s11, v7, vcc_lo
	v_add_co_u32 v2, vcc_lo, v2, s6
	s_wait_alu 0xfffd
	v_add_co_ci_u32_e64 v3, null, s7, v3, vcc_lo
	v_lshlrev_b64_e32 v[4:5], 1, v[8:9]
	s_mov_b64 s[26:27], s[14:15]
	s_delay_alu instid0(VALU_DEP_2) | instskip(NEXT) | instid1(VALU_DEP_2)
	v_lshlrev_b64_e32 v[2:3], 1, v[2:3]
	v_add_co_u32 v95, vcc_lo, s8, v4
	s_wait_alu 0xfffd
	s_delay_alu instid0(VALU_DEP_3)
	v_add_co_ci_u32_e64 v96, null, s9, v5, vcc_lo
	v_add_co_u32 v97, vcc_lo, s10, v4
	s_wait_alu 0xfffd
	v_add_co_ci_u32_e64 v98, null, s11, v5, vcc_lo
	v_add_co_u32 v99, vcc_lo, s8, v2
	s_wait_alu 0xfffd
	;; [unrolled: 3-line block ×3, first 2 shown]
	v_add_co_ci_u32_e64 v102, null, s11, v3, vcc_lo
.LBB174_3:                              ; =>This Inner Loop Header: Depth=1
	v_cmp_ge_i64_e64 s3, s[24:25], s[4:5]
	v_add_co_u32 v104, s16, v37, s24
	s_wait_alu 0xf1ff
	v_add_co_ci_u32_e64 v105, null, 0, s25, s16
                                        ; implicit-def: $vgpr2_vgpr3_vgpr4_vgpr5_vgpr6_vgpr7_vgpr8_vgpr9_vgpr10_vgpr11_vgpr12_vgpr13_vgpr14_vgpr15_vgpr16_vgpr17
                                        ; implicit-def: $vgpr166
                                        ; implicit-def: $vgpr18_vgpr19_vgpr20_vgpr21_vgpr22_vgpr23_vgpr24_vgpr25_vgpr26_vgpr27_vgpr28_vgpr29_vgpr30_vgpr31_vgpr32_vgpr33
                                        ; implicit-def: $vgpr2
	s_and_b32 vcc_lo, exec_lo, s3
	s_mov_b32 s3, -1
	s_wait_alu 0xfffe
	s_cbranch_vccz .LBB174_41
; %bb.4:                                ;   in Loop: Header=BB174_3 Depth=1
	s_load_b32 s3, s[18:19], 0xc
	v_mov_b32_e32 v106, 0
	s_wait_kmcnt 0x0
	s_and_b32 s3, s3, 0xffff
	s_wait_alu 0xfffe
	v_mad_u32_u24 v2, v36, s3, v38
	s_mov_b32 s3, exec_lo
	s_delay_alu instid0(VALU_DEP_1) | instskip(NEXT) | instid1(VALU_DEP_1)
	v_and_b32_e32 v2, 31, v2
	v_cmpx_gt_u32_e32 16, v2
	s_cbranch_execz .LBB174_8
; %bb.5:                                ;   in Loop: Header=BB174_3 Depth=1
	v_add_co_u32 v2, vcc_lo, v104, v2
	s_wait_alu 0xfffd
	v_add_co_ci_u32_e64 v3, null, 0, v105, vcc_lo
	v_mov_b32_e32 v106, 0
	s_delay_alu instid0(VALU_DEP_3) | instskip(SKIP_1) | instid1(VALU_DEP_3)
	v_add_co_u32 v2, vcc_lo, 0xffffff01, v2
	s_wait_alu 0xfffd
	v_add_co_ci_u32_e64 v3, null, -1, v3, vcc_lo
	s_mov_b32 s16, exec_lo
	v_cmpx_gt_i64_e64 s[4:5], v[2:3]
	s_cbranch_execz .LBB174_7
; %bb.6:                                ;   in Loop: Header=BB174_3 Depth=1
	v_lshlrev_b64_e32 v[2:3], 2, v[2:3]
	s_delay_alu instid0(VALU_DEP_1) | instskip(SKIP_1) | instid1(VALU_DEP_2)
	v_add_co_u32 v2, vcc_lo, s12, v2
	s_wait_alu 0xfffd
	v_add_co_ci_u32_e64 v3, null, s13, v3, vcc_lo
	global_load_b32 v106, v[2:3], off
.LBB174_7:                              ;   in Loop: Header=BB174_3 Depth=1
	s_wait_alu 0xfffe
	s_or_b32 exec_lo, exec_lo, s16
.LBB174_8:                              ;   in Loop: Header=BB174_3 Depth=1
	s_wait_alu 0xfffe
	s_or_b32 exec_lo, exec_lo, s3
	v_add_co_u32 v17, vcc_lo, 0xffffff01, v104
	s_wait_alu 0xfffd
	v_add_co_ci_u32_e64 v18, null, -1, v105, vcc_lo
	v_mov_b32_e32 v16, v1
	v_dual_mov_b32 v2, v1 :: v_dual_mov_b32 v3, v1
	v_dual_mov_b32 v4, v1 :: v_dual_mov_b32 v5, v1
	;; [unrolled: 1-line block ×7, first 2 shown]
	v_cmp_gt_i64_e32 vcc_lo, s[4:5], v[17:18]
	s_delay_alu instid0(VALU_DEP_3) | instskip(NEXT) | instid1(VALU_DEP_3)
	v_dual_mov_b32 v33, v16 :: v_dual_mov_b32 v30, v13
	v_dual_mov_b32 v31, v14 :: v_dual_mov_b32 v32, v15
	;; [unrolled: 1-line block ×8, first 2 shown]
	v_mov_b32_e32 v17, v16
	v_mov_b32_e32 v16, v15
	;; [unrolled: 1-line block ×16, first 2 shown]
	s_and_b32 s16, s2, vcc_lo
	s_wait_alu 0xfffe
	s_and_saveexec_b32 s3, s16
	s_cbranch_execz .LBB174_10
; %bb.9:                                ;   in Loop: Header=BB174_3 Depth=1
	v_add_co_u32 v2, vcc_lo, v39, v34
	s_wait_alu 0xfffd
	v_add_co_ci_u32_e64 v3, null, v40, v35, vcc_lo
	v_add_co_u32 v4, vcc_lo, v41, v34
	s_wait_alu 0xfffd
	v_add_co_ci_u32_e64 v5, null, v42, v35, vcc_lo
	global_load_u16 v2, v[2:3], off
	global_load_u16 v18, v[4:5], off
	v_dual_mov_b32 v3, v1 :: v_dual_mov_b32 v4, v1
	v_dual_mov_b32 v5, v1 :: v_dual_mov_b32 v6, v1
	;; [unrolled: 1-line block ×14, first 2 shown]
	v_mov_b32_e32 v31, v1
	v_mov_b32_e32 v33, v1
	s_wait_loadcnt 0x1
	v_cvt_f32_f16_e32 v2, v2
	s_wait_loadcnt 0x0
	v_cvt_f32_f16_e32 v18, v18
.LBB174_10:                             ;   in Loop: Header=BB174_3 Depth=1
	s_wait_alu 0xfffe
	s_or_b32 exec_lo, exec_lo, s3
	v_add_co_u32 v107, vcc_lo, 0xffffff02, v104
	s_wait_alu 0xfffd
	v_add_co_ci_u32_e64 v108, null, -1, v105, vcc_lo
	s_delay_alu instid0(VALU_DEP_1)
	v_cmp_gt_i64_e32 vcc_lo, s[4:5], v[107:108]
	s_and_b32 s16, s2, vcc_lo
	s_wait_alu 0xfffe
	s_and_saveexec_b32 s3, s16
	s_cbranch_execz .LBB174_12
; %bb.11:                               ;   in Loop: Header=BB174_3 Depth=1
	v_add_co_u32 v107, vcc_lo, v99, v34
	s_wait_alu 0xfffd
	v_add_co_ci_u32_e64 v108, null, v100, v35, vcc_lo
	v_add_co_u32 v109, vcc_lo, v101, v34
	s_wait_alu 0xfffd
	v_add_co_ci_u32_e64 v110, null, v102, v35, vcc_lo
	global_load_u16 v3, v[107:108], off
	global_load_u16 v19, v[109:110], off
	s_wait_loadcnt 0x1
	v_cvt_f32_f16_e32 v3, v3
	s_wait_loadcnt 0x0
	v_cvt_f32_f16_e32 v19, v19
.LBB174_12:                             ;   in Loop: Header=BB174_3 Depth=1
	s_wait_alu 0xfffe
	s_or_b32 exec_lo, exec_lo, s3
	v_add_co_u32 v107, vcc_lo, 0xffffff03, v104
	s_wait_alu 0xfffd
	v_add_co_ci_u32_e64 v108, null, -1, v105, vcc_lo
	s_delay_alu instid0(VALU_DEP_1)
	v_cmp_gt_i64_e32 vcc_lo, s[4:5], v[107:108]
	s_and_b32 s16, s2, vcc_lo
	s_wait_alu 0xfffe
	s_and_saveexec_b32 s3, s16
	s_cbranch_execz .LBB174_14
; %bb.13:                               ;   in Loop: Header=BB174_3 Depth=1
	v_add_co_u32 v107, vcc_lo, v95, v34
	s_wait_alu 0xfffd
	v_add_co_ci_u32_e64 v108, null, v96, v35, vcc_lo
	v_add_co_u32 v109, vcc_lo, v97, v34
	s_wait_alu 0xfffd
	v_add_co_ci_u32_e64 v110, null, v98, v35, vcc_lo
	global_load_u16 v4, v[107:108], off
	global_load_u16 v20, v[109:110], off
	s_wait_loadcnt 0x1
	v_cvt_f32_f16_e32 v4, v4
	s_wait_loadcnt 0x0
	v_cvt_f32_f16_e32 v20, v20
.LBB174_14:                             ;   in Loop: Header=BB174_3 Depth=1
	;; [unrolled: 25-line block ×15, first 2 shown]
	s_wait_alu 0xfffe
	s_or_b32 exec_lo, exec_lo, s3
	s_wait_loadcnt 0x0
	ds_bpermute_b32 v107, v1, v106
	ds_bpermute_b32 v108, v1, v106 offset:4
	ds_bpermute_b32 v109, v1, v106 offset:8
	v_dual_mul_f32 v2, v18, v2 :: v_dual_mul_f32 v3, v19, v3
	ds_bpermute_b32 v18, v1, v106 offset:12
	ds_bpermute_b32 v19, v1, v106 offset:16
	s_mov_b32 s3, 0
	s_wait_dscnt 0x4
	v_fma_f32 v166, v2, v107, v103
	v_mul_f32_e32 v2, v20, v4
	ds_bpermute_b32 v4, v1, v106 offset:20
	s_wait_dscnt 0x4
	v_dual_fmac_f32 v166, v3, v108 :: v_dual_mul_f32 v3, v21, v5
	ds_bpermute_b32 v5, v1, v106 offset:24
	s_wait_dscnt 0x4
	v_fmac_f32_e32 v166, v2, v109
	v_mul_f32_e32 v2, v22, v6
	ds_bpermute_b32 v6, v1, v106 offset:28
	s_wait_dscnt 0x4
	v_fmac_f32_e32 v166, v3, v18
	v_mul_f32_e32 v3, v23, v7
	;; [unrolled: 4-line block ×3, first 2 shown]
	ds_bpermute_b32 v8, v1, v106 offset:36
	s_wait_dscnt 0x4
	v_dual_fmac_f32 v166, v3, v4 :: v_dual_mul_f32 v3, v25, v9
	ds_bpermute_b32 v4, v1, v106 offset:40
	s_wait_dscnt 0x4
	v_fmac_f32_e32 v166, v2, v5
	v_mul_f32_e32 v2, v26, v10
	ds_bpermute_b32 v5, v1, v106 offset:44
	s_wait_dscnt 0x4
	v_fmac_f32_e32 v166, v3, v6
	v_mul_f32_e32 v3, v27, v11
	;; [unrolled: 4-line block ×3, first 2 shown]
	ds_bpermute_b32 v7, v1, v106 offset:52
	s_wait_dscnt 0x4
	v_dual_fmac_f32 v166, v3, v8 :: v_dual_mul_f32 v3, v29, v13
	v_mul_f32_e32 v8, v30, v14
	s_wait_dscnt 0x3
	s_delay_alu instid0(VALU_DEP_2)
	v_fmac_f32_e32 v166, v2, v4
	ds_bpermute_b32 v4, v1, v106 offset:56
	ds_bpermute_b32 v2, v1, v106 offset:60
	s_wait_dscnt 0x4
	v_fmac_f32_e32 v166, v3, v5
	s_wait_dscnt 0x3
	s_delay_alu instid0(VALU_DEP_1) | instskip(SKIP_1) | instid1(VALU_DEP_1)
	v_dual_mul_f32 v3, v31, v15 :: v_dual_fmac_f32 v166, v8, v6
	s_wait_dscnt 0x2
	v_dual_fmac_f32 v166, v3, v7 :: v_dual_mul_f32 v3, v32, v16
	s_wait_dscnt 0x1
	s_delay_alu instid0(VALU_DEP_1)
	v_fmac_f32_e32 v166, v3, v4
.LBB174_41:                             ;   in Loop: Header=BB174_3 Depth=1
	s_wait_alu 0xfffe
	s_and_b32 vcc_lo, exec_lo, s3
	s_wait_alu 0xfffe
	s_cbranch_vccz .LBB174_64
; %bb.42:                               ;   in Loop: Header=BB174_3 Depth=1
	s_load_b32 s3, s[18:19], 0x0
	v_mov_b32_e32 v106, 0
	s_wait_kmcnt 0x0
	s_cmp_lt_u32 ttmp9, s3
	s_cselect_b32 s16, 12, 18
	s_wait_alu 0xfffe
	s_add_nc_u64 s[30:31], s[18:19], s[16:17]
	s_load_u16 s3, s[30:31], 0x0
	s_wait_dscnt 0x0
	s_wait_kmcnt 0x0
	v_mad_u32_u24 v2, v36, s3, v38
	s_mov_b32 s3, exec_lo
	s_delay_alu instid0(VALU_DEP_1) | instskip(NEXT) | instid1(VALU_DEP_1)
	v_and_b32_e32 v2, 31, v2
	v_cmpx_gt_u32_e32 16, v2
	s_cbranch_execz .LBB174_46
; %bb.43:                               ;   in Loop: Header=BB174_3 Depth=1
	v_add_co_u32 v2, vcc_lo, v104, v2
	s_wait_alu 0xfffd
	v_add_co_ci_u32_e64 v3, null, 0, v105, vcc_lo
	v_mov_b32_e32 v106, 0
	s_delay_alu instid0(VALU_DEP_3) | instskip(SKIP_1) | instid1(VALU_DEP_3)
	v_add_co_u32 v2, vcc_lo, 0xffffff01, v2
	s_wait_alu 0xfffd
	v_add_co_ci_u32_e64 v3, null, -1, v3, vcc_lo
	s_mov_b32 s16, exec_lo
	v_cmpx_gt_i64_e64 s[4:5], v[2:3]
	s_cbranch_execz .LBB174_45
; %bb.44:                               ;   in Loop: Header=BB174_3 Depth=1
	v_lshlrev_b64_e32 v[2:3], 2, v[2:3]
	s_delay_alu instid0(VALU_DEP_1) | instskip(SKIP_1) | instid1(VALU_DEP_2)
	v_add_co_u32 v2, vcc_lo, s12, v2
	s_wait_alu 0xfffd
	v_add_co_ci_u32_e64 v3, null, s13, v3, vcc_lo
	global_load_b32 v106, v[2:3], off
.LBB174_45:                             ;   in Loop: Header=BB174_3 Depth=1
	s_wait_alu 0xfffe
	s_or_b32 exec_lo, exec_lo, s16
.LBB174_46:                             ;   in Loop: Header=BB174_3 Depth=1
	s_wait_alu 0xfffe
	s_or_b32 exec_lo, exec_lo, s3
	v_mov_b32_e32 v16, v1
	v_dual_mov_b32 v2, v1 :: v_dual_mov_b32 v3, v1
	v_dual_mov_b32 v4, v1 :: v_dual_mov_b32 v5, v1
	;; [unrolled: 1-line block ×7, first 2 shown]
	v_mov_b32_e32 v33, v16
	s_delay_alu instid0(VALU_DEP_3) | instskip(NEXT) | instid1(VALU_DEP_3)
	v_dual_mov_b32 v29, v12 :: v_dual_mov_b32 v28, v11
	v_dual_mov_b32 v31, v14 :: v_dual_mov_b32 v30, v13
	s_delay_alu instid0(VALU_DEP_4)
	v_dual_mov_b32 v32, v15 :: v_dual_mov_b32 v27, v10
	v_dual_mov_b32 v26, v9 :: v_dual_mov_b32 v25, v8
	;; [unrolled: 1-line block ×6, first 2 shown]
	v_mov_b32_e32 v16, v15
	v_mov_b32_e32 v15, v14
	;; [unrolled: 1-line block ×15, first 2 shown]
	s_and_saveexec_b32 s3, s2
	s_cbranch_execnz .LBB174_66
; %bb.47:                               ;   in Loop: Header=BB174_3 Depth=1
	s_wait_alu 0xfffe
	s_or_b32 exec_lo, exec_lo, s3
	s_and_saveexec_b32 s3, s2
	s_cbranch_execnz .LBB174_67
.LBB174_48:                             ;   in Loop: Header=BB174_3 Depth=1
	s_wait_alu 0xfffe
	s_or_b32 exec_lo, exec_lo, s3
	s_and_saveexec_b32 s3, s2
	s_cbranch_execnz .LBB174_68
.LBB174_49:                             ;   in Loop: Header=BB174_3 Depth=1
	s_wait_alu 0xfffe
	s_or_b32 exec_lo, exec_lo, s3
	s_and_saveexec_b32 s3, s2
	s_cbranch_execnz .LBB174_69
.LBB174_50:                             ;   in Loop: Header=BB174_3 Depth=1
	s_wait_alu 0xfffe
	s_or_b32 exec_lo, exec_lo, s3
	s_and_saveexec_b32 s3, s2
	s_cbranch_execnz .LBB174_70
.LBB174_51:                             ;   in Loop: Header=BB174_3 Depth=1
	s_wait_alu 0xfffe
	s_or_b32 exec_lo, exec_lo, s3
	s_and_saveexec_b32 s3, s2
	s_cbranch_execnz .LBB174_71
.LBB174_52:                             ;   in Loop: Header=BB174_3 Depth=1
	s_wait_alu 0xfffe
	s_or_b32 exec_lo, exec_lo, s3
	s_and_saveexec_b32 s3, s2
	s_cbranch_execnz .LBB174_72
.LBB174_53:                             ;   in Loop: Header=BB174_3 Depth=1
	s_wait_alu 0xfffe
	s_or_b32 exec_lo, exec_lo, s3
	s_and_saveexec_b32 s3, s2
	s_cbranch_execnz .LBB174_73
.LBB174_54:                             ;   in Loop: Header=BB174_3 Depth=1
	s_wait_alu 0xfffe
	s_or_b32 exec_lo, exec_lo, s3
	s_and_saveexec_b32 s3, s2
	s_cbranch_execnz .LBB174_74
.LBB174_55:                             ;   in Loop: Header=BB174_3 Depth=1
	s_wait_alu 0xfffe
	s_or_b32 exec_lo, exec_lo, s3
	s_and_saveexec_b32 s3, s2
	s_cbranch_execnz .LBB174_75
.LBB174_56:                             ;   in Loop: Header=BB174_3 Depth=1
	s_wait_alu 0xfffe
	s_or_b32 exec_lo, exec_lo, s3
	s_and_saveexec_b32 s3, s2
	s_cbranch_execnz .LBB174_76
.LBB174_57:                             ;   in Loop: Header=BB174_3 Depth=1
	s_wait_alu 0xfffe
	s_or_b32 exec_lo, exec_lo, s3
	s_and_saveexec_b32 s3, s2
	s_cbranch_execnz .LBB174_77
.LBB174_58:                             ;   in Loop: Header=BB174_3 Depth=1
	s_wait_alu 0xfffe
	s_or_b32 exec_lo, exec_lo, s3
	s_and_saveexec_b32 s3, s2
	s_cbranch_execnz .LBB174_78
.LBB174_59:                             ;   in Loop: Header=BB174_3 Depth=1
	s_wait_alu 0xfffe
	s_or_b32 exec_lo, exec_lo, s3
	s_and_saveexec_b32 s3, s2
	s_cbranch_execnz .LBB174_79
.LBB174_60:                             ;   in Loop: Header=BB174_3 Depth=1
	s_wait_alu 0xfffe
	s_or_b32 exec_lo, exec_lo, s3
	s_and_saveexec_b32 s3, s2
	s_cbranch_execnz .LBB174_80
.LBB174_61:                             ;   in Loop: Header=BB174_3 Depth=1
	s_wait_alu 0xfffe
	s_or_b32 exec_lo, exec_lo, s3
	s_and_saveexec_b32 s3, s2
	s_cbranch_execz .LBB174_63
.LBB174_62:                             ;   in Loop: Header=BB174_3 Depth=1
	v_add_co_u32 v104, vcc_lo, v43, v34
	s_wait_alu 0xfffd
	v_add_co_ci_u32_e64 v105, null, v44, v35, vcc_lo
	v_add_co_u32 v107, vcc_lo, v45, v34
	s_wait_alu 0xfffd
	v_add_co_ci_u32_e64 v108, null, v46, v35, vcc_lo
	global_load_u16 v17, v[104:105], off
	global_load_u16 v33, v[107:108], off
	s_wait_loadcnt 0x1
	v_cvt_f32_f16_e32 v17, v17
	s_wait_loadcnt 0x0
	v_cvt_f32_f16_e32 v33, v33
.LBB174_63:                             ;   in Loop: Header=BB174_3 Depth=1
	s_wait_alu 0xfffe
	s_or_b32 exec_lo, exec_lo, s3
	s_wait_loadcnt 0x0
	ds_bpermute_b32 v104, v1, v106
	ds_bpermute_b32 v105, v1, v106 offset:4
	ds_bpermute_b32 v107, v1, v106 offset:8
	v_dual_mul_f32 v2, v18, v2 :: v_dual_mul_f32 v3, v19, v3
	ds_bpermute_b32 v18, v1, v106 offset:12
	ds_bpermute_b32 v19, v1, v106 offset:16
	s_wait_dscnt 0x4
	v_fmac_f32_e32 v103, v2, v104
	v_mul_f32_e32 v2, v20, v4
	ds_bpermute_b32 v4, v1, v106 offset:20
	s_wait_dscnt 0x4
	v_fmac_f32_e32 v103, v3, v105
	v_mul_f32_e32 v3, v21, v5
	;; [unrolled: 4-line block ×4, first 2 shown]
	ds_bpermute_b32 v7, v1, v106 offset:32
	s_wait_dscnt 0x4
	v_dual_fmac_f32 v103, v2, v19 :: v_dual_mul_f32 v2, v24, v8
	ds_bpermute_b32 v8, v1, v106 offset:36
	s_wait_dscnt 0x4
	v_fmac_f32_e32 v103, v3, v4
	v_mul_f32_e32 v3, v25, v9
	ds_bpermute_b32 v4, v1, v106 offset:40
	s_wait_dscnt 0x4
	v_fmac_f32_e32 v103, v2, v5
	v_mul_f32_e32 v2, v26, v10
	;; [unrolled: 4-line block ×3, first 2 shown]
	ds_bpermute_b32 v6, v1, v106 offset:48
	s_wait_dscnt 0x4
	v_dual_fmac_f32 v103, v2, v7 :: v_dual_mul_f32 v2, v28, v12
	ds_bpermute_b32 v7, v1, v106 offset:52
	s_wait_dscnt 0x4
	v_fmac_f32_e32 v103, v3, v8
	v_mul_f32_e32 v3, v29, v13
	s_wait_dscnt 0x3
	s_delay_alu instid0(VALU_DEP_2)
	v_fmac_f32_e32 v103, v2, v4
	ds_bpermute_b32 v4, v1, v106 offset:56
	s_wait_dscnt 0x3
	v_dual_mul_f32 v2, v30, v14 :: v_dual_fmac_f32 v103, v3, v5
	v_mul_f32_e32 v3, v31, v15
	s_wait_dscnt 0x2
	s_delay_alu instid0(VALU_DEP_2)
	v_fmac_f32_e32 v103, v2, v6
	ds_bpermute_b32 v2, v1, v106 offset:60
	s_wait_dscnt 0x2
	v_fmac_f32_e32 v103, v3, v7
	v_mul_f32_e32 v3, v32, v16
	s_wait_dscnt 0x1
	s_delay_alu instid0(VALU_DEP_1) | instskip(NEXT) | instid1(VALU_DEP_1)
	v_fmac_f32_e32 v103, v3, v4
	v_mov_b32_e32 v166, v103
.LBB174_64:                             ;   in Loop: Header=BB174_3 Depth=1
	v_add_co_u32 v39, vcc_lo, v39, s22
	s_wait_alu 0xfffd
	v_add_co_ci_u32_e64 v40, null, s23, v40, vcc_lo
	v_add_co_u32 v41, vcc_lo, v41, s22
	s_wait_alu 0xfffd
	v_add_co_ci_u32_e64 v42, null, s23, v42, vcc_lo
	;; [unrolled: 3-line block ×29, first 2 shown]
	v_add_co_u32 v97, vcc_lo, v97, s22
	v_mul_f32_e32 v3, v17, v33
	s_add_nc_u64 s[26:27], s[26:27], s[20:21]
	s_wait_alu 0xfffd
	v_add_co_ci_u32_e64 v98, null, s23, v98, vcc_lo
	v_add_co_u32 v99, vcc_lo, v99, s22
	s_wait_alu 0xfffe
	v_cmp_lt_i64_e64 s3, s[26:27], s[4:5]
	s_wait_alu 0xfffd
	v_add_co_ci_u32_e64 v100, null, s23, v100, vcc_lo
	v_add_co_u32 v101, vcc_lo, v101, s22
	s_wait_dscnt 0x0
	v_fmac_f32_e32 v166, v3, v2
	s_wait_alu 0xfffd
	v_add_co_ci_u32_e64 v102, null, s23, v102, vcc_lo
	s_and_b32 vcc_lo, exec_lo, s3
	s_add_nc_u64 s[24:25], s[24:25], s[20:21]
	s_wait_alu 0xfffe
	s_cbranch_vccz .LBB174_82
; %bb.65:                               ;   in Loop: Header=BB174_3 Depth=1
	v_mov_b32_e32 v103, v166
	s_branch .LBB174_3
.LBB174_66:                             ;   in Loop: Header=BB174_3 Depth=1
	v_add_co_u32 v2, vcc_lo, v39, v34
	s_wait_alu 0xfffd
	v_add_co_ci_u32_e64 v3, null, v40, v35, vcc_lo
	v_add_co_u32 v4, vcc_lo, v41, v34
	s_wait_alu 0xfffd
	v_add_co_ci_u32_e64 v5, null, v42, v35, vcc_lo
	global_load_u16 v2, v[2:3], off
	global_load_u16 v18, v[4:5], off
	v_dual_mov_b32 v3, v1 :: v_dual_mov_b32 v4, v1
	v_dual_mov_b32 v5, v1 :: v_dual_mov_b32 v6, v1
	;; [unrolled: 1-line block ×14, first 2 shown]
	v_mov_b32_e32 v31, v1
	v_mov_b32_e32 v33, v1
	s_wait_loadcnt 0x1
	v_cvt_f32_f16_e32 v2, v2
	s_wait_loadcnt 0x0
	v_cvt_f32_f16_e32 v18, v18
	s_wait_alu 0xfffe
	s_or_b32 exec_lo, exec_lo, s3
	s_and_saveexec_b32 s3, s2
	s_cbranch_execz .LBB174_48
.LBB174_67:                             ;   in Loop: Header=BB174_3 Depth=1
	v_add_co_u32 v104, vcc_lo, v99, v34
	s_wait_alu 0xfffd
	v_add_co_ci_u32_e64 v105, null, v100, v35, vcc_lo
	v_add_co_u32 v107, vcc_lo, v101, v34
	s_wait_alu 0xfffd
	v_add_co_ci_u32_e64 v108, null, v102, v35, vcc_lo
	global_load_u16 v3, v[104:105], off
	global_load_u16 v19, v[107:108], off
	s_wait_loadcnt 0x1
	v_cvt_f32_f16_e32 v3, v3
	s_wait_loadcnt 0x0
	v_cvt_f32_f16_e32 v19, v19
	s_wait_alu 0xfffe
	s_or_b32 exec_lo, exec_lo, s3
	s_and_saveexec_b32 s3, s2
	s_cbranch_execz .LBB174_49
.LBB174_68:                             ;   in Loop: Header=BB174_3 Depth=1
	v_add_co_u32 v104, vcc_lo, v95, v34
	s_wait_alu 0xfffd
	v_add_co_ci_u32_e64 v105, null, v96, v35, vcc_lo
	v_add_co_u32 v107, vcc_lo, v97, v34
	s_wait_alu 0xfffd
	v_add_co_ci_u32_e64 v108, null, v98, v35, vcc_lo
	global_load_u16 v4, v[104:105], off
	global_load_u16 v20, v[107:108], off
	s_wait_loadcnt 0x1
	v_cvt_f32_f16_e32 v4, v4
	s_wait_loadcnt 0x0
	v_cvt_f32_f16_e32 v20, v20
	s_wait_alu 0xfffe
	s_or_b32 exec_lo, exec_lo, s3
	s_and_saveexec_b32 s3, s2
	s_cbranch_execz .LBB174_50
.LBB174_69:                             ;   in Loop: Header=BB174_3 Depth=1
	v_add_co_u32 v104, vcc_lo, v91, v34
	s_wait_alu 0xfffd
	v_add_co_ci_u32_e64 v105, null, v92, v35, vcc_lo
	v_add_co_u32 v107, vcc_lo, v93, v34
	s_wait_alu 0xfffd
	v_add_co_ci_u32_e64 v108, null, v94, v35, vcc_lo
	global_load_u16 v5, v[104:105], off
	global_load_u16 v21, v[107:108], off
	s_wait_loadcnt 0x1
	v_cvt_f32_f16_e32 v5, v5
	s_wait_loadcnt 0x0
	v_cvt_f32_f16_e32 v21, v21
	s_wait_alu 0xfffe
	s_or_b32 exec_lo, exec_lo, s3
	s_and_saveexec_b32 s3, s2
	s_cbranch_execz .LBB174_51
.LBB174_70:                             ;   in Loop: Header=BB174_3 Depth=1
	v_add_co_u32 v104, vcc_lo, v87, v34
	s_wait_alu 0xfffd
	v_add_co_ci_u32_e64 v105, null, v88, v35, vcc_lo
	v_add_co_u32 v107, vcc_lo, v89, v34
	s_wait_alu 0xfffd
	v_add_co_ci_u32_e64 v108, null, v90, v35, vcc_lo
	global_load_u16 v6, v[104:105], off
	global_load_u16 v22, v[107:108], off
	s_wait_loadcnt 0x1
	v_cvt_f32_f16_e32 v6, v6
	s_wait_loadcnt 0x0
	v_cvt_f32_f16_e32 v22, v22
	s_wait_alu 0xfffe
	s_or_b32 exec_lo, exec_lo, s3
	s_and_saveexec_b32 s3, s2
	s_cbranch_execz .LBB174_52
.LBB174_71:                             ;   in Loop: Header=BB174_3 Depth=1
	v_add_co_u32 v104, vcc_lo, v83, v34
	s_wait_alu 0xfffd
	v_add_co_ci_u32_e64 v105, null, v84, v35, vcc_lo
	v_add_co_u32 v107, vcc_lo, v85, v34
	s_wait_alu 0xfffd
	v_add_co_ci_u32_e64 v108, null, v86, v35, vcc_lo
	global_load_u16 v7, v[104:105], off
	global_load_u16 v23, v[107:108], off
	s_wait_loadcnt 0x1
	v_cvt_f32_f16_e32 v7, v7
	s_wait_loadcnt 0x0
	v_cvt_f32_f16_e32 v23, v23
	s_wait_alu 0xfffe
	s_or_b32 exec_lo, exec_lo, s3
	s_and_saveexec_b32 s3, s2
	s_cbranch_execz .LBB174_53
.LBB174_72:                             ;   in Loop: Header=BB174_3 Depth=1
	v_add_co_u32 v104, vcc_lo, v79, v34
	s_wait_alu 0xfffd
	v_add_co_ci_u32_e64 v105, null, v80, v35, vcc_lo
	v_add_co_u32 v107, vcc_lo, v81, v34
	s_wait_alu 0xfffd
	v_add_co_ci_u32_e64 v108, null, v82, v35, vcc_lo
	global_load_u16 v8, v[104:105], off
	global_load_u16 v24, v[107:108], off
	s_wait_loadcnt 0x1
	v_cvt_f32_f16_e32 v8, v8
	s_wait_loadcnt 0x0
	v_cvt_f32_f16_e32 v24, v24
	s_wait_alu 0xfffe
	s_or_b32 exec_lo, exec_lo, s3
	s_and_saveexec_b32 s3, s2
	s_cbranch_execz .LBB174_54
.LBB174_73:                             ;   in Loop: Header=BB174_3 Depth=1
	v_add_co_u32 v104, vcc_lo, v75, v34
	s_wait_alu 0xfffd
	v_add_co_ci_u32_e64 v105, null, v76, v35, vcc_lo
	v_add_co_u32 v107, vcc_lo, v77, v34
	s_wait_alu 0xfffd
	v_add_co_ci_u32_e64 v108, null, v78, v35, vcc_lo
	global_load_u16 v9, v[104:105], off
	global_load_u16 v25, v[107:108], off
	s_wait_loadcnt 0x1
	v_cvt_f32_f16_e32 v9, v9
	s_wait_loadcnt 0x0
	v_cvt_f32_f16_e32 v25, v25
	s_wait_alu 0xfffe
	s_or_b32 exec_lo, exec_lo, s3
	s_and_saveexec_b32 s3, s2
	s_cbranch_execz .LBB174_55
.LBB174_74:                             ;   in Loop: Header=BB174_3 Depth=1
	v_add_co_u32 v104, vcc_lo, v71, v34
	s_wait_alu 0xfffd
	v_add_co_ci_u32_e64 v105, null, v72, v35, vcc_lo
	v_add_co_u32 v107, vcc_lo, v73, v34
	s_wait_alu 0xfffd
	v_add_co_ci_u32_e64 v108, null, v74, v35, vcc_lo
	global_load_u16 v10, v[104:105], off
	global_load_u16 v26, v[107:108], off
	s_wait_loadcnt 0x1
	v_cvt_f32_f16_e32 v10, v10
	s_wait_loadcnt 0x0
	v_cvt_f32_f16_e32 v26, v26
	s_wait_alu 0xfffe
	s_or_b32 exec_lo, exec_lo, s3
	s_and_saveexec_b32 s3, s2
	s_cbranch_execz .LBB174_56
.LBB174_75:                             ;   in Loop: Header=BB174_3 Depth=1
	v_add_co_u32 v104, vcc_lo, v67, v34
	s_wait_alu 0xfffd
	v_add_co_ci_u32_e64 v105, null, v68, v35, vcc_lo
	v_add_co_u32 v107, vcc_lo, v69, v34
	s_wait_alu 0xfffd
	v_add_co_ci_u32_e64 v108, null, v70, v35, vcc_lo
	global_load_u16 v11, v[104:105], off
	global_load_u16 v27, v[107:108], off
	s_wait_loadcnt 0x1
	v_cvt_f32_f16_e32 v11, v11
	s_wait_loadcnt 0x0
	v_cvt_f32_f16_e32 v27, v27
	s_wait_alu 0xfffe
	s_or_b32 exec_lo, exec_lo, s3
	s_and_saveexec_b32 s3, s2
	s_cbranch_execz .LBB174_57
.LBB174_76:                             ;   in Loop: Header=BB174_3 Depth=1
	v_add_co_u32 v104, vcc_lo, v63, v34
	s_wait_alu 0xfffd
	v_add_co_ci_u32_e64 v105, null, v64, v35, vcc_lo
	v_add_co_u32 v107, vcc_lo, v65, v34
	s_wait_alu 0xfffd
	v_add_co_ci_u32_e64 v108, null, v66, v35, vcc_lo
	global_load_u16 v12, v[104:105], off
	global_load_u16 v28, v[107:108], off
	s_wait_loadcnt 0x1
	v_cvt_f32_f16_e32 v12, v12
	s_wait_loadcnt 0x0
	v_cvt_f32_f16_e32 v28, v28
	s_wait_alu 0xfffe
	s_or_b32 exec_lo, exec_lo, s3
	s_and_saveexec_b32 s3, s2
	s_cbranch_execz .LBB174_58
.LBB174_77:                             ;   in Loop: Header=BB174_3 Depth=1
	v_add_co_u32 v104, vcc_lo, v59, v34
	s_wait_alu 0xfffd
	v_add_co_ci_u32_e64 v105, null, v60, v35, vcc_lo
	v_add_co_u32 v107, vcc_lo, v61, v34
	s_wait_alu 0xfffd
	v_add_co_ci_u32_e64 v108, null, v62, v35, vcc_lo
	global_load_u16 v13, v[104:105], off
	global_load_u16 v29, v[107:108], off
	s_wait_loadcnt 0x1
	v_cvt_f32_f16_e32 v13, v13
	s_wait_loadcnt 0x0
	v_cvt_f32_f16_e32 v29, v29
	s_wait_alu 0xfffe
	s_or_b32 exec_lo, exec_lo, s3
	s_and_saveexec_b32 s3, s2
	s_cbranch_execz .LBB174_59
.LBB174_78:                             ;   in Loop: Header=BB174_3 Depth=1
	v_add_co_u32 v104, vcc_lo, v55, v34
	s_wait_alu 0xfffd
	v_add_co_ci_u32_e64 v105, null, v56, v35, vcc_lo
	v_add_co_u32 v107, vcc_lo, v57, v34
	s_wait_alu 0xfffd
	v_add_co_ci_u32_e64 v108, null, v58, v35, vcc_lo
	global_load_u16 v14, v[104:105], off
	global_load_u16 v30, v[107:108], off
	s_wait_loadcnt 0x1
	v_cvt_f32_f16_e32 v14, v14
	s_wait_loadcnt 0x0
	v_cvt_f32_f16_e32 v30, v30
	s_wait_alu 0xfffe
	s_or_b32 exec_lo, exec_lo, s3
	s_and_saveexec_b32 s3, s2
	s_cbranch_execz .LBB174_60
.LBB174_79:                             ;   in Loop: Header=BB174_3 Depth=1
	v_add_co_u32 v104, vcc_lo, v51, v34
	s_wait_alu 0xfffd
	v_add_co_ci_u32_e64 v105, null, v52, v35, vcc_lo
	v_add_co_u32 v107, vcc_lo, v53, v34
	s_wait_alu 0xfffd
	v_add_co_ci_u32_e64 v108, null, v54, v35, vcc_lo
	global_load_u16 v15, v[104:105], off
	global_load_u16 v31, v[107:108], off
	s_wait_loadcnt 0x1
	v_cvt_f32_f16_e32 v15, v15
	s_wait_loadcnt 0x0
	v_cvt_f32_f16_e32 v31, v31
	s_wait_alu 0xfffe
	s_or_b32 exec_lo, exec_lo, s3
	s_and_saveexec_b32 s3, s2
	s_cbranch_execz .LBB174_61
.LBB174_80:                             ;   in Loop: Header=BB174_3 Depth=1
	v_add_co_u32 v104, vcc_lo, v47, v34
	s_wait_alu 0xfffd
	v_add_co_ci_u32_e64 v105, null, v48, v35, vcc_lo
	v_add_co_u32 v107, vcc_lo, v49, v34
	s_wait_alu 0xfffd
	v_add_co_ci_u32_e64 v108, null, v50, v35, vcc_lo
	global_load_u16 v16, v[104:105], off
	global_load_u16 v32, v[107:108], off
	s_wait_loadcnt 0x1
	v_cvt_f32_f16_e32 v16, v16
	s_wait_loadcnt 0x0
	v_cvt_f32_f16_e32 v32, v32
	s_wait_alu 0xfffe
	s_or_b32 exec_lo, exec_lo, s3
	s_and_saveexec_b32 s3, s2
	s_cbranch_execnz .LBB174_62
	s_branch .LBB174_63
.LBB174_81:
                                        ; implicit-def: $vgpr166
	s_branch .LBB174_83
.LBB174_82:
	s_cbranch_execnz .LBB174_131
.LBB174_83:
	v_mov_b32_e32 v166, 0
	s_and_not1_b32 vcc_lo, exec_lo, s29
	s_wait_alu 0xfffe
	s_cbranch_vccnz .LBB174_131
; %bb.84:
	v_bfe_u32 v96, v0, 10, 10
	s_lshl_b64 s[2:3], s[14:15], 1
	v_dual_mov_b32 v163, 0 :: v_dual_and_b32 v158, 0x3ff, v0
	s_add_nc_u64 s[18:19], s[14:15], 0xff
	s_delay_alu instid0(VALU_DEP_2) | instskip(SKIP_1) | instid1(VALU_DEP_2)
	v_lshlrev_b32_e32 v97, 4, v96
	v_lshlrev_b32_e32 v1, 5, v96
	v_add_co_u32 v3, s16, v97, s14
	s_wait_alu 0xf1ff
	v_add_co_ci_u32_e64 v4, null, 0, 0, s16
	s_wait_alu 0xfffe
	v_add_co_u32 v5, s2, v1, s2
	v_mul_lo_u32 v7, s7, v3
	s_delay_alu instid0(VALU_DEP_3)
	v_mul_lo_u32 v8, s6, v4
	v_mad_co_u64_u32 v[1:2], null, s6, v3, 0
	s_wait_alu 0xf1ff
	v_add_co_ci_u32_e64 v6, null, 0, s3, s2
	v_add_co_u32 v9, vcc_lo, v5, 2
	s_load_b32 s2, s[0:1], 0x44
	v_add_co_ci_u32_e64 v10, null, 0, v6, vcc_lo
	v_add_co_u32 v11, vcc_lo, v5, 4
	s_wait_alu 0xfffd
	v_add_co_ci_u32_e64 v12, null, 0, v6, vcc_lo
	v_add3_u32 v2, v2, v8, v7
	v_add_co_u32 v7, vcc_lo, v5, 6
	s_wait_alu 0xfffd
	v_add_co_ci_u32_e64 v8, null, 0, v6, vcc_lo
	v_add_co_u32 v15, vcc_lo, v5, 8
	s_wait_alu 0xfffd
	v_add_co_ci_u32_e64 v16, null, 0, v6, vcc_lo
	;; [unrolled: 3-line block ×12, first 2 shown]
	v_add_co_u32 v5, vcc_lo, v5, 30
	v_mad_co_u64_u32 v[52:53], null, s6, v33, s[8:9]
	v_mul_lo_u32 v91, s6, v54
	v_mul_lo_u32 v92, s7, v33
	v_mad_co_u64_u32 v[54:55], null, s6, v84, s[8:9]
	v_mul_lo_u32 v93, s6, v56
	v_mul_lo_u32 v94, s7, v84
	v_mad_co_u64_u32 v[82:83], null, s6, v33, s[10:11]
	v_mad_co_u64_u32 v[84:85], null, s6, v84, s[10:11]
	s_wait_alu 0xfffd
	v_add_co_ci_u32_e64 v6, null, 0, v6, vcc_lo
	v_mad_co_u64_u32 v[38:39], null, s6, v7, s[8:9]
	v_mul_lo_u32 v8, s6, v8
	v_mul_lo_u32 v17, s7, v7
	v_mad_co_u64_u32 v[68:69], null, s6, v7, s[10:11]
	v_mul_lo_u32 v104, s6, v6
	v_add_co_u32 v6, vcc_lo, v3, 15
	v_mad_co_u64_u32 v[36:37], null, s6, v11, s[8:9]
	v_mul_lo_u32 v12, s6, v12
	v_mul_lo_u32 v14, s7, v11
	v_mad_co_u64_u32 v[66:67], null, s6, v11, s[10:11]
	v_add3_u32 v53, v92, v53, v91
	v_add3_u32 v55, v94, v55, v93
	v_mul_lo_u32 v102, s6, v62
	v_mad_co_u64_u32 v[62:63], null, s6, v5, s[8:9]
	v_mul_lo_u32 v105, s7, v5
	v_add3_u32 v83, v92, v83, v91
	v_add3_u32 v85, v94, v85, v93
	v_mad_co_u64_u32 v[92:93], null, s6, v5, s[10:11]
	s_wait_alu 0xfffd
	v_add_co_ci_u32_e64 v5, null, 0, v4, vcc_lo
	v_add_co_u32 v7, vcc_lo, v3, 14
	v_mad_co_u64_u32 v[34:35], null, s6, v9, s[8:9]
	v_mul_lo_u32 v10, s6, v10
	v_mul_lo_u32 v13, s7, v9
	v_mad_co_u64_u32 v[64:65], null, s6, v9, s[10:11]
	v_add3_u32 v39, v17, v39, v8
	v_add3_u32 v69, v17, v69, v8
	s_wait_alu 0xfffd
	v_add_co_ci_u32_e64 v8, null, 0, v4, vcc_lo
	v_add3_u32 v37, v14, v37, v12
	v_add3_u32 v67, v14, v67, v12
	v_mul_lo_u32 v11, s7, v7
	s_delay_alu instid0(VALU_DEP_4)
	v_mul_lo_u32 v12, s6, v8
	v_mad_co_u64_u32 v[7:8], null, s6, v7, 0
	v_add3_u32 v35, v13, v35, v10
	v_mad_co_u64_u32 v[40:41], null, s6, v15, s[8:9]
	v_mul_lo_u32 v16, s6, v16
	v_mul_lo_u32 v19, s7, v15
	v_mad_co_u64_u32 v[70:71], null, s6, v15, s[10:11]
	v_add3_u32 v65, v13, v65, v10
	v_mul_lo_u32 v9, s7, v6
	v_mul_lo_u32 v10, s6, v5
	v_mad_co_u64_u32 v[5:6], null, s6, v6, 0
	v_mad_co_u64_u32 v[42:43], null, s6, v18, s[8:9]
	v_mul_lo_u32 v20, s6, v20
	v_mul_lo_u32 v23, s7, v18
	v_mad_co_u64_u32 v[72:73], null, s6, v18, s[10:11]
	v_add_co_u32 v13, vcc_lo, v3, 13
	v_mad_co_u64_u32 v[44:45], null, s6, v21, s[8:9]
	v_mul_lo_u32 v22, s6, v22
	v_mul_lo_u32 v25, s7, v21
	v_mad_co_u64_u32 v[74:75], null, s6, v21, s[10:11]
	s_wait_alu 0xfffd
	v_add_co_ci_u32_e64 v14, null, 0, v4, vcc_lo
	v_add3_u32 v8, v8, v12, v11
	v_add_co_u32 v11, vcc_lo, v3, 12
	v_add3_u32 v41, v19, v41, v16
	v_add3_u32 v71, v19, v71, v16
	v_add3_u32 v6, v6, v10, v9
	v_mul_lo_u32 v19, s7, v13
	v_mad_co_u64_u32 v[9:10], null, s6, v13, 0
	s_wait_alu 0xfffd
	v_add_co_ci_u32_e64 v12, null, 0, v4, vcc_lo
	v_add_co_u32 v13, vcc_lo, v3, 11
	v_mad_co_u64_u32 v[46:47], null, s6, v24, s[8:9]
	v_mul_lo_u32 v26, s6, v26
	v_mul_lo_u32 v29, s7, v24
	v_mad_co_u64_u32 v[76:77], null, s6, v24, s[10:11]
	v_add3_u32 v43, v23, v43, v20
	v_add3_u32 v73, v23, v73, v20
	v_mul_lo_u32 v20, s6, v14
	s_wait_alu 0xfffd
	v_add_co_ci_u32_e64 v14, null, 0, v4, vcc_lo
	v_add_co_u32 v15, vcc_lo, v3, 10
	s_wait_alu 0xfffd
	v_add_co_ci_u32_e64 v16, null, 0, v4, vcc_lo
	v_add3_u32 v45, v25, v45, v22
	v_add3_u32 v75, v25, v75, v22
	v_mul_lo_u32 v21, s7, v11
	v_mul_lo_u32 v22, s6, v12
	v_mad_co_u64_u32 v[11:12], null, s6, v11, 0
	v_mul_lo_u32 v23, s7, v13
	v_mul_lo_u32 v24, s6, v14
	v_mad_co_u64_u32 v[13:14], null, s6, v13, 0
	v_mad_co_u64_u32 v[50:51], null, s6, v31, s[8:9]
	v_mul_lo_u32 v32, s6, v32
	v_mul_lo_u32 v90, s7, v31
	v_mad_co_u64_u32 v[80:81], null, s6, v31, s[10:11]
	v_add3_u32 v47, v29, v47, v26
	v_add3_u32 v77, v29, v77, v26
	v_mul_lo_u32 v25, s7, v15
	v_add_co_u32 v17, vcc_lo, v3, 9
	v_mul_lo_u32 v26, s6, v16
	v_mad_co_u64_u32 v[15:16], null, s6, v15, 0
	s_wait_alu 0xfffd
	v_add_co_ci_u32_e64 v18, null, 0, v4, vcc_lo
	v_add3_u32 v10, v10, v20, v19
	v_add_co_u32 v19, vcc_lo, v3, 8
	v_mad_co_u64_u32 v[48:49], null, s6, v27, s[8:9]
	v_mul_lo_u32 v28, s6, v28
	v_mul_lo_u32 v30, s7, v27
	v_mad_co_u64_u32 v[78:79], null, s6, v27, s[10:11]
	v_add3_u32 v12, v12, v22, v21
	s_wait_alu 0xfffd
	v_add_co_ci_u32_e64 v20, null, 0, v4, vcc_lo
	v_add_co_u32 v21, vcc_lo, v3, 7
	v_mad_co_u64_u32 v[56:57], null, s6, v86, s[8:9]
	v_mul_lo_u32 v95, s6, v58
	v_mul_lo_u32 v98, s7, v86
	v_mad_co_u64_u32 v[86:87], null, s6, v86, s[10:11]
	v_add3_u32 v14, v14, v24, v23
	s_wait_alu 0xfffd
	v_add_co_ci_u32_e64 v22, null, 0, v4, vcc_lo
	v_add_co_u32 v23, vcc_lo, v3, 6
	v_add3_u32 v51, v90, v51, v32
	v_mad_co_u64_u32 v[58:59], null, s6, v88, s[8:9]
	v_mul_lo_u32 v99, s6, v60
	v_mul_lo_u32 v101, s7, v88
	v_mad_co_u64_u32 v[88:89], null, s6, v88, s[10:11]
	v_add3_u32 v81, v90, v81, v32
	v_mul_lo_u32 v31, s7, v17
	v_mul_lo_u32 v32, s6, v18
	v_mad_co_u64_u32 v[17:18], null, s6, v17, 0
	v_add3_u32 v16, v16, v26, v25
	s_wait_alu 0xfffd
	v_add_co_ci_u32_e64 v24, null, 0, v4, vcc_lo
	v_add_co_u32 v25, vcc_lo, v3, 5
	v_mad_co_u64_u32 v[60:61], null, s6, v100, s[8:9]
	v_mul_lo_u32 v103, s7, v100
	v_mad_co_u64_u32 v[90:91], null, s6, v100, s[10:11]
	s_wait_alu 0xfffd
	v_add_co_ci_u32_e64 v26, null, 0, v4, vcc_lo
	v_add_co_u32 v27, vcc_lo, v3, 4
	v_add3_u32 v49, v30, v49, v28
	v_add3_u32 v79, v30, v79, v28
	s_wait_alu 0xfffd
	v_add_co_ci_u32_e64 v28, null, 0, v4, vcc_lo
	v_add_co_u32 v29, vcc_lo, v3, 3
	v_add3_u32 v57, v98, v57, v95
	v_add3_u32 v87, v98, v87, v95
	v_mul_lo_u32 v95, s7, v21
	v_mul_lo_u32 v98, s6, v22
	v_mad_co_u64_u32 v[21:22], null, s6, v21, 0
	v_add3_u32 v63, v105, v63, v104
	v_add3_u32 v93, v105, v93, v104
	s_wait_alu 0xfffd
	v_add_co_ci_u32_e64 v30, null, 0, v4, vcc_lo
	v_add_co_u32 v105, vcc_lo, v3, 2
	v_add3_u32 v59, v101, v59, v99
	v_add3_u32 v89, v101, v89, v99
	v_mul_lo_u32 v99, s7, v23
	v_mul_lo_u32 v100, s6, v24
	v_mad_co_u64_u32 v[23:24], null, s6, v23, 0
	v_add3_u32 v18, v18, v32, v31
	v_lshlrev_b64_e32 v[31:32], 1, v[1:2]
	s_wait_alu 0xfffd
	v_add_co_ci_u32_e64 v106, null, 0, v4, vcc_lo
	v_add3_u32 v61, v103, v61, v102
	v_add3_u32 v91, v103, v91, v102
	v_mul_lo_u32 v101, s7, v25
	v_mul_lo_u32 v102, s6, v26
	v_mad_co_u64_u32 v[25:26], null, s6, v25, 0
	v_mul_lo_u32 v103, s7, v27
	v_mul_lo_u32 v104, s6, v28
	v_mad_co_u64_u32 v[27:28], null, s6, v27, 0
	v_add_co_u32 v1, vcc_lo, v1, s6
	v_lshlrev_b64_e32 v[5:6], 1, v[5:6]
	v_mul_lo_u32 v107, s6, v30
	v_mul_lo_u32 v108, s7, v29
	v_mad_co_u64_u32 v[3:4], null, s6, v29, 0
	v_mul_lo_u32 v106, s6, v106
	v_mul_lo_u32 v109, s7, v105
	v_mad_co_u64_u32 v[29:30], null, s6, v105, 0
	v_add3_u32 v22, v22, v98, v95
	s_wait_alu 0xfffd
	v_add_co_ci_u32_e64 v2, null, s7, v2, vcc_lo
	v_add_co_u32 v98, vcc_lo, s8, v31
	v_add3_u32 v24, v24, v100, v99
	s_wait_alu 0xfffd
	v_add_co_ci_u32_e64 v99, null, s9, v32, vcc_lo
	v_add_co_u32 v100, vcc_lo, s10, v31
	v_lshlrev_b64_e32 v[7:8], 1, v[7:8]
	v_add3_u32 v26, v26, v102, v101
	s_wait_alu 0xfffd
	v_add_co_ci_u32_e64 v101, null, s11, v32, vcc_lo
	v_add_co_u32 v102, vcc_lo, s8, v5
	v_add3_u32 v28, v28, v104, v103
	s_wait_alu 0xfffd
	v_add_co_ci_u32_e64 v103, null, s9, v6, vcc_lo
	v_add_co_u32 v104, vcc_lo, s10, v5
	;; [unrolled: 4-line block ×3, first 2 shown]
	v_lshlrev_b64_e32 v[5:6], 1, v[9:10]
	v_add3_u32 v4, v4, v107, v108
	s_wait_alu 0xfffd
	v_add_co_ci_u32_e64 v107, null, s9, v8, vcc_lo
	v_add_co_u32 v108, vcc_lo, s10, v7
	s_wait_alu 0xfffd
	v_add_co_ci_u32_e64 v109, null, s11, v8, vcc_lo
	v_lshlrev_b64_e32 v[7:8], 1, v[11:12]
	v_add_co_u32 v110, vcc_lo, s8, v5
	s_wait_alu 0xfffd
	v_add_co_ci_u32_e64 v111, null, s9, v6, vcc_lo
	v_add_co_u32 v112, vcc_lo, s10, v5
	s_wait_alu 0xfffd
	v_add_co_ci_u32_e64 v113, null, s11, v6, vcc_lo
	v_add_co_u32 v114, vcc_lo, s8, v7
	v_lshlrev_b64_e32 v[5:6], 1, v[13:14]
	v_mul_lo_u32 v33, s7, v19
	v_mul_lo_u32 v94, s6, v20
	v_mad_co_u64_u32 v[19:20], null, s6, v19, 0
	s_wait_alu 0xfffd
	v_add_co_ci_u32_e64 v115, null, s9, v8, vcc_lo
	v_add_co_u32 v116, vcc_lo, s10, v7
	s_wait_alu 0xfffd
	v_add_co_ci_u32_e64 v117, null, s11, v8, vcc_lo
	v_lshlrev_b64_e32 v[7:8], 1, v[15:16]
	v_add_co_u32 v118, vcc_lo, s8, v5
	s_wait_alu 0xfffd
	v_add_co_ci_u32_e64 v119, null, s9, v6, vcc_lo
	v_add_co_u32 v120, vcc_lo, s10, v5
	v_add3_u32 v20, v20, v94, v33
	s_wait_alu 0xfffd
	v_add_co_ci_u32_e64 v121, null, s11, v6, vcc_lo
	v_add_co_u32 v122, vcc_lo, s8, v7
	v_lshlrev_b64_e32 v[5:6], 1, v[17:18]
	s_wait_alu 0xfffd
	v_add_co_ci_u32_e64 v123, null, s9, v8, vcc_lo
	v_add_co_u32 v124, vcc_lo, s10, v7
	s_wait_alu 0xfffd
	v_add_co_ci_u32_e64 v125, null, s11, v8, vcc_lo
	v_lshlrev_b64_e32 v[7:8], 1, v[19:20]
	v_add_co_u32 v126, vcc_lo, s8, v5
	s_wait_alu 0xfffd
	v_add_co_ci_u32_e64 v127, null, s9, v6, vcc_lo
	v_add_co_u32 v128, vcc_lo, s10, v5
	s_wait_alu 0xfffd
	v_add_co_ci_u32_e64 v129, null, s11, v6, vcc_lo
	v_add_co_u32 v130, vcc_lo, s8, v7
	v_lshlrev_b64_e32 v[5:6], 1, v[21:22]
	s_wait_alu 0xfffd
	v_add_co_ci_u32_e64 v131, null, s9, v8, vcc_lo
	v_add_co_u32 v132, vcc_lo, s10, v7
	s_wait_alu 0xfffd
	v_add_co_ci_u32_e64 v133, null, s11, v8, vcc_lo
	v_lshlrev_b64_e32 v[7:8], 1, v[23:24]
	v_add_co_u32 v134, vcc_lo, s8, v5
	s_wait_alu 0xfffd
	v_add_co_ci_u32_e64 v135, null, s9, v6, vcc_lo
	v_add_co_u32 v136, vcc_lo, s10, v5
	;; [unrolled: 14-line block ×3, first 2 shown]
	v_lshlrev_b64_e32 v[3:4], 1, v[3:4]
	s_wait_alu 0xfffd
	v_add_co_ci_u32_e64 v145, null, s11, v6, vcc_lo
	v_add_co_u32 v146, vcc_lo, s8, v7
	s_wait_alu 0xfffd
	v_add_co_ci_u32_e64 v147, null, s9, v8, vcc_lo
	v_add_co_u32 v148, vcc_lo, s10, v7
	v_lshlrev_b64_e32 v[5:6], 1, v[29:30]
	s_wait_alu 0xfffd
	v_add_co_ci_u32_e64 v149, null, s11, v8, vcc_lo
	v_add_co_u32 v150, vcc_lo, s8, v3
	s_wait_alu 0xfffd
	v_add_co_ci_u32_e64 v151, null, s9, v4, vcc_lo
	v_add_co_u32 v152, vcc_lo, s10, v3
	v_lshlrev_b64_e32 v[2:3], 1, v[1:2]
	v_mov_b32_e32 v1, 0
	s_wait_alu 0xfffd
	v_add_co_ci_u32_e64 v153, null, s11, v4, vcc_lo
	v_add_co_u32 v154, vcc_lo, s8, v5
	s_wait_alu 0xfffd
	v_add_co_ci_u32_e64 v155, null, s9, v6, vcc_lo
	v_add_co_u32 v156, vcc_lo, s10, v5
	v_dual_mov_b32 v5, v1 :: v_dual_add_nc_u32 v4, s28, v158
	s_wait_alu 0xfffd
	v_add_co_ci_u32_e64 v157, null, s11, v6, vcc_lo
	v_add_co_u32 v159, vcc_lo, s8, v2
	s_mov_b32 s3, 0
	s_wait_alu 0xfffd
	v_add_co_ci_u32_e64 v160, null, s9, v3, vcc_lo
	v_add_co_u32 v161, vcc_lo, s10, v2
	s_wait_kmcnt 0x0
	s_lshl_b32 s8, s2, 8
	s_wait_alu 0xfffe
	s_mov_b32 s9, s3
	v_lshlrev_b64_e32 v[94:95], 1, v[4:5]
	s_wait_alu 0xfffd
	v_add_co_ci_u32_e64 v162, null, s11, v3, vcc_lo
	s_wait_alu 0xfffe
	s_mul_u64 s[16:17], s[6:7], s[8:9]
	s_add_nc_u64 s[10:11], s[0:1], 64
	s_wait_alu 0xfffe
	s_lshl_b64 s[16:17], s[16:17], 1
.LBB174_85:                             ; =>This Inner Loop Header: Depth=1
	v_cmp_ge_i64_e64 s2, s[18:19], s[4:5]
	v_add_co_u32 v164, s20, v97, s18
	s_wait_alu 0xf1ff
	v_add_co_ci_u32_e64 v165, null, 0, s19, s20
                                        ; implicit-def: $vgpr166
	s_and_b32 vcc_lo, exec_lo, s2
	s_mov_b32 s2, -1
	s_wait_alu 0xfffe
	s_cbranch_vccz .LBB174_123
; %bb.86:                               ;   in Loop: Header=BB174_85 Depth=1
	s_load_b32 s2, s[10:11], 0xc
	v_mov_b32_e32 v167, 0
	s_wait_kmcnt 0x0
	s_and_b32 s2, s2, 0xffff
	s_wait_alu 0xfffe
	v_mad_u32_u24 v2, v96, s2, v158
	s_mov_b32 s2, exec_lo
	s_delay_alu instid0(VALU_DEP_1) | instskip(NEXT) | instid1(VALU_DEP_1)
	v_and_b32_e32 v2, 31, v2
	v_cmpx_gt_u32_e32 16, v2
	s_cbranch_execz .LBB174_90
; %bb.87:                               ;   in Loop: Header=BB174_85 Depth=1
	v_add_co_u32 v2, vcc_lo, v164, v2
	s_wait_alu 0xfffd
	v_add_co_ci_u32_e64 v3, null, 0, v165, vcc_lo
	v_mov_b32_e32 v167, 0
	s_delay_alu instid0(VALU_DEP_3) | instskip(SKIP_1) | instid1(VALU_DEP_3)
	v_add_co_u32 v2, vcc_lo, 0xffffff01, v2
	s_wait_alu 0xfffd
	v_add_co_ci_u32_e64 v3, null, -1, v3, vcc_lo
	s_mov_b32 s20, exec_lo
	v_cmpx_gt_i64_e64 s[4:5], v[2:3]
	s_cbranch_execz .LBB174_89
; %bb.88:                               ;   in Loop: Header=BB174_85 Depth=1
	v_lshlrev_b64_e32 v[2:3], 2, v[2:3]
	s_delay_alu instid0(VALU_DEP_1) | instskip(SKIP_1) | instid1(VALU_DEP_2)
	v_add_co_u32 v2, vcc_lo, s12, v2
	s_wait_alu 0xfffd
	v_add_co_ci_u32_e64 v3, null, s13, v3, vcc_lo
	global_load_b32 v167, v[2:3], off
.LBB174_89:                             ;   in Loop: Header=BB174_85 Depth=1
	s_wait_alu 0xfffe
	s_or_b32 exec_lo, exec_lo, s20
.LBB174_90:                             ;   in Loop: Header=BB174_85 Depth=1
	s_wait_alu 0xfffe
	s_or_b32 exec_lo, exec_lo, s2
	v_add_co_u32 v17, vcc_lo, 0xffffff01, v164
	s_wait_alu 0xfffd
	v_add_co_ci_u32_e64 v18, null, -1, v165, vcc_lo
	v_mov_b32_e32 v16, v1
	v_dual_mov_b32 v2, v1 :: v_dual_mov_b32 v3, v1
	v_dual_mov_b32 v4, v1 :: v_dual_mov_b32 v5, v1
	v_dual_mov_b32 v6, v1 :: v_dual_mov_b32 v7, v1
	v_dual_mov_b32 v8, v1 :: v_dual_mov_b32 v9, v1
	v_dual_mov_b32 v10, v1 :: v_dual_mov_b32 v11, v1
	v_dual_mov_b32 v12, v1 :: v_dual_mov_b32 v13, v1
	v_dual_mov_b32 v14, v1 :: v_dual_mov_b32 v15, v1
	v_cmp_gt_i64_e32 vcc_lo, s[4:5], v[17:18]
	s_delay_alu instid0(VALU_DEP_3) | instskip(NEXT) | instid1(VALU_DEP_3)
	v_dual_mov_b32 v33, v16 :: v_dual_mov_b32 v30, v13
	v_dual_mov_b32 v31, v14 :: v_dual_mov_b32 v32, v15
	;; [unrolled: 1-line block ×8, first 2 shown]
	v_mov_b32_e32 v17, v16
	v_mov_b32_e32 v16, v15
	;; [unrolled: 1-line block ×16, first 2 shown]
	s_and_saveexec_b32 s2, vcc_lo
	s_cbranch_execz .LBB174_92
; %bb.91:                               ;   in Loop: Header=BB174_85 Depth=1
	v_add_co_u32 v2, vcc_lo, v98, v94
	s_wait_alu 0xfffd
	v_add_co_ci_u32_e64 v3, null, v99, v95, vcc_lo
	v_add_co_u32 v4, vcc_lo, v100, v94
	s_wait_alu 0xfffd
	v_add_co_ci_u32_e64 v5, null, v101, v95, vcc_lo
	global_load_u16 v2, v[2:3], off
	global_load_u16 v18, v[4:5], off
	v_dual_mov_b32 v3, v1 :: v_dual_mov_b32 v4, v1
	v_dual_mov_b32 v5, v1 :: v_dual_mov_b32 v6, v1
	;; [unrolled: 1-line block ×14, first 2 shown]
	v_mov_b32_e32 v31, v1
	v_mov_b32_e32 v33, v1
	s_wait_loadcnt 0x1
	v_cvt_f32_f16_e32 v2, v2
	s_wait_loadcnt 0x0
	v_cvt_f32_f16_e32 v18, v18
.LBB174_92:                             ;   in Loop: Header=BB174_85 Depth=1
	s_wait_alu 0xfffe
	s_or_b32 exec_lo, exec_lo, s2
	v_add_co_u32 v168, vcc_lo, 0xffffff02, v164
	s_wait_alu 0xfffd
	v_add_co_ci_u32_e64 v169, null, -1, v165, vcc_lo
	s_mov_b32 s2, exec_lo
	v_cmpx_gt_i64_e64 s[4:5], v[168:169]
	s_cbranch_execz .LBB174_94
; %bb.93:                               ;   in Loop: Header=BB174_85 Depth=1
	v_add_co_u32 v168, vcc_lo, v159, v94
	s_wait_alu 0xfffd
	v_add_co_ci_u32_e64 v169, null, v160, v95, vcc_lo
	v_add_co_u32 v170, vcc_lo, v161, v94
	s_wait_alu 0xfffd
	v_add_co_ci_u32_e64 v171, null, v162, v95, vcc_lo
	global_load_u16 v3, v[168:169], off
	global_load_u16 v19, v[170:171], off
	s_wait_loadcnt 0x1
	v_cvt_f32_f16_e32 v3, v3
	s_wait_loadcnt 0x0
	v_cvt_f32_f16_e32 v19, v19
.LBB174_94:                             ;   in Loop: Header=BB174_85 Depth=1
	s_wait_alu 0xfffe
	s_or_b32 exec_lo, exec_lo, s2
	v_add_co_u32 v168, vcc_lo, 0xffffff03, v164
	s_wait_alu 0xfffd
	v_add_co_ci_u32_e64 v169, null, -1, v165, vcc_lo
	s_mov_b32 s2, exec_lo
	v_cmpx_gt_i64_e64 s[4:5], v[168:169]
	s_cbranch_execz .LBB174_96
; %bb.95:                               ;   in Loop: Header=BB174_85 Depth=1
	v_add_co_u32 v168, vcc_lo, v154, v94
	s_wait_alu 0xfffd
	v_add_co_ci_u32_e64 v169, null, v155, v95, vcc_lo
	v_add_co_u32 v170, vcc_lo, v156, v94
	s_wait_alu 0xfffd
	v_add_co_ci_u32_e64 v171, null, v157, v95, vcc_lo
	global_load_u16 v4, v[168:169], off
	global_load_u16 v20, v[170:171], off
	s_wait_loadcnt 0x1
	v_cvt_f32_f16_e32 v4, v4
	s_wait_loadcnt 0x0
	v_cvt_f32_f16_e32 v20, v20
.LBB174_96:                             ;   in Loop: Header=BB174_85 Depth=1
	;; [unrolled: 22-line block ×3, first 2 shown]
	s_wait_alu 0xfffe
	s_or_b32 exec_lo, exec_lo, s2
	v_add_co_u32 v168, vcc_lo, 0xffffff05, v164
	s_wait_alu 0xfffd
	v_add_co_ci_u32_e64 v169, null, -1, v165, vcc_lo
	s_mov_b32 s2, exec_lo
	v_cmpx_gt_i64_e64 s[4:5], v[168:169]
	s_cbranch_execz .LBB174_100
; %bb.99:                               ;   in Loop: Header=BB174_85 Depth=1
	v_add_co_u32 v168, vcc_lo, v146, v94
	s_wait_alu 0xfffd
	v_add_co_ci_u32_e64 v169, null, v147, v95, vcc_lo
	v_add_co_u32 v170, vcc_lo, v148, v94
	s_wait_alu 0xfffd
	v_add_co_ci_u32_e64 v171, null, v149, v95, vcc_lo
	global_load_u16 v6, v[168:169], off
	global_load_u16 v22, v[170:171], off
	s_wait_loadcnt 0x1
	v_cvt_f32_f16_e32 v6, v6
	s_wait_loadcnt 0x0
	v_cvt_f32_f16_e32 v22, v22
.LBB174_100:                            ;   in Loop: Header=BB174_85 Depth=1
	s_wait_alu 0xfffe
	s_or_b32 exec_lo, exec_lo, s2
	v_add_co_u32 v168, vcc_lo, 0xffffff06, v164
	s_wait_alu 0xfffd
	v_add_co_ci_u32_e64 v169, null, -1, v165, vcc_lo
	s_mov_b32 s2, exec_lo
	v_cmpx_gt_i64_e64 s[4:5], v[168:169]
	s_cbranch_execz .LBB174_102
; %bb.101:                              ;   in Loop: Header=BB174_85 Depth=1
	v_add_co_u32 v168, vcc_lo, v142, v94
	s_wait_alu 0xfffd
	v_add_co_ci_u32_e64 v169, null, v143, v95, vcc_lo
	v_add_co_u32 v170, vcc_lo, v144, v94
	s_wait_alu 0xfffd
	v_add_co_ci_u32_e64 v171, null, v145, v95, vcc_lo
	global_load_u16 v7, v[168:169], off
	global_load_u16 v23, v[170:171], off
	s_wait_loadcnt 0x1
	v_cvt_f32_f16_e32 v7, v7
	s_wait_loadcnt 0x0
	v_cvt_f32_f16_e32 v23, v23
.LBB174_102:                            ;   in Loop: Header=BB174_85 Depth=1
	s_wait_alu 0xfffe
	s_or_b32 exec_lo, exec_lo, s2
	v_add_co_u32 v168, vcc_lo, 0xffffff07, v164
	s_wait_alu 0xfffd
	v_add_co_ci_u32_e64 v169, null, -1, v165, vcc_lo
	s_mov_b32 s2, exec_lo
	v_cmpx_gt_i64_e64 s[4:5], v[168:169]
	s_cbranch_execz .LBB174_104
; %bb.103:                              ;   in Loop: Header=BB174_85 Depth=1
	v_add_co_u32 v168, vcc_lo, v138, v94
	s_wait_alu 0xfffd
	v_add_co_ci_u32_e64 v169, null, v139, v95, vcc_lo
	v_add_co_u32 v170, vcc_lo, v140, v94
	s_wait_alu 0xfffd
	v_add_co_ci_u32_e64 v171, null, v141, v95, vcc_lo
	global_load_u16 v8, v[168:169], off
	global_load_u16 v24, v[170:171], off
	s_wait_loadcnt 0x1
	v_cvt_f32_f16_e32 v8, v8
	s_wait_loadcnt 0x0
	v_cvt_f32_f16_e32 v24, v24
.LBB174_104:                            ;   in Loop: Header=BB174_85 Depth=1
	;; [unrolled: 22-line block ×11, first 2 shown]
	s_wait_alu 0xfffe
	s_or_b32 exec_lo, exec_lo, s2
	s_wait_loadcnt 0x0
	ds_bpermute_b32 v166, v1, v167
	ds_bpermute_b32 v168, v1, v167 offset:4
	ds_bpermute_b32 v169, v1, v167 offset:8
	v_dual_mul_f32 v2, v18, v2 :: v_dual_mul_f32 v3, v19, v3
	ds_bpermute_b32 v18, v1, v167 offset:12
	ds_bpermute_b32 v19, v1, v167 offset:16
	s_mov_b32 s2, 0
	s_wait_dscnt 0x4
	v_fma_f32 v166, v2, v166, v163
	v_mul_f32_e32 v2, v20, v4
	ds_bpermute_b32 v4, v1, v167 offset:20
	s_wait_dscnt 0x4
	v_dual_fmac_f32 v166, v3, v168 :: v_dual_mul_f32 v3, v21, v5
	ds_bpermute_b32 v5, v1, v167 offset:24
	s_wait_dscnt 0x4
	v_fmac_f32_e32 v166, v2, v169
	v_mul_f32_e32 v2, v22, v6
	ds_bpermute_b32 v6, v1, v167 offset:28
	s_wait_dscnt 0x4
	v_fmac_f32_e32 v166, v3, v18
	v_mul_f32_e32 v3, v23, v7
	;; [unrolled: 4-line block ×3, first 2 shown]
	ds_bpermute_b32 v8, v1, v167 offset:36
	s_wait_dscnt 0x4
	v_dual_fmac_f32 v166, v3, v4 :: v_dual_mul_f32 v3, v25, v9
	ds_bpermute_b32 v4, v1, v167 offset:40
	s_wait_dscnt 0x4
	v_fmac_f32_e32 v166, v2, v5
	v_mul_f32_e32 v2, v26, v10
	ds_bpermute_b32 v5, v1, v167 offset:44
	s_wait_dscnt 0x4
	v_fmac_f32_e32 v166, v3, v6
	v_mul_f32_e32 v3, v27, v11
	;; [unrolled: 4-line block ×3, first 2 shown]
	ds_bpermute_b32 v7, v1, v167 offset:52
	s_wait_dscnt 0x4
	v_dual_fmac_f32 v166, v3, v8 :: v_dual_mul_f32 v3, v29, v13
	ds_bpermute_b32 v8, v1, v167 offset:56
	s_wait_dscnt 0x4
	v_fmac_f32_e32 v166, v2, v4
	v_mul_f32_e32 v2, v30, v14
	v_mul_f32_e32 v4, v31, v15
	s_wait_dscnt 0x3
	s_delay_alu instid0(VALU_DEP_3)
	v_fmac_f32_e32 v166, v3, v5
	ds_bpermute_b32 v3, v1, v167 offset:60
	s_wait_dscnt 0x3
	v_fmac_f32_e32 v166, v2, v6
	v_mul_f32_e32 v2, v32, v16
	s_wait_dscnt 0x2
	s_delay_alu instid0(VALU_DEP_2) | instskip(SKIP_1) | instid1(VALU_DEP_1)
	v_fmac_f32_e32 v166, v4, v7
	s_wait_dscnt 0x1
	v_fmac_f32_e32 v166, v2, v8
	v_mul_f32_e32 v2, v33, v17
	s_wait_dscnt 0x0
	s_delay_alu instid0(VALU_DEP_1)
	v_fmac_f32_e32 v166, v2, v3
.LBB174_123:                            ;   in Loop: Header=BB174_85 Depth=1
	s_wait_alu 0xfffe
	s_and_b32 vcc_lo, exec_lo, s2
	s_wait_alu 0xfffe
	s_cbranch_vccz .LBB174_129
; %bb.124:                              ;   in Loop: Header=BB174_85 Depth=1
	s_load_b32 s2, s[10:11], 0x0
	v_mov_b32_e32 v4, 0
	s_wait_kmcnt 0x0
	s_cmp_lt_u32 ttmp9, s2
	s_cselect_b32 s2, 12, 18
	s_wait_alu 0xfffe
	s_add_nc_u64 s[20:21], s[10:11], s[2:3]
	s_load_u16 s2, s[20:21], 0x0
	s_wait_kmcnt 0x0
	v_mad_u32_u24 v2, v96, s2, v158
	s_mov_b32 s2, exec_lo
	s_delay_alu instid0(VALU_DEP_1) | instskip(NEXT) | instid1(VALU_DEP_1)
	v_and_b32_e32 v2, 31, v2
	v_cmpx_gt_u32_e32 16, v2
	s_cbranch_execz .LBB174_128
; %bb.125:                              ;   in Loop: Header=BB174_85 Depth=1
	v_add_co_u32 v2, vcc_lo, v164, v2
	s_wait_alu 0xfffd
	v_add_co_ci_u32_e64 v3, null, 0, v165, vcc_lo
	v_mov_b32_e32 v4, 0
	s_delay_alu instid0(VALU_DEP_3) | instskip(SKIP_1) | instid1(VALU_DEP_3)
	v_add_co_u32 v2, vcc_lo, 0xffffff01, v2
	s_wait_alu 0xfffd
	v_add_co_ci_u32_e64 v3, null, -1, v3, vcc_lo
	s_mov_b32 s20, exec_lo
	v_cmpx_gt_i64_e64 s[4:5], v[2:3]
	s_cbranch_execz .LBB174_127
; %bb.126:                              ;   in Loop: Header=BB174_85 Depth=1
	v_lshlrev_b64_e32 v[2:3], 2, v[2:3]
	s_delay_alu instid0(VALU_DEP_1) | instskip(SKIP_1) | instid1(VALU_DEP_2)
	v_add_co_u32 v2, vcc_lo, s12, v2
	s_wait_alu 0xfffd
	v_add_co_ci_u32_e64 v3, null, s13, v3, vcc_lo
	global_load_b32 v4, v[2:3], off
.LBB174_127:                            ;   in Loop: Header=BB174_85 Depth=1
	s_wait_alu 0xfffe
	s_or_b32 exec_lo, exec_lo, s20
.LBB174_128:                            ;   in Loop: Header=BB174_85 Depth=1
	s_wait_alu 0xfffe
	s_or_b32 exec_lo, exec_lo, s2
	v_add_co_u32 v2, vcc_lo, v98, v94
	s_wait_alu 0xfffd
	v_add_co_ci_u32_e64 v3, null, v99, v95, vcc_lo
	global_load_u16 v2, v[2:3], off
	s_wait_loadcnt 0x0
	v_cvt_f32_f16_e32 v5, v2
	v_add_co_u32 v2, vcc_lo, v100, v94
	s_wait_alu 0xfffd
	v_add_co_ci_u32_e64 v3, null, v101, v95, vcc_lo
	global_load_u16 v2, v[2:3], off
	s_wait_loadcnt 0x0
	v_cvt_f32_f16_e32 v6, v2
	v_add_co_u32 v2, vcc_lo, v34, v94
	s_wait_alu 0xfffd
	v_add_co_ci_u32_e64 v3, null, v35, v95, vcc_lo
	s_delay_alu instid0(VALU_DEP_3)
	v_mul_f32_e32 v5, v5, v6
	global_load_u16 v2, v[2:3], off
	s_wait_loadcnt 0x0
	v_cvt_f32_f16_e32 v7, v2
	v_add_co_u32 v2, vcc_lo, v64, v94
	s_wait_alu 0xfffd
	v_add_co_ci_u32_e64 v3, null, v65, v95, vcc_lo
	global_load_u16 v2, v[2:3], off
	s_wait_loadcnt 0x0
	v_cvt_f32_f16_e32 v8, v2
	v_add_co_u32 v2, vcc_lo, v36, v94
	s_wait_alu 0xfffd
	v_add_co_ci_u32_e64 v3, null, v37, v95, vcc_lo
	;; [unrolled: 6-line block ×27, first 2 shown]
	global_load_u16 v2, v[2:3], off
	s_wait_loadcnt 0x0
	v_cvt_f32_f16_e64 v164, v2
	v_add_co_u32 v2, vcc_lo, v62, v94
	s_wait_alu 0xfffd
	v_add_co_ci_u32_e64 v3, null, v63, v95, vcc_lo
	global_load_u16 v2, v[2:3], off
	s_wait_loadcnt 0x0
	v_cvt_f32_f16_e64 v165, v2
	v_add_co_u32 v2, vcc_lo, v92, v94
	s_wait_alu 0xfffd
	v_add_co_ci_u32_e64 v3, null, v93, v95, vcc_lo
	global_load_u16 v2, v[2:3], off
	ds_bpermute_b32 v3, v1, v4
	s_wait_dscnt 0x0
	v_fmac_f32_e32 v163, v5, v3
	ds_bpermute_b32 v3, v1, v4 offset:4
	s_wait_loadcnt 0x0
	v_cvt_f32_f16_e32 v2, v2
	s_delay_alu instid0(VALU_DEP_1) | instskip(SKIP_1) | instid1(VALU_DEP_1)
	v_dual_mul_f32 v5, v7, v8 :: v_dual_mul_f32 v2, v165, v2
	s_wait_dscnt 0x0
	v_fmac_f32_e32 v163, v5, v3
	ds_bpermute_b32 v3, v1, v4 offset:8
	v_mul_f32_e32 v5, v9, v10
	s_wait_dscnt 0x0
	s_delay_alu instid0(VALU_DEP_1) | instskip(SKIP_3) | instid1(VALU_DEP_1)
	v_fmac_f32_e32 v163, v5, v3
	ds_bpermute_b32 v3, v1, v4 offset:12
	v_mul_f32_e32 v5, v11, v12
	s_wait_dscnt 0x0
	v_fmac_f32_e32 v163, v5, v3
	ds_bpermute_b32 v3, v1, v4 offset:16
	v_mul_f32_e32 v5, v13, v14
	s_wait_dscnt 0x0
	s_delay_alu instid0(VALU_DEP_1) | instskip(SKIP_3) | instid1(VALU_DEP_1)
	v_fmac_f32_e32 v163, v5, v3
	ds_bpermute_b32 v3, v1, v4 offset:20
	v_mul_f32_e32 v5, v15, v16
	;; [unrolled: 9-line block ×6, first 2 shown]
	s_wait_dscnt 0x0
	v_fmac_f32_e32 v163, v5, v3
	ds_bpermute_b32 v3, v1, v4 offset:56
	v_mul_f32_e32 v5, v33, v164
	s_wait_dscnt 0x0
	s_delay_alu instid0(VALU_DEP_1) | instskip(SKIP_3) | instid1(VALU_DEP_1)
	v_fmac_f32_e32 v163, v5, v3
	ds_bpermute_b32 v3, v1, v4 offset:60
	s_wait_dscnt 0x0
	v_fmac_f32_e32 v163, v2, v3
	v_mov_b32_e32 v166, v163
.LBB174_129:                            ;   in Loop: Header=BB174_85 Depth=1
	v_add_co_u32 v98, vcc_lo, v98, s16
	s_wait_alu 0xfffd
	v_add_co_ci_u32_e64 v99, null, s17, v99, vcc_lo
	v_add_co_u32 v100, vcc_lo, v100, s16
	s_wait_alu 0xfffd
	v_add_co_ci_u32_e64 v101, null, s17, v101, vcc_lo
	;; [unrolled: 3-line block ×59, first 2 shown]
	v_add_co_u32 v156, vcc_lo, v156, s16
	s_add_nc_u64 s[14:15], s[14:15], s[8:9]
	s_wait_alu 0xfffd
	v_add_co_ci_u32_e64 v157, null, s17, v157, vcc_lo
	v_add_co_u32 v159, vcc_lo, v159, s16
	s_wait_alu 0xfffe
	v_cmp_ge_i64_e64 s2, s[14:15], s[4:5]
	s_wait_alu 0xfffd
	v_add_co_ci_u32_e64 v160, null, s17, v160, vcc_lo
	v_add_co_u32 v161, vcc_lo, v161, s16
	s_wait_alu 0xfffd
	v_add_co_ci_u32_e64 v162, null, s17, v162, vcc_lo
	s_and_b32 vcc_lo, exec_lo, s2
	s_add_nc_u64 s[18:19], s[18:19], s[8:9]
	s_wait_alu 0xfffe
	s_cbranch_vccnz .LBB174_131
; %bb.130:                              ;   in Loop: Header=BB174_85 Depth=1
	v_mov_b32_e32 v163, v166
	s_branch .LBB174_85
.LBB174_131:
	v_dual_mov_b32 v4, 0 :: v_dual_and_b32 v5, 0x3ff, v0
	v_bfe_u32 v0, v0, 10, 10
	s_mov_b32 s2, exec_lo
	s_delay_alu instid0(VALU_DEP_1) | instskip(NEXT) | instid1(VALU_DEP_1)
	v_mad_u32_u24 v1, 0x41, v0, v5
	v_lshl_add_u32 v2, v1, 2, 0
	v_sub_nc_u32_e32 v3, v1, v0
	ds_store_b32 v2, v166
	ds_store_b32 v2, v4 offset:4160
	s_wait_dscnt 0x0
	s_barrier_signal -1
	s_barrier_wait -1
	global_inv scope:SCOPE_SE
	v_cmpx_gt_u32_e32 0x800, v3
	s_cbranch_execz .LBB174_141
; %bb.132:
	s_load_b64 s[2:3], s[0:1], 0x30
	v_and_b32_e32 v0, 31, v5
	v_lshrrev_b32_e32 v2, 5, v3
	s_delay_alu instid0(VALU_DEP_2)
	v_cmp_gt_u32_e32 vcc_lo, 16, v0
	v_mul_u32_u24_e32 v4, 0x41, v0
                                        ; implicit-def: $vgpr0
	s_and_saveexec_b32 s0, vcc_lo
	s_cbranch_execz .LBB174_134
; %bb.133:
	v_lshlrev_b32_e32 v0, 2, v2
	s_delay_alu instid0(VALU_DEP_2) | instskip(NEXT) | instid1(VALU_DEP_1)
	v_lshlrev_b32_e32 v1, 2, v4
	v_add3_u32 v0, 0, v0, v1
	ds_load_b32 v0, v0
.LBB174_134:
	s_or_b32 exec_lo, exec_lo, s0
	v_mbcnt_lo_u32_b32 v1, -1, 0
	s_mov_b32 s4, ttmp9
	s_mov_b32 s5, 0
	s_wait_alu 0xfffe
	s_lshl_b64 s[4:5], s[4:5], 6
	v_xor_b32_e32 v6, 8, v1
	v_xor_b32_e32 v7, 4, v1
	;; [unrolled: 1-line block ×3, first 2 shown]
	s_wait_kmcnt 0x0
	s_cmp_eq_u64 s[2:3], 0
	s_cselect_b32 s8, -1, 0
	v_cmp_gt_i32_e64 s0, 32, v6
	s_delay_alu instid0(VALU_DEP_1) | instskip(SKIP_1) | instid1(VALU_DEP_2)
	v_cndmask_b32_e64 v6, v1, v6, s0
	v_cmp_gt_i32_e64 s0, 32, v7
	v_lshlrev_b32_e32 v6, 2, v6
	s_wait_alu 0xf1ff
	s_delay_alu instid0(VALU_DEP_2)
	v_cndmask_b32_e64 v7, v1, v7, s0
	s_wait_dscnt 0x0
	ds_bpermute_b32 v8, v6, v0
	s_wait_dscnt 0x0
	v_dual_add_f32 v0, v0, v8 :: v_dual_lshlrev_b32 v7, 2, v7
	v_xor_b32_e32 v8, 2, v1
	ds_bpermute_b32 v9, v7, v0
	v_cmp_gt_i32_e64 s0, 32, v8
	s_wait_alu 0xf1ff
	s_delay_alu instid0(VALU_DEP_1) | instskip(SKIP_1) | instid1(VALU_DEP_2)
	v_cndmask_b32_e64 v8, v1, v8, s0
	v_cmp_gt_i32_e64 s0, 32, v10
	v_lshlrev_b32_e32 v8, 2, v8
	s_wait_alu 0xf1ff
	s_delay_alu instid0(VALU_DEP_2)
	v_cndmask_b32_e64 v1, v1, v10, s0
	v_cmp_ne_u32_e64 s0, 0, v5
	s_wait_dscnt 0x0
	v_add_f32_e32 v0, v0, v9
	ds_bpermute_b32 v9, v8, v0
	s_wait_dscnt 0x0
	v_add_f32_e32 v10, v0, v9
	v_lshlrev_b32_e32 v9, 2, v1
	s_wait_alu 0xfffe
	v_or_b32_e32 v0, s4, v2
	v_mov_b32_e32 v1, s5
	ds_bpermute_b32 v11, v9, v10
	v_cmp_le_i64_e64 s1, s[6:7], v[0:1]
	s_or_b32 s1, s0, s1
	s_wait_alu 0xfffe
	s_nor_b32 s1, s8, s1
	s_wait_dscnt 0x0
	v_add_f32_e32 v5, v10, v11
	s_wait_alu 0xfffe
	s_and_saveexec_b32 s9, s1
	s_cbranch_execz .LBB174_136
; %bb.135:
	v_lshlrev_b64_e32 v[0:1], 1, v[0:1]
	v_cvt_f16_f32_e32 v10, v5
	s_delay_alu instid0(VALU_DEP_2) | instskip(SKIP_1) | instid1(VALU_DEP_3)
	v_add_co_u32 v0, s1, s2, v0
	s_wait_alu 0xf1ff
	v_add_co_ci_u32_e64 v1, null, s3, v1, s1
	global_store_b16 v[0:1], v10, off
.LBB174_136:
	s_wait_alu 0xfffe
	s_or_b32 exec_lo, exec_lo, s9
	v_cmp_gt_u32_e64 s1, 0x400, v3
	s_and_b32 exec_lo, exec_lo, s1
	s_cbranch_execz .LBB174_141
; %bb.137:
	s_and_saveexec_b32 s1, vcc_lo
	s_cbranch_execz .LBB174_139
; %bb.138:
	v_lshlrev_b32_e32 v0, 2, v2
	v_lshlrev_b32_e32 v1, 2, v4
	s_delay_alu instid0(VALU_DEP_1)
	v_add3_u32 v0, 0, v0, v1
	ds_load_b32 v5, v0 offset:128
.LBB174_139:
	s_wait_alu 0xfffe
	s_or_b32 exec_lo, exec_lo, s1
	s_wait_dscnt 0x0
	ds_bpermute_b32 v0, v6, v5
	v_dual_mov_b32 v4, s5 :: v_dual_add_nc_u32 v3, 32, v2
	s_delay_alu instid0(VALU_DEP_1) | instskip(NEXT) | instid1(VALU_DEP_1)
	v_or_b32_e32 v3, s4, v3
	v_cmp_le_i64_e32 vcc_lo, s[6:7], v[3:4]
	s_or_b32 s0, s0, vcc_lo
	s_wait_dscnt 0x0
	v_add_f32_e32 v0, v5, v0
	s_wait_alu 0xfffe
	s_nor_b32 s0, s8, s0
	ds_bpermute_b32 v1, v7, v0
	s_wait_dscnt 0x0
	v_add_f32_e32 v0, v0, v1
	ds_bpermute_b32 v1, v8, v0
	s_wait_dscnt 0x0
	v_add_f32_e32 v0, v0, v1
	ds_bpermute_b32 v1, v9, v0
	s_wait_alu 0xfffe
	s_and_saveexec_b32 s1, s0
	s_wait_alu 0xfffe
	s_xor_b32 s1, exec_lo, s1
	s_cbranch_execz .LBB174_141
; %bb.140:
	v_add_co_u32 v2, s0, s4, v2
	s_wait_alu 0xf1ff
	v_add_co_ci_u32_e64 v3, null, s5, 0, s0
	s_wait_dscnt 0x0
	v_add_f32_e32 v4, v0, v1
	s_delay_alu instid0(VALU_DEP_2) | instskip(NEXT) | instid1(VALU_DEP_1)
	v_lshlrev_b64_e32 v[2:3], 1, v[2:3]
	v_add_co_u32 v0, vcc_lo, s2, v2
	s_wait_alu 0xfffd
	s_delay_alu instid0(VALU_DEP_2)
	v_add_co_ci_u32_e64 v1, null, s3, v3, vcc_lo
	v_cvt_f16_f32_e32 v2, v4
	global_store_b16 v[0:1], v2, off offset:64
.LBB174_141:
	s_nop 0
	s_sendmsg sendmsg(MSG_DEALLOC_VGPRS)
	s_endpgm
	.section	.rodata,"a",@progbits
	.p2align	6, 0x0
	.amdhsa_kernel _ZN2at6native12_GLOBAL__N_135GammaBetaBackwardCUDAKernelTemplateIN3c104HalfEfLj64ELj16ELj256ELb0ELb0ELb1EEEvllPKT_S7_PKT0_SA_PS5_SB_
		.amdhsa_group_segment_fixed_size 0
		.amdhsa_private_segment_fixed_size 0
		.amdhsa_kernarg_size 320
		.amdhsa_user_sgpr_count 2
		.amdhsa_user_sgpr_dispatch_ptr 0
		.amdhsa_user_sgpr_queue_ptr 0
		.amdhsa_user_sgpr_kernarg_segment_ptr 1
		.amdhsa_user_sgpr_dispatch_id 0
		.amdhsa_user_sgpr_private_segment_size 0
		.amdhsa_wavefront_size32 1
		.amdhsa_uses_dynamic_stack 0
		.amdhsa_enable_private_segment 0
		.amdhsa_system_sgpr_workgroup_id_x 1
		.amdhsa_system_sgpr_workgroup_id_y 1
		.amdhsa_system_sgpr_workgroup_id_z 0
		.amdhsa_system_sgpr_workgroup_info 0
		.amdhsa_system_vgpr_workitem_id 1
		.amdhsa_next_free_vgpr 172
		.amdhsa_next_free_sgpr 32
		.amdhsa_reserve_vcc 1
		.amdhsa_float_round_mode_32 0
		.amdhsa_float_round_mode_16_64 0
		.amdhsa_float_denorm_mode_32 3
		.amdhsa_float_denorm_mode_16_64 3
		.amdhsa_fp16_overflow 0
		.amdhsa_workgroup_processor_mode 1
		.amdhsa_memory_ordered 1
		.amdhsa_forward_progress 1
		.amdhsa_inst_pref_size 138
		.amdhsa_round_robin_scheduling 0
		.amdhsa_exception_fp_ieee_invalid_op 0
		.amdhsa_exception_fp_denorm_src 0
		.amdhsa_exception_fp_ieee_div_zero 0
		.amdhsa_exception_fp_ieee_overflow 0
		.amdhsa_exception_fp_ieee_underflow 0
		.amdhsa_exception_fp_ieee_inexact 0
		.amdhsa_exception_int_div_zero 0
	.end_amdhsa_kernel
	.section	.text._ZN2at6native12_GLOBAL__N_135GammaBetaBackwardCUDAKernelTemplateIN3c104HalfEfLj64ELj16ELj256ELb0ELb0ELb1EEEvllPKT_S7_PKT0_SA_PS5_SB_,"axG",@progbits,_ZN2at6native12_GLOBAL__N_135GammaBetaBackwardCUDAKernelTemplateIN3c104HalfEfLj64ELj16ELj256ELb0ELb0ELb1EEEvllPKT_S7_PKT0_SA_PS5_SB_,comdat
.Lfunc_end174:
	.size	_ZN2at6native12_GLOBAL__N_135GammaBetaBackwardCUDAKernelTemplateIN3c104HalfEfLj64ELj16ELj256ELb0ELb0ELb1EEEvllPKT_S7_PKT0_SA_PS5_SB_, .Lfunc_end174-_ZN2at6native12_GLOBAL__N_135GammaBetaBackwardCUDAKernelTemplateIN3c104HalfEfLj64ELj16ELj256ELb0ELb0ELb1EEEvllPKT_S7_PKT0_SA_PS5_SB_
                                        ; -- End function
	.set _ZN2at6native12_GLOBAL__N_135GammaBetaBackwardCUDAKernelTemplateIN3c104HalfEfLj64ELj16ELj256ELb0ELb0ELb1EEEvllPKT_S7_PKT0_SA_PS5_SB_.num_vgpr, 172
	.set _ZN2at6native12_GLOBAL__N_135GammaBetaBackwardCUDAKernelTemplateIN3c104HalfEfLj64ELj16ELj256ELb0ELb0ELb1EEEvllPKT_S7_PKT0_SA_PS5_SB_.num_agpr, 0
	.set _ZN2at6native12_GLOBAL__N_135GammaBetaBackwardCUDAKernelTemplateIN3c104HalfEfLj64ELj16ELj256ELb0ELb0ELb1EEEvllPKT_S7_PKT0_SA_PS5_SB_.numbered_sgpr, 32
	.set _ZN2at6native12_GLOBAL__N_135GammaBetaBackwardCUDAKernelTemplateIN3c104HalfEfLj64ELj16ELj256ELb0ELb0ELb1EEEvllPKT_S7_PKT0_SA_PS5_SB_.num_named_barrier, 0
	.set _ZN2at6native12_GLOBAL__N_135GammaBetaBackwardCUDAKernelTemplateIN3c104HalfEfLj64ELj16ELj256ELb0ELb0ELb1EEEvllPKT_S7_PKT0_SA_PS5_SB_.private_seg_size, 0
	.set _ZN2at6native12_GLOBAL__N_135GammaBetaBackwardCUDAKernelTemplateIN3c104HalfEfLj64ELj16ELj256ELb0ELb0ELb1EEEvllPKT_S7_PKT0_SA_PS5_SB_.uses_vcc, 1
	.set _ZN2at6native12_GLOBAL__N_135GammaBetaBackwardCUDAKernelTemplateIN3c104HalfEfLj64ELj16ELj256ELb0ELb0ELb1EEEvllPKT_S7_PKT0_SA_PS5_SB_.uses_flat_scratch, 0
	.set _ZN2at6native12_GLOBAL__N_135GammaBetaBackwardCUDAKernelTemplateIN3c104HalfEfLj64ELj16ELj256ELb0ELb0ELb1EEEvllPKT_S7_PKT0_SA_PS5_SB_.has_dyn_sized_stack, 0
	.set _ZN2at6native12_GLOBAL__N_135GammaBetaBackwardCUDAKernelTemplateIN3c104HalfEfLj64ELj16ELj256ELb0ELb0ELb1EEEvllPKT_S7_PKT0_SA_PS5_SB_.has_recursion, 0
	.set _ZN2at6native12_GLOBAL__N_135GammaBetaBackwardCUDAKernelTemplateIN3c104HalfEfLj64ELj16ELj256ELb0ELb0ELb1EEEvllPKT_S7_PKT0_SA_PS5_SB_.has_indirect_call, 0
	.section	.AMDGPU.csdata,"",@progbits
; Kernel info:
; codeLenInByte = 17628
; TotalNumSgprs: 34
; NumVgprs: 172
; ScratchSize: 0
; MemoryBound: 0
; FloatMode: 240
; IeeeMode: 1
; LDSByteSize: 0 bytes/workgroup (compile time only)
; SGPRBlocks: 0
; VGPRBlocks: 21
; NumSGPRsForWavesPerEU: 34
; NumVGPRsForWavesPerEU: 172
; Occupancy: 8
; WaveLimiterHint : 0
; COMPUTE_PGM_RSRC2:SCRATCH_EN: 0
; COMPUTE_PGM_RSRC2:USER_SGPR: 2
; COMPUTE_PGM_RSRC2:TRAP_HANDLER: 0
; COMPUTE_PGM_RSRC2:TGID_X_EN: 1
; COMPUTE_PGM_RSRC2:TGID_Y_EN: 1
; COMPUTE_PGM_RSRC2:TGID_Z_EN: 0
; COMPUTE_PGM_RSRC2:TIDIG_COMP_CNT: 1
	.section	.text._ZN2at6native12_GLOBAL__N_135GammaBetaBackwardCUDAKernelTemplateIN3c104HalfEfLj32ELj1ELj32ELb1ELb1ELb1EEEvllPKT_S7_PKT0_SA_PS5_SB_,"axG",@progbits,_ZN2at6native12_GLOBAL__N_135GammaBetaBackwardCUDAKernelTemplateIN3c104HalfEfLj32ELj1ELj32ELb1ELb1ELb1EEEvllPKT_S7_PKT0_SA_PS5_SB_,comdat
	.globl	_ZN2at6native12_GLOBAL__N_135GammaBetaBackwardCUDAKernelTemplateIN3c104HalfEfLj32ELj1ELj32ELb1ELb1ELb1EEEvllPKT_S7_PKT0_SA_PS5_SB_ ; -- Begin function _ZN2at6native12_GLOBAL__N_135GammaBetaBackwardCUDAKernelTemplateIN3c104HalfEfLj32ELj1ELj32ELb1ELb1ELb1EEEvllPKT_S7_PKT0_SA_PS5_SB_
	.p2align	8
	.type	_ZN2at6native12_GLOBAL__N_135GammaBetaBackwardCUDAKernelTemplateIN3c104HalfEfLj32ELj1ELj32ELb1ELb1ELb1EEEvllPKT_S7_PKT0_SA_PS5_SB_,@function
_ZN2at6native12_GLOBAL__N_135GammaBetaBackwardCUDAKernelTemplateIN3c104HalfEfLj32ELj1ELj32ELb1ELb1ELb1EEEvllPKT_S7_PKT0_SA_PS5_SB_: ; @_ZN2at6native12_GLOBAL__N_135GammaBetaBackwardCUDAKernelTemplateIN3c104HalfEfLj32ELj1ELj32ELb1ELb1ELb1EEEvllPKT_S7_PKT0_SA_PS5_SB_
; %bb.0:
	s_clause 0x1
	s_load_b128 s[4:7], s[0:1], 0x0
	s_load_b64 s[2:3], s[0:1], 0x30
	s_lshl_b32 s12, ttmp7, 5
	s_mov_b32 s13, 0
	v_mov_b32_e32 v3, 0
	v_bfe_u32 v1, v0, 10, 10
	v_and_b32_e32 v0, 0x3ff, v0
	s_wait_kmcnt 0x0
	v_cmp_le_i64_e64 s8, s[4:5], s[12:13]
	s_and_b32 vcc_lo, exec_lo, s8
	s_cbranch_vccnz .LBB175_6
; %bb.1:
	s_clause 0x3
	s_load_b32 s14, s[0:1], 0x4c
	s_load_b32 s15, s[0:1], 0x44
	s_load_b128 s[8:11], s[0:1], 0x10
	s_load_b64 s[16:17], s[0:1], 0x28
	v_dual_mov_b32 v3, 0 :: v_dual_lshlrev_b32 v4, 5, v1
	v_lshl_or_b32 v2, ttmp9, 5, v0
	v_dual_mov_b32 v8, 4 :: v_dual_mov_b32 v9, 8
	v_dual_mov_b32 v10, 12 :: v_dual_mov_b32 v11, 16
	;; [unrolled: 1-line block ×7, first 2 shown]
	s_wait_kmcnt 0x0
	s_and_b32 s14, s14, 0xffff
	v_dual_mov_b32 v22, 60 :: v_dual_mov_b32 v23, 64
	v_mad_u32_u24 v5, v1, s14, v0
	v_add_co_u32 v39, s14, v4, s12
	s_wait_alu 0xf1ff
	v_add_co_ci_u32_e64 v40, null, 0, 0, s14
	s_delay_alu instid0(VALU_DEP_3) | instskip(NEXT) | instid1(VALU_DEP_3)
	v_dual_mov_b32 v25, 0x48 :: v_dual_and_b32 v38, 31, v5
	v_mul_lo_u32 v6, s7, v39
	s_delay_alu instid0(VALU_DEP_3)
	v_mul_lo_u32 v7, s6, v40
	v_mad_co_u64_u32 v[4:5], null, s6, v39, 0
	s_lshl_b32 s14, s15, 5
	s_mov_b32 s15, s13
	v_mov_b32_e32 v24, 0x44
	v_mov_b32_e32 v26, 0x4c
	;; [unrolled: 1-line block ×4, first 2 shown]
	v_add3_u32 v5, v5, v7, v6
	v_mov_b32_e32 v29, 0x58
	v_mov_b32_e32 v30, 0x5c
	v_mov_b32_e32 v31, 0x60
	v_mov_b32_e32 v32, 0x64
	v_lshlrev_b64_e32 v[6:7], 1, v[4:5]
	v_add_co_u32 v4, vcc_lo, v39, v38
	s_delay_alu instid0(VALU_DEP_1) | instskip(SKIP_3) | instid1(VALU_DEP_4)
	v_add_co_ci_u32_e64 v5, null, 0, v40, vcc_lo
	v_lshlrev_b64_e32 v[38:39], 1, v[2:3]
	v_mov_b32_e32 v33, 0x68
	v_mov_b32_e32 v34, 0x6c
	v_lshlrev_b64_e32 v[40:41], 2, v[4:5]
	v_mov_b32_e32 v35, 0x70
	v_mov_b32_e32 v36, 0x74
	v_add_co_u32 v38, vcc_lo, v6, v38
	s_wait_alu 0xfffd
	v_add_co_ci_u32_e64 v39, null, v7, v39, vcc_lo
	v_add_co_u32 v6, vcc_lo, s16, v40
	v_mov_b32_e32 v37, 0x78
	v_mov_b32_e32 v2, 0x7c
	s_wait_alu 0xfffd
	v_add_co_ci_u32_e64 v7, null, s17, v41, vcc_lo
	v_mov_b32_e32 v40, 0
	s_wait_alu 0xfffe
	s_mul_u64 s[18:19], s[6:7], s[14:15]
	s_lshl_b64 s[20:21], s[6:7], 1
	s_lshl_b64 s[16:17], s[18:19], 1
	;; [unrolled: 1-line block ×3, first 2 shown]
	s_branch .LBB175_3
.LBB175_2:                              ;   in Loop: Header=BB175_3 Depth=1
	s_or_b32 exec_lo, exec_lo, s22
	v_add_co_u32 v42, vcc_lo, s8, v38
	s_wait_alu 0xfffd
	v_add_co_ci_u32_e64 v43, null, s9, v39, vcc_lo
	v_add_co_u32 v44, vcc_lo, s10, v38
	s_wait_alu 0xfffd
	v_add_co_ci_u32_e64 v45, null, s11, v39, vcc_lo
	global_load_u16 v52, v[42:43], off
	global_load_u16 v53, v[44:45], off
	v_add_co_u32 v42, vcc_lo, v42, s20
	s_wait_alu 0xfffd
	v_add_co_ci_u32_e64 v43, null, s21, v43, vcc_lo
	v_add_co_u32 v44, vcc_lo, v44, s20
	s_wait_alu 0xfffd
	v_add_co_ci_u32_e64 v45, null, s21, v45, vcc_lo
	global_load_u16 v54, v[42:43], off
	global_load_u16 v55, v[44:45], off
	;; [unrolled: 8-line block ×4, first 2 shown]
	v_add_co_u32 v42, vcc_lo, v42, s20
	s_wait_alu 0xfffd
	v_add_co_ci_u32_e64 v43, null, s21, v43, vcc_lo
	v_add_co_u32 v44, vcc_lo, v44, s20
	s_wait_alu 0xfffd
	v_add_co_ci_u32_e64 v45, null, s21, v45, vcc_lo
	global_load_u16 v60, v[42:43], off
	v_add_co_u32 v42, vcc_lo, v42, s20
	s_wait_alu 0xfffd
	v_add_co_ci_u32_e64 v43, null, s21, v43, vcc_lo
	v_add_co_u32 v46, vcc_lo, v44, s20
	s_wait_alu 0xfffd
	v_add_co_ci_u32_e64 v47, null, s21, v45, vcc_lo
	v_add_co_u32 v48, vcc_lo, v42, s20
	s_wait_alu 0xfffd
	v_add_co_ci_u32_e64 v49, null, s21, v43, vcc_lo
	v_add_co_u32 v50, vcc_lo, v46, s20
	s_wait_alu 0xfffd
	v_add_co_ci_u32_e64 v51, null, s21, v47, vcc_lo
	global_load_u16 v61, v[44:45], off
	global_load_u16 v62, v[42:43], off
	global_load_u16 v63, v[46:47], off
	global_load_u16 v64, v[48:49], off
	global_load_u16 v65, v[50:51], off
	v_add_co_u32 v42, vcc_lo, v48, s20
	s_wait_alu 0xfffd
	v_add_co_ci_u32_e64 v43, null, s21, v49, vcc_lo
	v_add_co_u32 v44, vcc_lo, v50, s20
	s_wait_alu 0xfffd
	v_add_co_ci_u32_e64 v45, null, s21, v51, vcc_lo
	global_load_u16 v66, v[42:43], off
	v_add_co_u32 v42, vcc_lo, v42, s20
	s_wait_alu 0xfffd
	v_add_co_ci_u32_e64 v43, null, s21, v43, vcc_lo
	v_add_co_u32 v46, vcc_lo, v44, s20
	s_wait_alu 0xfffd
	v_add_co_ci_u32_e64 v47, null, s21, v45, vcc_lo
	v_add_co_u32 v48, vcc_lo, v42, s20
	s_wait_alu 0xfffd
	v_add_co_ci_u32_e64 v49, null, s21, v43, vcc_lo
	v_add_co_u32 v50, vcc_lo, v46, s20
	s_wait_alu 0xfffd
	v_add_co_ci_u32_e64 v51, null, s21, v47, vcc_lo
	global_load_u16 v67, v[44:45], off
	global_load_u16 v68, v[42:43], off
	global_load_u16 v69, v[46:47], off
	global_load_u16 v70, v[48:49], off
	global_load_u16 v71, v[50:51], off
	;; [unrolled: 24-line block ×6, first 2 shown]
	v_add_co_u32 v42, vcc_lo, v48, s20
	s_wait_alu 0xfffd
	v_add_co_ci_u32_e64 v43, null, s21, v49, vcc_lo
	v_add_co_u32 v44, vcc_lo, v50, s20
	s_wait_alu 0xfffd
	v_add_co_ci_u32_e64 v45, null, s21, v51, vcc_lo
	global_load_u16 v48, v[42:43], off
	v_add_co_u32 v42, vcc_lo, v42, s20
	s_wait_alu 0xfffd
	v_add_co_ci_u32_e64 v43, null, s21, v43, vcc_lo
	v_add_co_u32 v46, vcc_lo, v44, s20
	s_wait_alu 0xfffd
	v_add_co_ci_u32_e64 v47, null, s21, v45, vcc_lo
	global_load_u16 v49, v[44:45], off
	v_add_co_u32 v44, vcc_lo, v42, s20
	s_wait_alu 0xfffd
	v_add_co_ci_u32_e64 v45, null, s21, v43, vcc_lo
	global_load_u16 v50, v[42:43], off
	global_load_u16 v51, v[46:47], off
	s_add_nc_u64 s[12:13], s[12:13], s[14:15]
	s_wait_alu 0xfffe
	v_cmp_lt_i64_e64 s22, s[12:13], s[4:5]
	s_wait_loadcnt 0x2f
	v_cvt_f32_f16_e32 v42, v52
	s_wait_loadcnt 0x2e
	v_cvt_f32_f16_e32 v43, v53
	global_load_u16 v52, v[44:45], off
	v_mul_f32_e32 v42, v42, v43
	ds_bpermute_b32 v43, v3, v41
	s_wait_dscnt 0x0
	v_fmac_f32_e32 v40, v42, v43
	v_add_co_u32 v42, vcc_lo, v46, s20
	s_wait_alu 0xfffd
	v_add_co_ci_u32_e64 v43, null, s21, v47, vcc_lo
	v_add_co_u32 v46, vcc_lo, v44, s20
	s_wait_alu 0xfffd
	v_add_co_ci_u32_e64 v47, null, s21, v45, vcc_lo
	s_wait_loadcnt 0x2e
	v_cvt_f32_f16_e32 v44, v54
	s_wait_loadcnt 0x2d
	v_cvt_f32_f16_e32 v45, v55
	global_load_u16 v53, v[42:43], off
	global_load_u16 v54, v[46:47], off
	v_mul_f32_e32 v44, v44, v45
	ds_bpermute_b32 v45, v8, v41
	s_wait_dscnt 0x0
	v_fmac_f32_e32 v40, v44, v45
	v_add_co_u32 v44, vcc_lo, v42, s20
	s_wait_alu 0xfffd
	v_add_co_ci_u32_e64 v45, null, s21, v43, vcc_lo
	v_add_co_u32 v42, vcc_lo, v46, s20
	s_wait_alu 0xfffd
	v_add_co_ci_u32_e64 v43, null, s21, v47, vcc_lo
	s_wait_loadcnt 0x2e
	v_cvt_f32_f16_e32 v46, v56
	s_wait_loadcnt 0x2d
	v_cvt_f32_f16_e32 v47, v57
	global_load_u16 v55, v[44:45], off
	;; [unrolled: 16-line block ×5, first 2 shown]
	global_load_u16 v62, v[42:43], off
	v_mul_f32_e32 v46, v46, v47
	ds_bpermute_b32 v47, v12, v41
	s_wait_loadcnt 0xe
	v_cvt_f32_f16_e32 v48, v48
	s_wait_dscnt 0x0
	v_fmac_f32_e32 v40, v46, v47
	v_add_co_u32 v46, vcc_lo, v44, s20
	s_wait_alu 0xfffd
	v_add_co_ci_u32_e64 v47, null, s21, v45, vcc_lo
	v_add_co_u32 v44, vcc_lo, v42, s20
	s_wait_alu 0xfffd
	v_add_co_ci_u32_e64 v45, null, s21, v43, vcc_lo
	v_cvt_f32_f16_e32 v42, v64
	v_cvt_f32_f16_e32 v43, v65
	global_load_u16 v63, v[46:47], off
	global_load_u16 v64, v[44:45], off
	v_cvt_f32_f16_e32 v65, v69
	v_cvt_f32_f16_e32 v69, v72
	v_mul_f32_e32 v42, v42, v43
	ds_bpermute_b32 v43, v13, v41
	s_wait_loadcnt 0xe
	v_cvt_f32_f16_e32 v50, v50
	s_wait_dscnt 0x0
	v_fmac_f32_e32 v40, v42, v43
	v_add_co_u32 v42, vcc_lo, v46, s20
	s_wait_alu 0xfffd
	v_add_co_ci_u32_e64 v43, null, s21, v47, vcc_lo
	v_add_co_u32 v46, vcc_lo, v44, s20
	s_wait_alu 0xfffd
	v_add_co_ci_u32_e64 v47, null, s21, v45, vcc_lo
	;; [unrolled: 3-line block ×3, first 2 shown]
	global_load_u16 v42, v[42:43], off
	global_load_u16 v43, v[46:47], off
	;; [unrolled: 1-line block ×3, first 2 shown]
	ds_bpermute_b32 v45, v14, v41
	v_cvt_f32_f16_e32 v46, v66
	v_cvt_f32_f16_e32 v47, v67
	ds_bpermute_b32 v66, v17, v41
	v_cvt_f32_f16_e32 v67, v70
	v_add_co_u32 v38, vcc_lo, v38, s16
	v_mul_f32_e32 v46, v46, v47
	ds_bpermute_b32 v47, v15, v41
	s_wait_alu 0xfffd
	v_add_co_ci_u32_e64 v39, null, s17, v39, vcc_lo
	v_add_co_u32 v6, vcc_lo, v6, s18
	s_wait_alu 0xfffd
	v_add_co_ci_u32_e64 v7, null, s19, v7, vcc_lo
	v_add_co_u32 v4, vcc_lo, v4, s14
	s_wait_alu 0xfffd
	v_add_co_ci_u32_e64 v5, null, 0, v5, vcc_lo
	s_and_b32 vcc_lo, exec_lo, s22
	s_wait_dscnt 0x2
	v_fmac_f32_e32 v40, v46, v45
	ds_bpermute_b32 v45, v16, v41
	v_cvt_f32_f16_e32 v46, v68
	ds_bpermute_b32 v68, v18, v41
	v_mul_f32_e32 v46, v46, v65
	v_cvt_f32_f16_e32 v65, v71
	s_wait_dscnt 0x2
	s_delay_alu instid0(VALU_DEP_2) | instskip(NEXT) | instid1(VALU_DEP_2)
	v_fmac_f32_e32 v40, v46, v47
	v_mul_f32_e32 v46, v67, v65
	v_cvt_f32_f16_e32 v47, v73
	ds_bpermute_b32 v65, v19, v41
	v_cvt_f32_f16_e32 v67, v74
	s_wait_dscnt 0x2
	v_dual_fmac_f32 v40, v46, v45 :: v_dual_mul_f32 v45, v69, v47
	v_cvt_f32_f16_e32 v46, v75
	ds_bpermute_b32 v47, v20, v41
	v_cvt_f32_f16_e32 v69, v76
	v_fmac_f32_e32 v40, v45, v66
	v_mul_f32_e32 v45, v67, v46
	v_cvt_f32_f16_e32 v46, v77
	ds_bpermute_b32 v66, v21, v41
	v_cvt_f32_f16_e32 v67, v78
	s_wait_dscnt 0x3
	v_fmac_f32_e32 v40, v45, v68
	v_mul_f32_e32 v45, v69, v46
	v_cvt_f32_f16_e32 v46, v79
	ds_bpermute_b32 v68, v22, v41
	v_cvt_f32_f16_e32 v69, v80
	s_wait_dscnt 0x3
	v_dual_fmac_f32 v40, v45, v65 :: v_dual_mul_f32 v45, v67, v46
	v_cvt_f32_f16_e32 v46, v81
	ds_bpermute_b32 v65, v23, v41
	v_cvt_f32_f16_e32 v67, v82
	s_wait_dscnt 0x3
	v_fmac_f32_e32 v40, v45, v47
	v_mul_f32_e32 v45, v69, v46
	v_cvt_f32_f16_e32 v46, v83
	ds_bpermute_b32 v47, v24, v41
	v_cvt_f32_f16_e32 v69, v84
	s_wait_dscnt 0x3
	v_fmac_f32_e32 v40, v45, v66
	v_mul_f32_e32 v45, v67, v46
	v_cvt_f32_f16_e32 v46, v85
	ds_bpermute_b32 v66, v25, v41
	v_cvt_f32_f16_e32 v67, v86
	s_wait_dscnt 0x3
	v_fmac_f32_e32 v40, v45, v68
	v_mul_f32_e32 v45, v69, v46
	v_cvt_f32_f16_e32 v46, v87
	ds_bpermute_b32 v68, v26, v41
	v_cvt_f32_f16_e32 v69, v88
	s_wait_dscnt 0x3
	v_dual_fmac_f32 v40, v45, v65 :: v_dual_mul_f32 v45, v67, v46
	v_cvt_f32_f16_e32 v46, v89
	ds_bpermute_b32 v65, v27, v41
	v_cvt_f32_f16_e32 v67, v90
	s_wait_dscnt 0x3
	v_fmac_f32_e32 v40, v45, v47
	v_mul_f32_e32 v45, v69, v46
	v_cvt_f32_f16_e32 v46, v91
	ds_bpermute_b32 v47, v28, v41
	v_cvt_f32_f16_e32 v69, v92
	s_wait_dscnt 0x3
	v_fmac_f32_e32 v40, v45, v66
	v_mul_f32_e32 v45, v67, v46
	v_cvt_f32_f16_e32 v46, v93
	ds_bpermute_b32 v66, v29, v41
	v_cvt_f32_f16_e32 v67, v94
	s_wait_dscnt 0x3
	v_fmac_f32_e32 v40, v45, v68
	v_mul_f32_e32 v45, v69, v46
	v_cvt_f32_f16_e32 v46, v95
	ds_bpermute_b32 v68, v30, v41
	s_wait_dscnt 0x3
	v_dual_fmac_f32 v40, v45, v65 :: v_dual_mul_f32 v45, v67, v46
	v_cvt_f32_f16_e32 v46, v49
	ds_bpermute_b32 v49, v31, v41
	s_wait_dscnt 0x3
	v_dual_fmac_f32 v40, v45, v47 :: v_dual_mul_f32 v45, v48, v46
	s_wait_loadcnt 0x10
	v_cvt_f32_f16_e32 v46, v51
	ds_bpermute_b32 v47, v32, v41
	s_wait_loadcnt 0xf
	v_cvt_f32_f16_e32 v48, v52
	s_wait_loadcnt 0xd
	v_cvt_f32_f16_e32 v51, v54
	s_wait_dscnt 0x3
	v_fmac_f32_e32 v40, v45, v66
	v_mul_f32_e32 v45, v50, v46
	v_cvt_f32_f16_e32 v46, v53
	ds_bpermute_b32 v50, v33, v41
	s_wait_dscnt 0x3
	v_dual_fmac_f32 v40, v45, v68 :: v_dual_mul_f32 v45, v48, v46
	ds_bpermute_b32 v48, v34, v41
	s_wait_dscnt 0x3
	v_fmac_f32_e32 v40, v45, v49
	ds_bpermute_b32 v49, v35, v41
	s_wait_loadcnt 0xc
	v_cvt_f32_f16_e32 v46, v55
	s_wait_loadcnt 0xb
	v_cvt_f32_f16_e32 v52, v56
	s_delay_alu instid0(VALU_DEP_2) | instskip(SKIP_1) | instid1(VALU_DEP_1)
	v_mul_f32_e32 v45, v51, v46
	s_wait_dscnt 0x3
	v_fmac_f32_e32 v40, v45, v47
	ds_bpermute_b32 v47, v36, v41
	s_wait_loadcnt 0xa
	v_cvt_f32_f16_e32 v46, v57
	s_wait_loadcnt 0x9
	v_cvt_f32_f16_e32 v51, v58
	s_delay_alu instid0(VALU_DEP_2) | instskip(SKIP_1) | instid1(VALU_DEP_1)
	v_mul_f32_e32 v45, v52, v46
	s_wait_dscnt 0x3
	v_fmac_f32_e32 v40, v45, v50
	ds_bpermute_b32 v50, v37, v41
	ds_bpermute_b32 v41, v2, v41
	s_wait_loadcnt 0x8
	v_cvt_f32_f16_e32 v46, v59
	s_wait_loadcnt 0x7
	v_cvt_f32_f16_e32 v52, v60
	s_delay_alu instid0(VALU_DEP_2) | instskip(SKIP_1) | instid1(VALU_DEP_1)
	v_mul_f32_e32 v45, v51, v46
	s_wait_dscnt 0x4
	v_fmac_f32_e32 v40, v45, v48
	s_wait_loadcnt 0x6
	v_cvt_f32_f16_e32 v46, v61
	s_wait_loadcnt 0x5
	v_cvt_f32_f16_e32 v51, v62
	s_delay_alu instid0(VALU_DEP_2) | instskip(SKIP_1) | instid1(VALU_DEP_1)
	v_mul_f32_e32 v45, v52, v46
	s_wait_dscnt 0x3
	v_fmac_f32_e32 v40, v45, v49
	;; [unrolled: 8-line block ×3, first 2 shown]
	s_wait_loadcnt 0x2
	v_cvt_f32_f16_e32 v42, v42
	s_wait_loadcnt 0x1
	v_cvt_f32_f16_e32 v43, v43
	;; [unrolled: 2-line block ×3, first 2 shown]
	v_mul_f32_e32 v42, v48, v42
	s_wait_dscnt 0x1
	s_delay_alu instid0(VALU_DEP_1) | instskip(NEXT) | instid1(VALU_DEP_3)
	v_fmac_f32_e32 v40, v42, v50
	v_mul_f32_e32 v42, v43, v44
	s_wait_dscnt 0x0
	s_delay_alu instid0(VALU_DEP_1)
	v_fmac_f32_e32 v40, v42, v41
	s_wait_alu 0xfffe
	s_cbranch_vccz .LBB175_5
.LBB175_3:                              ; =>This Inner Loop Header: Depth=1
	v_mov_b32_e32 v41, 0
	s_mov_b32 s22, exec_lo
	v_cmpx_gt_i64_e64 s[4:5], v[4:5]
	s_cbranch_execz .LBB175_2
; %bb.4:                                ;   in Loop: Header=BB175_3 Depth=1
	global_load_b32 v41, v[6:7], off
	s_branch .LBB175_2
.LBB175_5:
	s_delay_alu instid0(VALU_DEP_1)
	v_cvt_f16_f32_e32 v3, v40
.LBB175_6:
	s_cmp_eq_u64 s[2:3], 0
	s_cbranch_scc1 .LBB175_8
; %bb.7:
	s_load_u16 s0, s[0:1], 0x4e
	v_mov_b32_e32 v2, 0
	s_mov_b32 s4, ttmp9
	s_mov_b32 s5, 0
	v_lshlrev_b32_e32 v0, 1, v0
	s_wait_kmcnt 0x0
	v_mad_co_u64_u32 v[1:2], null, s0, ttmp7, v[1:2]
	s_wait_alu 0xfffe
	s_lshl_b64 s[0:1], s[4:5], 6
	s_delay_alu instid0(VALU_DEP_1) | instskip(NEXT) | instid1(VALU_DEP_2)
	v_mul_lo_u32 v4, v2, s6
	v_mul_lo_u32 v5, v1, s7
	v_mad_co_u64_u32 v[1:2], null, v1, s6, 0
	s_delay_alu instid0(VALU_DEP_1) | instskip(NEXT) | instid1(VALU_DEP_1)
	v_add3_u32 v2, v2, v5, v4
	v_lshlrev_b64_e32 v[1:2], 1, v[1:2]
	s_delay_alu instid0(VALU_DEP_1) | instskip(SKIP_1) | instid1(VALU_DEP_2)
	v_add_co_u32 v1, vcc_lo, s2, v1
	s_wait_alu 0xfffd
	v_add_co_ci_u32_e64 v2, null, s3, v2, vcc_lo
	s_wait_alu 0xfffe
	s_delay_alu instid0(VALU_DEP_2) | instskip(SKIP_1) | instid1(VALU_DEP_2)
	v_add_co_u32 v1, vcc_lo, v1, s0
	s_wait_alu 0xfffd
	v_add_co_ci_u32_e64 v2, null, s1, v2, vcc_lo
	s_delay_alu instid0(VALU_DEP_2) | instskip(SKIP_1) | instid1(VALU_DEP_2)
	v_add_co_u32 v0, vcc_lo, v1, v0
	s_wait_alu 0xfffd
	v_add_co_ci_u32_e64 v1, null, 0, v2, vcc_lo
	global_store_b16 v[0:1], v3, off
.LBB175_8:
	s_endpgm
	.section	.rodata,"a",@progbits
	.p2align	6, 0x0
	.amdhsa_kernel _ZN2at6native12_GLOBAL__N_135GammaBetaBackwardCUDAKernelTemplateIN3c104HalfEfLj32ELj1ELj32ELb1ELb1ELb1EEEvllPKT_S7_PKT0_SA_PS5_SB_
		.amdhsa_group_segment_fixed_size 0
		.amdhsa_private_segment_fixed_size 0
		.amdhsa_kernarg_size 320
		.amdhsa_user_sgpr_count 2
		.amdhsa_user_sgpr_dispatch_ptr 0
		.amdhsa_user_sgpr_queue_ptr 0
		.amdhsa_user_sgpr_kernarg_segment_ptr 1
		.amdhsa_user_sgpr_dispatch_id 0
		.amdhsa_user_sgpr_private_segment_size 0
		.amdhsa_wavefront_size32 1
		.amdhsa_uses_dynamic_stack 0
		.amdhsa_enable_private_segment 0
		.amdhsa_system_sgpr_workgroup_id_x 1
		.amdhsa_system_sgpr_workgroup_id_y 1
		.amdhsa_system_sgpr_workgroup_id_z 0
		.amdhsa_system_sgpr_workgroup_info 0
		.amdhsa_system_vgpr_workitem_id 1
		.amdhsa_next_free_vgpr 96
		.amdhsa_next_free_sgpr 23
		.amdhsa_reserve_vcc 1
		.amdhsa_float_round_mode_32 0
		.amdhsa_float_round_mode_16_64 0
		.amdhsa_float_denorm_mode_32 3
		.amdhsa_float_denorm_mode_16_64 3
		.amdhsa_fp16_overflow 0
		.amdhsa_workgroup_processor_mode 1
		.amdhsa_memory_ordered 1
		.amdhsa_forward_progress 1
		.amdhsa_inst_pref_size 31
		.amdhsa_round_robin_scheduling 0
		.amdhsa_exception_fp_ieee_invalid_op 0
		.amdhsa_exception_fp_denorm_src 0
		.amdhsa_exception_fp_ieee_div_zero 0
		.amdhsa_exception_fp_ieee_overflow 0
		.amdhsa_exception_fp_ieee_underflow 0
		.amdhsa_exception_fp_ieee_inexact 0
		.amdhsa_exception_int_div_zero 0
	.end_amdhsa_kernel
	.section	.text._ZN2at6native12_GLOBAL__N_135GammaBetaBackwardCUDAKernelTemplateIN3c104HalfEfLj32ELj1ELj32ELb1ELb1ELb1EEEvllPKT_S7_PKT0_SA_PS5_SB_,"axG",@progbits,_ZN2at6native12_GLOBAL__N_135GammaBetaBackwardCUDAKernelTemplateIN3c104HalfEfLj32ELj1ELj32ELb1ELb1ELb1EEEvllPKT_S7_PKT0_SA_PS5_SB_,comdat
.Lfunc_end175:
	.size	_ZN2at6native12_GLOBAL__N_135GammaBetaBackwardCUDAKernelTemplateIN3c104HalfEfLj32ELj1ELj32ELb1ELb1ELb1EEEvllPKT_S7_PKT0_SA_PS5_SB_, .Lfunc_end175-_ZN2at6native12_GLOBAL__N_135GammaBetaBackwardCUDAKernelTemplateIN3c104HalfEfLj32ELj1ELj32ELb1ELb1ELb1EEEvllPKT_S7_PKT0_SA_PS5_SB_
                                        ; -- End function
	.set _ZN2at6native12_GLOBAL__N_135GammaBetaBackwardCUDAKernelTemplateIN3c104HalfEfLj32ELj1ELj32ELb1ELb1ELb1EEEvllPKT_S7_PKT0_SA_PS5_SB_.num_vgpr, 96
	.set _ZN2at6native12_GLOBAL__N_135GammaBetaBackwardCUDAKernelTemplateIN3c104HalfEfLj32ELj1ELj32ELb1ELb1ELb1EEEvllPKT_S7_PKT0_SA_PS5_SB_.num_agpr, 0
	.set _ZN2at6native12_GLOBAL__N_135GammaBetaBackwardCUDAKernelTemplateIN3c104HalfEfLj32ELj1ELj32ELb1ELb1ELb1EEEvllPKT_S7_PKT0_SA_PS5_SB_.numbered_sgpr, 23
	.set _ZN2at6native12_GLOBAL__N_135GammaBetaBackwardCUDAKernelTemplateIN3c104HalfEfLj32ELj1ELj32ELb1ELb1ELb1EEEvllPKT_S7_PKT0_SA_PS5_SB_.num_named_barrier, 0
	.set _ZN2at6native12_GLOBAL__N_135GammaBetaBackwardCUDAKernelTemplateIN3c104HalfEfLj32ELj1ELj32ELb1ELb1ELb1EEEvllPKT_S7_PKT0_SA_PS5_SB_.private_seg_size, 0
	.set _ZN2at6native12_GLOBAL__N_135GammaBetaBackwardCUDAKernelTemplateIN3c104HalfEfLj32ELj1ELj32ELb1ELb1ELb1EEEvllPKT_S7_PKT0_SA_PS5_SB_.uses_vcc, 1
	.set _ZN2at6native12_GLOBAL__N_135GammaBetaBackwardCUDAKernelTemplateIN3c104HalfEfLj32ELj1ELj32ELb1ELb1ELb1EEEvllPKT_S7_PKT0_SA_PS5_SB_.uses_flat_scratch, 0
	.set _ZN2at6native12_GLOBAL__N_135GammaBetaBackwardCUDAKernelTemplateIN3c104HalfEfLj32ELj1ELj32ELb1ELb1ELb1EEEvllPKT_S7_PKT0_SA_PS5_SB_.has_dyn_sized_stack, 0
	.set _ZN2at6native12_GLOBAL__N_135GammaBetaBackwardCUDAKernelTemplateIN3c104HalfEfLj32ELj1ELj32ELb1ELb1ELb1EEEvllPKT_S7_PKT0_SA_PS5_SB_.has_recursion, 0
	.set _ZN2at6native12_GLOBAL__N_135GammaBetaBackwardCUDAKernelTemplateIN3c104HalfEfLj32ELj1ELj32ELb1ELb1ELb1EEEvllPKT_S7_PKT0_SA_PS5_SB_.has_indirect_call, 0
	.section	.AMDGPU.csdata,"",@progbits
; Kernel info:
; codeLenInByte = 3912
; TotalNumSgprs: 25
; NumVgprs: 96
; ScratchSize: 0
; MemoryBound: 0
; FloatMode: 240
; IeeeMode: 1
; LDSByteSize: 0 bytes/workgroup (compile time only)
; SGPRBlocks: 0
; VGPRBlocks: 11
; NumSGPRsForWavesPerEU: 25
; NumVGPRsForWavesPerEU: 96
; Occupancy: 16
; WaveLimiterHint : 0
; COMPUTE_PGM_RSRC2:SCRATCH_EN: 0
; COMPUTE_PGM_RSRC2:USER_SGPR: 2
; COMPUTE_PGM_RSRC2:TRAP_HANDLER: 0
; COMPUTE_PGM_RSRC2:TGID_X_EN: 1
; COMPUTE_PGM_RSRC2:TGID_Y_EN: 1
; COMPUTE_PGM_RSRC2:TGID_Z_EN: 0
; COMPUTE_PGM_RSRC2:TIDIG_COMP_CNT: 1
	.section	.text._ZN2at6native12_GLOBAL__N_135GammaBetaBackwardCUDAKernelTemplateIN3c104HalfEfLj32ELj1ELj32ELb1ELb0ELb1EEEvllPKT_S7_PKT0_SA_PS5_SB_,"axG",@progbits,_ZN2at6native12_GLOBAL__N_135GammaBetaBackwardCUDAKernelTemplateIN3c104HalfEfLj32ELj1ELj32ELb1ELb0ELb1EEEvllPKT_S7_PKT0_SA_PS5_SB_,comdat
	.globl	_ZN2at6native12_GLOBAL__N_135GammaBetaBackwardCUDAKernelTemplateIN3c104HalfEfLj32ELj1ELj32ELb1ELb0ELb1EEEvllPKT_S7_PKT0_SA_PS5_SB_ ; -- Begin function _ZN2at6native12_GLOBAL__N_135GammaBetaBackwardCUDAKernelTemplateIN3c104HalfEfLj32ELj1ELj32ELb1ELb0ELb1EEEvllPKT_S7_PKT0_SA_PS5_SB_
	.p2align	8
	.type	_ZN2at6native12_GLOBAL__N_135GammaBetaBackwardCUDAKernelTemplateIN3c104HalfEfLj32ELj1ELj32ELb1ELb0ELb1EEEvllPKT_S7_PKT0_SA_PS5_SB_,@function
_ZN2at6native12_GLOBAL__N_135GammaBetaBackwardCUDAKernelTemplateIN3c104HalfEfLj32ELj1ELj32ELb1ELb0ELb1EEEvllPKT_S7_PKT0_SA_PS5_SB_: ; @_ZN2at6native12_GLOBAL__N_135GammaBetaBackwardCUDAKernelTemplateIN3c104HalfEfLj32ELj1ELj32ELb1ELb0ELb1EEEvllPKT_S7_PKT0_SA_PS5_SB_
; %bb.0:
	s_clause 0x1
	s_load_b256 s[4:11], s[0:1], 0x0
	s_load_b64 s[12:13], s[0:1], 0x28
	s_lshl_b32 s28, ttmp9, 5
	s_mov_b32 s15, 0
	s_or_b32 s14, s28, 31
	v_mov_b32_e32 v208, v0
	s_wait_kmcnt 0x0
	v_cmp_le_i64_e64 s2, s[6:7], s[14:15]
	s_lshl_b32 s14, ttmp7, 5
	s_wait_alu 0xfffe
	v_cmp_gt_i64_e64 s29, s[4:5], s[14:15]
	s_and_b32 vcc_lo, exec_lo, s2
	v_cndmask_b32_e64 v0, 0, 1, s29
	s_delay_alu instid0(VALU_DEP_1)
	v_cmp_ne_u32_e64 s2, 1, v0
	s_cbranch_vccz .LBB176_141
; %bb.1:
	v_mov_b32_e32 v202, 0
	s_and_b32 vcc_lo, exec_lo, s2
	s_cbranch_vccnz .LBB176_142
; %bb.2:
	v_bfe_u32 v38, v208, 10, 10
	v_dual_mov_b32 v1, 0 :: v_dual_and_b32 v40, 0x3ff, v208
	s_load_b32 s3, s[0:1], 0x44
	s_mov_b32 s17, 0
	s_delay_alu instid0(VALU_DEP_2) | instskip(NEXT) | instid1(VALU_DEP_2)
	v_lshlrev_b32_e32 v39, 5, v38
	v_dual_mov_b32 v7, v1 :: v_dual_add_nc_u32 v6, s28, v40
	s_mov_b32 s21, s17
	v_mov_b32_e32 v41, v1
	s_delay_alu instid0(VALU_DEP_3) | instskip(NEXT) | instid1(VALU_DEP_1)
	v_add_co_u32 v4, s2, v39, s14
	v_add_co_ci_u32_e64 v5, null, 0, 0, s2
	v_cmp_gt_i64_e64 s2, s[6:7], v[6:7]
	s_delay_alu instid0(VALU_DEP_3) | instskip(SKIP_1) | instid1(VALU_DEP_4)
	v_mul_lo_u32 v0, s7, v4
	v_mad_co_u64_u32 v[2:3], null, s6, v4, 0
	v_mul_lo_u32 v8, s6, v5
	v_lshlrev_b64_e32 v[34:35], 1, v[6:7]
	v_mov_b32_e32 v169, 0
	s_add_nc_u64 s[18:19], s[0:1], 64
	s_mov_b64 s[24:25], 31
	s_wait_kmcnt 0x0
	s_lshl_b32 s20, s3, 5
	s_mov_b64 s[26:27], s[14:15]
	s_mul_u64 s[22:23], s[6:7], s[20:21]
	v_add3_u32 v3, v3, v8, v0
	v_add_co_u32 v0, vcc_lo, v4, 31
	s_delay_alu instid0(VALU_DEP_1) | instskip(NEXT) | instid1(VALU_DEP_3)
	v_add_co_ci_u32_e64 v8, null, 0, v5, vcc_lo
	v_lshlrev_b64_e32 v[6:7], 1, v[2:3]
	s_delay_alu instid0(VALU_DEP_3) | instskip(SKIP_1) | instid1(VALU_DEP_3)
	v_mul_lo_u32 v12, s7, v0
	s_lshl_b64 s[22:23], s[22:23], 1
	v_mul_lo_u32 v13, s6, v8
	v_mad_co_u64_u32 v[8:9], null, s6, v0, 0
	v_add_co_u32 v0, vcc_lo, v4, 30
	s_wait_alu 0xfffd
	v_add_co_ci_u32_e64 v10, null, 0, v5, vcc_lo
	v_add_co_u32 v42, vcc_lo, s8, v6
	s_delay_alu instid0(VALU_DEP_3) | instskip(NEXT) | instid1(VALU_DEP_3)
	v_mul_lo_u32 v14, s7, v0
	v_mul_lo_u32 v15, s6, v10
	v_mad_co_u64_u32 v[10:11], null, s6, v0, 0
	s_wait_alu 0xfffd
	v_add_co_ci_u32_e64 v43, null, s9, v7, vcc_lo
	v_add_co_u32 v44, vcc_lo, s10, v6
	s_wait_alu 0xfffd
	v_add_co_ci_u32_e64 v45, null, s11, v7, vcc_lo
	v_add_co_u32 v0, vcc_lo, v4, 29
	v_add3_u32 v9, v9, v13, v12
	v_add3_u32 v11, v11, v15, v14
	s_wait_alu 0xfffd
	v_add_co_ci_u32_e64 v12, null, 0, v5, vcc_lo
	v_mul_lo_u32 v13, s7, v0
	v_lshlrev_b64_e32 v[6:7], 1, v[8:9]
	v_lshlrev_b64_e32 v[8:9], 1, v[10:11]
	s_delay_alu instid0(VALU_DEP_4) | instskip(SKIP_1) | instid1(VALU_DEP_4)
	v_mul_lo_u32 v12, s6, v12
	v_mad_co_u64_u32 v[10:11], null, s6, v0, 0
	v_add_co_u32 v46, vcc_lo, s8, v6
	s_wait_alu 0xfffd
	v_add_co_ci_u32_e64 v47, null, s9, v7, vcc_lo
	v_add_co_u32 v48, vcc_lo, s10, v6
	s_delay_alu instid0(VALU_DEP_4)
	v_add3_u32 v11, v11, v12, v13
	s_wait_alu 0xfffd
	v_add_co_ci_u32_e64 v49, null, s11, v7, vcc_lo
	v_add_co_u32 v50, vcc_lo, s8, v8
	s_wait_alu 0xfffd
	v_add_co_ci_u32_e64 v51, null, s9, v9, vcc_lo
	v_add_co_u32 v0, vcc_lo, v4, 28
	v_add_co_u32 v52, s3, s10, v8
	v_lshlrev_b64_e32 v[6:7], 1, v[10:11]
	s_wait_alu 0xfffd
	v_add_co_ci_u32_e64 v8, null, 0, v5, vcc_lo
	v_add_co_u32 v10, vcc_lo, v4, 27
	s_wait_alu 0xfffd
	v_add_co_ci_u32_e64 v11, null, 0, v5, vcc_lo
	s_wait_alu 0xf1ff
	v_add_co_ci_u32_e64 v53, null, s11, v9, s3
	v_mul_lo_u32 v12, s7, v0
	v_mul_lo_u32 v13, s6, v8
	v_mad_co_u64_u32 v[8:9], null, s6, v0, 0
	v_mul_lo_u32 v0, s7, v10
	v_mul_lo_u32 v14, s6, v11
	v_mad_co_u64_u32 v[10:11], null, s6, v10, 0
	v_add_co_u32 v54, vcc_lo, s8, v6
	s_wait_alu 0xfffd
	v_add_co_ci_u32_e64 v55, null, s9, v7, vcc_lo
	v_add_co_u32 v56, vcc_lo, s10, v6
	s_wait_alu 0xfffd
	v_add_co_ci_u32_e64 v57, null, s11, v7, vcc_lo
	v_add3_u32 v11, v11, v14, v0
	v_add_co_u32 v0, vcc_lo, v4, 26
	v_add3_u32 v9, v9, v13, v12
	s_wait_alu 0xfffd
	v_add_co_ci_u32_e64 v12, null, 0, v5, vcc_lo
	s_delay_alu instid0(VALU_DEP_3) | instskip(NEXT) | instid1(VALU_DEP_3)
	v_mul_lo_u32 v13, s7, v0
	v_lshlrev_b64_e32 v[6:7], 1, v[8:9]
	v_lshlrev_b64_e32 v[8:9], 1, v[10:11]
	s_delay_alu instid0(VALU_DEP_4) | instskip(SKIP_1) | instid1(VALU_DEP_4)
	v_mul_lo_u32 v12, s6, v12
	v_mad_co_u64_u32 v[10:11], null, s6, v0, 0
	v_add_co_u32 v58, vcc_lo, s8, v6
	s_wait_alu 0xfffd
	v_add_co_ci_u32_e64 v59, null, s9, v7, vcc_lo
	v_add_co_u32 v60, vcc_lo, s10, v6
	s_delay_alu instid0(VALU_DEP_4)
	v_add3_u32 v11, v11, v12, v13
	s_wait_alu 0xfffd
	v_add_co_ci_u32_e64 v61, null, s11, v7, vcc_lo
	v_add_co_u32 v62, vcc_lo, s8, v8
	s_wait_alu 0xfffd
	v_add_co_ci_u32_e64 v63, null, s9, v9, vcc_lo
	v_add_co_u32 v0, vcc_lo, v4, 25
	v_add_co_u32 v64, s3, s10, v8
	v_lshlrev_b64_e32 v[6:7], 1, v[10:11]
	s_wait_alu 0xfffd
	v_add_co_ci_u32_e64 v8, null, 0, v5, vcc_lo
	v_add_co_u32 v10, vcc_lo, v4, 24
	s_wait_alu 0xfffd
	v_add_co_ci_u32_e64 v11, null, 0, v5, vcc_lo
	s_wait_alu 0xf1ff
	v_add_co_ci_u32_e64 v65, null, s11, v9, s3
	v_mul_lo_u32 v12, s7, v0
	v_mul_lo_u32 v13, s6, v8
	v_mad_co_u64_u32 v[8:9], null, s6, v0, 0
	v_mul_lo_u32 v0, s7, v10
	v_mul_lo_u32 v14, s6, v11
	v_mad_co_u64_u32 v[10:11], null, s6, v10, 0
	v_add_co_u32 v66, vcc_lo, s8, v6
	s_wait_alu 0xfffd
	v_add_co_ci_u32_e64 v67, null, s9, v7, vcc_lo
	v_add_co_u32 v68, vcc_lo, s10, v6
	s_wait_alu 0xfffd
	v_add_co_ci_u32_e64 v69, null, s11, v7, vcc_lo
	v_add3_u32 v11, v11, v14, v0
	v_add_co_u32 v0, vcc_lo, v4, 23
	v_add3_u32 v9, v9, v13, v12
	s_wait_alu 0xfffd
	v_add_co_ci_u32_e64 v12, null, 0, v5, vcc_lo
	s_delay_alu instid0(VALU_DEP_3) | instskip(NEXT) | instid1(VALU_DEP_3)
	;; [unrolled: 45-line block ×3, first 2 shown]
	v_mul_lo_u32 v13, s7, v0
	v_lshlrev_b64_e32 v[6:7], 1, v[8:9]
	v_lshlrev_b64_e32 v[8:9], 1, v[10:11]
	s_delay_alu instid0(VALU_DEP_4) | instskip(SKIP_1) | instid1(VALU_DEP_4)
	v_mul_lo_u32 v12, s6, v12
	v_mad_co_u64_u32 v[10:11], null, s6, v0, 0
	v_add_co_u32 v82, vcc_lo, s8, v6
	s_wait_alu 0xfffd
	v_add_co_ci_u32_e64 v83, null, s9, v7, vcc_lo
	v_add_co_u32 v84, vcc_lo, s10, v6
	s_delay_alu instid0(VALU_DEP_4)
	v_add3_u32 v11, v11, v12, v13
	s_wait_alu 0xfffd
	v_add_co_ci_u32_e64 v85, null, s11, v7, vcc_lo
	v_add_co_u32 v86, vcc_lo, s8, v8
	s_wait_alu 0xfffd
	v_add_co_ci_u32_e64 v87, null, s9, v9, vcc_lo
	v_add_co_u32 v0, vcc_lo, v4, 19
	v_add_co_u32 v88, s3, s10, v8
	v_lshlrev_b64_e32 v[6:7], 1, v[10:11]
	s_wait_alu 0xfffd
	v_add_co_ci_u32_e64 v8, null, 0, v5, vcc_lo
	v_add_co_u32 v10, vcc_lo, v4, 18
	s_wait_alu 0xfffd
	v_add_co_ci_u32_e64 v11, null, 0, v5, vcc_lo
	s_wait_alu 0xf1ff
	v_add_co_ci_u32_e64 v89, null, s11, v9, s3
	v_mul_lo_u32 v12, s7, v0
	v_mul_lo_u32 v13, s6, v8
	v_mad_co_u64_u32 v[8:9], null, s6, v0, 0
	v_mul_lo_u32 v0, s7, v10
	v_mul_lo_u32 v14, s6, v11
	v_mad_co_u64_u32 v[10:11], null, s6, v10, 0
	v_add_co_u32 v90, vcc_lo, s8, v6
	s_wait_alu 0xfffd
	v_add_co_ci_u32_e64 v91, null, s9, v7, vcc_lo
	v_add_co_u32 v92, vcc_lo, s10, v6
	v_add3_u32 v9, v9, v13, v12
	s_wait_alu 0xfffd
	v_add_co_ci_u32_e64 v93, null, s11, v7, vcc_lo
	v_add_co_u32 v12, vcc_lo, v4, 17
	v_add3_u32 v11, v11, v14, v0
	s_wait_alu 0xfffd
	v_add_co_ci_u32_e64 v13, null, 0, v5, vcc_lo
	v_lshlrev_b64_e32 v[6:7], 1, v[8:9]
	v_mul_lo_u32 v14, s7, v12
	v_lshlrev_b64_e32 v[8:9], 1, v[10:11]
	s_delay_alu instid0(VALU_DEP_4)
	v_mul_lo_u32 v13, s6, v13
	v_mad_co_u64_u32 v[10:11], null, s6, v12, 0
	v_add_co_u32 v0, vcc_lo, s8, v6
	s_wait_alu 0xfffd
	v_add_co_ci_u32_e64 v94, null, s9, v7, vcc_lo
	v_add_co_u32 v95, vcc_lo, s10, v6
	s_delay_alu instid0(VALU_DEP_4)
	v_add3_u32 v11, v11, v13, v14
	s_wait_alu 0xfffd
	v_add_co_ci_u32_e64 v96, null, s11, v7, vcc_lo
	v_add_co_u32 v97, vcc_lo, s8, v8
	s_wait_alu 0xfffd
	v_add_co_ci_u32_e64 v98, null, s9, v9, vcc_lo
	v_add_co_u32 v12, vcc_lo, v4, 16
	v_add_co_u32 v99, s3, s10, v8
	v_lshlrev_b64_e32 v[6:7], 1, v[10:11]
	s_wait_alu 0xfffd
	v_add_co_ci_u32_e64 v8, null, 0, v5, vcc_lo
	v_add_co_u32 v10, vcc_lo, v4, 15
	s_wait_alu 0xfffd
	v_add_co_ci_u32_e64 v11, null, 0, v5, vcc_lo
	s_wait_alu 0xf1ff
	v_add_co_ci_u32_e64 v100, null, s11, v9, s3
	v_mul_lo_u32 v13, s7, v12
	v_mul_lo_u32 v14, s6, v8
	v_mad_co_u64_u32 v[8:9], null, s6, v12, 0
	v_mul_lo_u32 v12, s7, v10
	v_mul_lo_u32 v15, s6, v11
	v_mad_co_u64_u32 v[10:11], null, s6, v10, 0
	v_add_co_u32 v101, vcc_lo, s8, v6
	s_wait_alu 0xfffd
	v_add_co_ci_u32_e64 v102, null, s9, v7, vcc_lo
	v_add_co_u32 v103, vcc_lo, s10, v6
	s_wait_alu 0xfffd
	v_add_co_ci_u32_e64 v104, null, s11, v7, vcc_lo
	v_add3_u32 v11, v11, v15, v12
	v_add_co_u32 v12, vcc_lo, v4, 14
	v_add3_u32 v9, v9, v14, v13
	s_wait_alu 0xfffd
	v_add_co_ci_u32_e64 v13, null, 0, v5, vcc_lo
	s_delay_alu instid0(VALU_DEP_3) | instskip(NEXT) | instid1(VALU_DEP_3)
	v_mul_lo_u32 v14, s7, v12
	v_lshlrev_b64_e32 v[6:7], 1, v[8:9]
	v_lshlrev_b64_e32 v[8:9], 1, v[10:11]
	s_delay_alu instid0(VALU_DEP_4) | instskip(SKIP_1) | instid1(VALU_DEP_4)
	v_mul_lo_u32 v13, s6, v13
	v_mad_co_u64_u32 v[10:11], null, s6, v12, 0
	v_add_co_u32 v105, vcc_lo, s8, v6
	s_wait_alu 0xfffd
	v_add_co_ci_u32_e64 v106, null, s9, v7, vcc_lo
	v_add_co_u32 v107, vcc_lo, s10, v6
	s_delay_alu instid0(VALU_DEP_4)
	v_add3_u32 v11, v11, v13, v14
	s_wait_alu 0xfffd
	v_add_co_ci_u32_e64 v108, null, s11, v7, vcc_lo
	v_add_co_u32 v109, vcc_lo, s8, v8
	s_wait_alu 0xfffd
	v_add_co_ci_u32_e64 v110, null, s9, v9, vcc_lo
	v_add_co_u32 v12, vcc_lo, v4, 13
	v_add_co_u32 v111, s3, s10, v8
	v_lshlrev_b64_e32 v[6:7], 1, v[10:11]
	s_wait_alu 0xfffd
	v_add_co_ci_u32_e64 v8, null, 0, v5, vcc_lo
	v_add_co_u32 v10, vcc_lo, v4, 12
	s_wait_alu 0xfffd
	v_add_co_ci_u32_e64 v11, null, 0, v5, vcc_lo
	s_wait_alu 0xf1ff
	v_add_co_ci_u32_e64 v112, null, s11, v9, s3
	v_mul_lo_u32 v13, s7, v12
	v_mul_lo_u32 v14, s6, v8
	v_mad_co_u64_u32 v[8:9], null, s6, v12, 0
	v_mul_lo_u32 v12, s7, v10
	v_mul_lo_u32 v15, s6, v11
	v_mad_co_u64_u32 v[10:11], null, s6, v10, 0
	v_add_co_u32 v113, vcc_lo, s8, v6
	s_wait_alu 0xfffd
	v_add_co_ci_u32_e64 v114, null, s9, v7, vcc_lo
	v_add_co_u32 v115, vcc_lo, s10, v6
	s_wait_alu 0xfffd
	v_add_co_ci_u32_e64 v116, null, s11, v7, vcc_lo
	v_add3_u32 v11, v11, v15, v12
	v_add_co_u32 v12, vcc_lo, v4, 11
	v_add3_u32 v9, v9, v14, v13
	s_wait_alu 0xfffd
	v_add_co_ci_u32_e64 v13, null, 0, v5, vcc_lo
	s_delay_alu instid0(VALU_DEP_3) | instskip(NEXT) | instid1(VALU_DEP_3)
	v_mul_lo_u32 v14, s7, v12
	v_lshlrev_b64_e32 v[6:7], 1, v[8:9]
	v_lshlrev_b64_e32 v[8:9], 1, v[10:11]
	s_delay_alu instid0(VALU_DEP_4) | instskip(SKIP_1) | instid1(VALU_DEP_4)
	v_mul_lo_u32 v13, s6, v13
	v_mad_co_u64_u32 v[10:11], null, s6, v12, 0
	v_add_co_u32 v117, vcc_lo, s8, v6
	s_wait_alu 0xfffd
	v_add_co_ci_u32_e64 v118, null, s9, v7, vcc_lo
	v_add_co_u32 v119, vcc_lo, s10, v6
	s_delay_alu instid0(VALU_DEP_4)
	v_add3_u32 v11, v11, v13, v14
	s_wait_alu 0xfffd
	v_add_co_ci_u32_e64 v120, null, s11, v7, vcc_lo
	v_add_co_u32 v121, vcc_lo, s8, v8
	s_wait_alu 0xfffd
	v_add_co_ci_u32_e64 v122, null, s9, v9, vcc_lo
	v_add_co_u32 v12, vcc_lo, v4, 10
	v_add_co_u32 v123, s3, s10, v8
	v_lshlrev_b64_e32 v[6:7], 1, v[10:11]
	s_wait_alu 0xfffd
	v_add_co_ci_u32_e64 v8, null, 0, v5, vcc_lo
	v_add_co_u32 v10, vcc_lo, v4, 9
	s_wait_alu 0xfffd
	v_add_co_ci_u32_e64 v11, null, 0, v5, vcc_lo
	s_wait_alu 0xf1ff
	v_add_co_ci_u32_e64 v124, null, s11, v9, s3
	v_mul_lo_u32 v13, s7, v12
	v_mul_lo_u32 v14, s6, v8
	v_mad_co_u64_u32 v[8:9], null, s6, v12, 0
	v_mul_lo_u32 v12, s7, v10
	v_mul_lo_u32 v15, s6, v11
	v_mad_co_u64_u32 v[10:11], null, s6, v10, 0
	v_add_co_u32 v125, vcc_lo, s8, v6
	s_wait_alu 0xfffd
	v_add_co_ci_u32_e64 v126, null, s9, v7, vcc_lo
	v_add_co_u32 v127, vcc_lo, s10, v6
	v_add3_u32 v9, v9, v14, v13
	s_wait_alu 0xfffd
	v_add_co_ci_u32_e64 v128, null, s11, v7, vcc_lo
	v_add3_u32 v11, v11, v15, v12
	v_add_co_u32 v12, vcc_lo, v4, 8
	s_wait_alu 0xfffd
	v_add_co_ci_u32_e64 v13, null, 0, v5, vcc_lo
	v_lshlrev_b64_e32 v[6:7], 1, v[8:9]
	v_lshlrev_b64_e32 v[8:9], 1, v[10:11]
	v_mul_lo_u32 v14, s7, v12
	s_delay_alu instid0(VALU_DEP_4)
	v_mul_lo_u32 v13, s6, v13
	v_mad_co_u64_u32 v[10:11], null, s6, v12, 0
	v_add_co_u32 v129, vcc_lo, s8, v6
	s_wait_alu 0xfffd
	v_add_co_ci_u32_e64 v130, null, s9, v7, vcc_lo
	v_add_co_u32 v131, vcc_lo, s10, v6
	s_wait_alu 0xfffd
	v_add_co_ci_u32_e64 v132, null, s11, v7, vcc_lo
	v_add_co_u32 v133, vcc_lo, s8, v8
	v_add3_u32 v11, v11, v13, v14
	s_wait_alu 0xfffd
	v_add_co_ci_u32_e64 v134, null, s9, v9, vcc_lo
	v_add_co_u32 v12, vcc_lo, v4, 7
	v_add_co_u32 v135, s3, s10, v8
	s_wait_alu 0xfffd
	v_add_co_ci_u32_e64 v8, null, 0, v5, vcc_lo
	v_lshlrev_b64_e32 v[6:7], 1, v[10:11]
	v_add_co_u32 v10, vcc_lo, v4, 6
	s_wait_alu 0xfffd
	v_add_co_ci_u32_e64 v11, null, 0, v5, vcc_lo
	s_wait_alu 0xf1ff
	v_add_co_ci_u32_e64 v136, null, s11, v9, s3
	v_mul_lo_u32 v13, s7, v12
	v_mul_lo_u32 v14, s6, v8
	v_mad_co_u64_u32 v[8:9], null, s6, v12, 0
	v_mul_lo_u32 v12, s7, v10
	v_mul_lo_u32 v15, s6, v11
	v_mad_co_u64_u32 v[10:11], null, s6, v10, 0
	v_add_co_u32 v137, vcc_lo, s8, v6
	v_add3_u32 v9, v9, v14, v13
	s_wait_alu 0xfffd
	v_add_co_ci_u32_e64 v138, null, s9, v7, vcc_lo
	v_add_co_u32 v139, vcc_lo, s10, v6
	s_wait_alu 0xfffd
	v_add_co_ci_u32_e64 v140, null, s11, v7, vcc_lo
	v_add3_u32 v11, v11, v15, v12
	v_add_co_u32 v12, vcc_lo, v4, 5
	v_lshlrev_b64_e32 v[6:7], 1, v[8:9]
	s_wait_alu 0xfffd
	v_add_co_ci_u32_e64 v13, null, 0, v5, vcc_lo
	v_lshlrev_b64_e32 v[8:9], 1, v[10:11]
	v_mul_lo_u32 v14, s7, v12
	v_mad_co_u64_u32 v[10:11], null, s6, v12, 0
	v_add_co_u32 v141, vcc_lo, s8, v6
	v_mul_lo_u32 v13, s6, v13
	s_wait_alu 0xfffd
	v_add_co_ci_u32_e64 v142, null, s9, v7, vcc_lo
	v_add_co_u32 v143, vcc_lo, s10, v6
	s_wait_alu 0xfffd
	v_add_co_ci_u32_e64 v144, null, s11, v7, vcc_lo
	v_add_co_u32 v145, vcc_lo, s8, v8
	;; [unrolled: 3-line block ×3, first 2 shown]
	v_add3_u32 v11, v11, v13, v14
	v_add_co_u32 v147, s3, s10, v8
	s_wait_alu 0xfffd
	v_add_co_ci_u32_e64 v8, null, 0, v5, vcc_lo
	s_wait_alu 0xf1ff
	v_add_co_ci_u32_e64 v148, null, s11, v9, s3
	v_lshlrev_b64_e32 v[6:7], 1, v[10:11]
	v_mul_lo_u32 v13, s7, v12
	v_add_co_u32 v10, vcc_lo, v4, 3
	v_mul_lo_u32 v14, s6, v8
	v_mad_co_u64_u32 v[8:9], null, s6, v12, 0
	s_wait_alu 0xfffd
	v_add_co_ci_u32_e64 v11, null, 0, v5, vcc_lo
	v_mul_lo_u32 v12, s7, v10
	v_add_co_u32 v149, vcc_lo, s8, v6
	s_delay_alu instid0(VALU_DEP_3)
	v_mul_lo_u32 v15, s6, v11
	v_mad_co_u64_u32 v[10:11], null, s6, v10, 0
	v_add3_u32 v9, v9, v14, v13
	s_wait_alu 0xfffd
	v_add_co_ci_u32_e64 v150, null, s9, v7, vcc_lo
	v_add_co_u32 v151, vcc_lo, s10, v6
	s_wait_alu 0xfffd
	v_add_co_ci_u32_e64 v152, null, s11, v7, vcc_lo
	v_lshlrev_b64_e32 v[6:7], 1, v[8:9]
	v_add_co_u32 v8, vcc_lo, v4, 2
	v_add3_u32 v11, v11, v15, v12
	s_wait_alu 0xfffd
	v_add_co_ci_u32_e64 v9, null, 0, v5, vcc_lo
	s_delay_alu instid0(VALU_DEP_4) | instskip(NEXT) | instid1(VALU_DEP_3)
	v_add_co_u32 v153, vcc_lo, s8, v6
	v_lshlrev_b64_e32 v[4:5], 1, v[10:11]
	v_mul_lo_u32 v10, s7, v8
	s_delay_alu instid0(VALU_DEP_4)
	v_mul_lo_u32 v11, s6, v9
	v_mad_co_u64_u32 v[8:9], null, s6, v8, 0
	s_wait_alu 0xfffd
	v_add_co_ci_u32_e64 v154, null, s9, v7, vcc_lo
	v_add_co_u32 v155, vcc_lo, s10, v6
	s_wait_alu 0xfffd
	v_add_co_ci_u32_e64 v156, null, s11, v7, vcc_lo
	v_add_co_u32 v157, vcc_lo, s8, v4
	s_wait_alu 0xfffd
	v_add_co_ci_u32_e64 v158, null, s9, v5, vcc_lo
	v_add3_u32 v9, v9, v11, v10
	v_add_co_u32 v159, vcc_lo, s10, v4
	s_wait_alu 0xfffd
	v_add_co_ci_u32_e64 v160, null, s11, v5, vcc_lo
	v_add_co_u32 v2, vcc_lo, v2, s6
	s_wait_alu 0xfffd
	v_add_co_ci_u32_e64 v3, null, s7, v3, vcc_lo
	v_lshlrev_b64_e32 v[4:5], 1, v[8:9]
	s_delay_alu instid0(VALU_DEP_2) | instskip(NEXT) | instid1(VALU_DEP_2)
	v_lshlrev_b64_e32 v[2:3], 1, v[2:3]
	v_add_co_u32 v161, vcc_lo, s8, v4
	s_wait_alu 0xfffd
	s_delay_alu instid0(VALU_DEP_3)
	v_add_co_ci_u32_e64 v162, null, s9, v5, vcc_lo
	v_add_co_u32 v163, vcc_lo, s10, v4
	s_wait_alu 0xfffd
	v_add_co_ci_u32_e64 v164, null, s11, v5, vcc_lo
	v_add_co_u32 v165, vcc_lo, s8, v2
	s_wait_alu 0xfffd
	;; [unrolled: 3-line block ×3, first 2 shown]
	v_add_co_ci_u32_e64 v168, null, s11, v3, vcc_lo
.LBB176_3:                              ; =>This Inner Loop Header: Depth=1
	s_add_nc_u64 s[30:31], s[14:15], s[24:25]
	v_add_co_u32 v36, vcc_lo, s14, v39
	s_wait_alu 0xfffe
	v_cmp_ge_i64_e64 s3, s[30:31], s[4:5]
	s_wait_alu 0xfffd
	v_add_co_ci_u32_e64 v37, null, 0, v41, vcc_lo
                                        ; implicit-def: $vgpr2_vgpr3_vgpr4_vgpr5_vgpr6_vgpr7_vgpr8_vgpr9_vgpr10_vgpr11_vgpr12_vgpr13_vgpr14_vgpr15_vgpr16_vgpr17_vgpr18_vgpr19_vgpr20_vgpr21_vgpr22_vgpr23_vgpr24_vgpr25_vgpr26_vgpr27_vgpr28_vgpr29_vgpr30_vgpr31_vgpr32_vgpr33
                                        ; implicit-def: $vgpr202
                                        ; implicit-def: $vgpr196
                                        ; implicit-def: $vgpr2
	s_and_b32 vcc_lo, exec_lo, s3
	s_mov_b32 s3, -1
	s_wait_alu 0xfffe
	s_cbranch_vccz .LBB176_71
; %bb.4:                                ;   in Loop: Header=BB176_3 Depth=1
	s_load_b32 s3, s[18:19], 0xc
	v_dual_mov_b32 v170, 0 :: v_dual_mov_b32 v171, 0
	s_wait_kmcnt 0x0
	s_and_b32 s3, s3, 0xffff
	s_wait_alu 0xfffe
	v_mad_u32_u24 v2, v38, s3, v40
	s_mov_b32 s3, exec_lo
	s_delay_alu instid0(VALU_DEP_1) | instskip(NEXT) | instid1(VALU_DEP_1)
	v_and_b32_e32 v2, 31, v2
	v_add_co_u32 v2, vcc_lo, v36, v2
	s_wait_alu 0xfffd
	v_add_co_ci_u32_e64 v3, null, 0, v37, vcc_lo
	s_delay_alu instid0(VALU_DEP_1)
	v_cmpx_gt_i64_e64 s[4:5], v[2:3]
	s_cbranch_execz .LBB176_6
; %bb.5:                                ;   in Loop: Header=BB176_3 Depth=1
	v_lshlrev_b64_e32 v[2:3], 2, v[2:3]
	s_delay_alu instid0(VALU_DEP_1) | instskip(SKIP_1) | instid1(VALU_DEP_2)
	v_add_co_u32 v2, vcc_lo, s12, v2
	s_wait_alu 0xfffd
	v_add_co_ci_u32_e64 v3, null, s13, v3, vcc_lo
	global_load_b32 v170, v[2:3], off
.LBB176_6:                              ;   in Loop: Header=BB176_3 Depth=1
	s_wait_alu 0xfffe
	s_or_b32 exec_lo, exec_lo, s3
	v_mov_b32_e32 v32, v1
	v_cmp_gt_i64_e32 vcc_lo, s[4:5], v[36:37]
	v_dual_mov_b32 v2, v1 :: v_dual_mov_b32 v3, v1
	v_dual_mov_b32 v4, v1 :: v_dual_mov_b32 v5, v1
	;; [unrolled: 1-line block ×15, first 2 shown]
	v_mov_b32_e32 v33, v32
	s_delay_alu instid0(VALU_DEP_2) | instskip(NEXT) | instid1(VALU_DEP_3)
	v_mov_b32_e32 v32, v31
	v_mov_b32_e32 v31, v30
	v_mov_b32_e32 v30, v29
	v_mov_b32_e32 v29, v28
	v_mov_b32_e32 v28, v27
	v_mov_b32_e32 v27, v26
	v_mov_b32_e32 v26, v25
	v_mov_b32_e32 v25, v24
	v_mov_b32_e32 v24, v23
	v_mov_b32_e32 v23, v22
	v_mov_b32_e32 v22, v21
	v_mov_b32_e32 v21, v20
	v_mov_b32_e32 v20, v19
	v_mov_b32_e32 v19, v18
	v_mov_b32_e32 v18, v17
	v_mov_b32_e32 v17, v16
	v_mov_b32_e32 v16, v15
	v_mov_b32_e32 v15, v14
	v_mov_b32_e32 v14, v13
	v_mov_b32_e32 v13, v12
	v_mov_b32_e32 v12, v11
	v_mov_b32_e32 v11, v10
	v_mov_b32_e32 v10, v9
	v_mov_b32_e32 v9, v8
	v_mov_b32_e32 v8, v7
	v_mov_b32_e32 v7, v6
	v_mov_b32_e32 v6, v5
	v_mov_b32_e32 v5, v4
	v_mov_b32_e32 v4, v3
	v_mov_b32_e32 v3, v2
	v_mov_b32_e32 v2, v1
	s_and_b32 s16, s2, vcc_lo
	s_delay_alu instid0(SALU_CYCLE_1)
	s_and_saveexec_b32 s3, s16
	s_cbranch_execz .LBB176_8
; %bb.7:                                ;   in Loop: Header=BB176_3 Depth=1
	v_add_co_u32 v2, vcc_lo, v42, v34
	s_wait_alu 0xfffd
	v_add_co_ci_u32_e64 v3, null, v43, v35, vcc_lo
	v_add_co_u32 v4, vcc_lo, v44, v34
	s_wait_alu 0xfffd
	v_add_co_ci_u32_e64 v5, null, v45, v35, vcc_lo
	global_load_u16 v2, v[2:3], off
	global_load_u16 v171, v[4:5], off
	v_dual_mov_b32 v3, v1 :: v_dual_mov_b32 v4, v1
	v_dual_mov_b32 v5, v1 :: v_dual_mov_b32 v6, v1
	v_dual_mov_b32 v7, v1 :: v_dual_mov_b32 v8, v1
	v_dual_mov_b32 v9, v1 :: v_dual_mov_b32 v10, v1
	v_dual_mov_b32 v11, v1 :: v_dual_mov_b32 v12, v1
	v_dual_mov_b32 v13, v1 :: v_dual_mov_b32 v14, v1
	v_dual_mov_b32 v15, v1 :: v_dual_mov_b32 v16, v1
	v_dual_mov_b32 v17, v1 :: v_dual_mov_b32 v18, v1
	v_dual_mov_b32 v19, v1 :: v_dual_mov_b32 v20, v1
	v_dual_mov_b32 v21, v1 :: v_dual_mov_b32 v22, v1
	v_dual_mov_b32 v23, v1 :: v_dual_mov_b32 v24, v1
	v_dual_mov_b32 v25, v1 :: v_dual_mov_b32 v26, v1
	v_dual_mov_b32 v27, v1 :: v_dual_mov_b32 v28, v1
	v_dual_mov_b32 v29, v1 :: v_dual_mov_b32 v30, v1
	v_dual_mov_b32 v31, v1 :: v_dual_mov_b32 v32, v1
	v_mov_b32_e32 v33, v1
	s_wait_loadcnt 0x1
	v_cvt_f32_f16_e32 v2, v2
	s_wait_loadcnt 0x0
	v_cvt_f32_f16_e64 v171, v171
.LBB176_8:                              ;   in Loop: Header=BB176_3 Depth=1
	s_wait_alu 0xfffe
	s_or_b32 exec_lo, exec_lo, s3
	v_add_co_u32 v172, vcc_lo, v36, 1
	s_wait_alu 0xfffd
	v_add_co_ci_u32_e64 v173, null, 0, v37, vcc_lo
	s_delay_alu instid0(VALU_DEP_1) | instskip(SKIP_2) | instid1(SALU_CYCLE_1)
	v_cmp_gt_i64_e32 vcc_lo, s[4:5], v[172:173]
	v_dual_mov_b32 v172, 0 :: v_dual_mov_b32 v173, 0
	s_and_b32 s16, s2, vcc_lo
	s_and_saveexec_b32 s3, s16
	s_cbranch_execz .LBB176_10
; %bb.9:                                ;   in Loop: Header=BB176_3 Depth=1
	v_add_co_u32 v173, vcc_lo, v165, v34
	s_wait_alu 0xfffd
	v_add_co_ci_u32_e64 v174, null, v166, v35, vcc_lo
	v_add_co_u32 v175, vcc_lo, v167, v34
	s_wait_alu 0xfffd
	v_add_co_ci_u32_e64 v176, null, v168, v35, vcc_lo
	global_load_u16 v3, v[173:174], off
	global_load_u16 v173, v[175:176], off
	s_wait_loadcnt 0x1
	v_cvt_f32_f16_e32 v3, v3
	s_wait_loadcnt 0x0
	v_cvt_f32_f16_e64 v173, v173
.LBB176_10:                             ;   in Loop: Header=BB176_3 Depth=1
	s_wait_alu 0xfffe
	s_or_b32 exec_lo, exec_lo, s3
	v_add_co_u32 v174, vcc_lo, v36, 2
	s_wait_alu 0xfffd
	v_add_co_ci_u32_e64 v175, null, 0, v37, vcc_lo
	s_delay_alu instid0(VALU_DEP_1) | instskip(SKIP_1) | instid1(SALU_CYCLE_1)
	v_cmp_gt_i64_e32 vcc_lo, s[4:5], v[174:175]
	s_and_b32 s16, s2, vcc_lo
	s_and_saveexec_b32 s3, s16
	s_cbranch_execz .LBB176_12
; %bb.11:                               ;   in Loop: Header=BB176_3 Depth=1
	v_add_co_u32 v174, vcc_lo, v161, v34
	s_wait_alu 0xfffd
	v_add_co_ci_u32_e64 v175, null, v162, v35, vcc_lo
	v_add_co_u32 v176, vcc_lo, v163, v34
	s_wait_alu 0xfffd
	v_add_co_ci_u32_e64 v177, null, v164, v35, vcc_lo
	global_load_u16 v4, v[174:175], off
	global_load_u16 v172, v[176:177], off
	s_wait_loadcnt 0x1
	v_cvt_f32_f16_e32 v4, v4
	s_wait_loadcnt 0x0
	v_cvt_f32_f16_e64 v172, v172
.LBB176_12:                             ;   in Loop: Header=BB176_3 Depth=1
	s_wait_alu 0xfffe
	s_or_b32 exec_lo, exec_lo, s3
	v_add_co_u32 v174, vcc_lo, v36, 3
	s_wait_alu 0xfffd
	v_add_co_ci_u32_e64 v175, null, 0, v37, vcc_lo
	s_delay_alu instid0(VALU_DEP_1) | instskip(SKIP_2) | instid1(SALU_CYCLE_1)
	v_cmp_gt_i64_e32 vcc_lo, s[4:5], v[174:175]
	v_dual_mov_b32 v174, 0 :: v_dual_mov_b32 v175, 0
	s_and_b32 s16, s2, vcc_lo
	s_and_saveexec_b32 s3, s16
	s_cbranch_execz .LBB176_14
; %bb.13:                               ;   in Loop: Header=BB176_3 Depth=1
	v_add_co_u32 v175, vcc_lo, v157, v34
	s_wait_alu 0xfffd
	v_add_co_ci_u32_e64 v176, null, v158, v35, vcc_lo
	v_add_co_u32 v177, vcc_lo, v159, v34
	s_wait_alu 0xfffd
	v_add_co_ci_u32_e64 v178, null, v160, v35, vcc_lo
	global_load_u16 v5, v[175:176], off
	global_load_u16 v175, v[177:178], off
	s_wait_loadcnt 0x1
	v_cvt_f32_f16_e32 v5, v5
	s_wait_loadcnt 0x0
	v_cvt_f32_f16_e64 v175, v175
.LBB176_14:                             ;   in Loop: Header=BB176_3 Depth=1
	s_wait_alu 0xfffe
	s_or_b32 exec_lo, exec_lo, s3
	v_add_co_u32 v176, vcc_lo, v36, 4
	s_wait_alu 0xfffd
	v_add_co_ci_u32_e64 v177, null, 0, v37, vcc_lo
	s_delay_alu instid0(VALU_DEP_1) | instskip(SKIP_1) | instid1(SALU_CYCLE_1)
	v_cmp_gt_i64_e32 vcc_lo, s[4:5], v[176:177]
	s_and_b32 s16, s2, vcc_lo
	s_and_saveexec_b32 s3, s16
	s_cbranch_execz .LBB176_16
; %bb.15:                               ;   in Loop: Header=BB176_3 Depth=1
	v_add_co_u32 v176, vcc_lo, v153, v34
	s_wait_alu 0xfffd
	v_add_co_ci_u32_e64 v177, null, v154, v35, vcc_lo
	v_add_co_u32 v178, vcc_lo, v155, v34
	s_wait_alu 0xfffd
	v_add_co_ci_u32_e64 v179, null, v156, v35, vcc_lo
	global_load_u16 v6, v[176:177], off
	global_load_u16 v174, v[178:179], off
	s_wait_loadcnt 0x1
	v_cvt_f32_f16_e32 v6, v6
	s_wait_loadcnt 0x0
	v_cvt_f32_f16_e64 v174, v174
.LBB176_16:                             ;   in Loop: Header=BB176_3 Depth=1
	s_wait_alu 0xfffe
	s_or_b32 exec_lo, exec_lo, s3
	v_add_co_u32 v176, vcc_lo, v36, 5
	s_wait_alu 0xfffd
	v_add_co_ci_u32_e64 v177, null, 0, v37, vcc_lo
	s_delay_alu instid0(VALU_DEP_1) | instskip(SKIP_2) | instid1(SALU_CYCLE_1)
	v_cmp_gt_i64_e32 vcc_lo, s[4:5], v[176:177]
	v_dual_mov_b32 v176, 0 :: v_dual_mov_b32 v177, 0
	s_and_b32 s16, s2, vcc_lo
	s_and_saveexec_b32 s3, s16
	s_cbranch_execz .LBB176_18
; %bb.17:                               ;   in Loop: Header=BB176_3 Depth=1
	v_add_co_u32 v177, vcc_lo, v149, v34
	s_wait_alu 0xfffd
	v_add_co_ci_u32_e64 v178, null, v150, v35, vcc_lo
	v_add_co_u32 v179, vcc_lo, v151, v34
	s_wait_alu 0xfffd
	v_add_co_ci_u32_e64 v180, null, v152, v35, vcc_lo
	global_load_u16 v7, v[177:178], off
	global_load_u16 v177, v[179:180], off
	s_wait_loadcnt 0x1
	v_cvt_f32_f16_e32 v7, v7
	s_wait_loadcnt 0x0
	v_cvt_f32_f16_e64 v177, v177
.LBB176_18:                             ;   in Loop: Header=BB176_3 Depth=1
	;; [unrolled: 49-line block ×11, first 2 shown]
	s_wait_alu 0xfffe
	s_or_b32 exec_lo, exec_lo, s3
	v_add_co_u32 v196, vcc_lo, v36, 24
	s_wait_alu 0xfffd
	v_add_co_ci_u32_e64 v197, null, 0, v37, vcc_lo
	s_delay_alu instid0(VALU_DEP_1) | instskip(SKIP_1) | instid1(SALU_CYCLE_1)
	v_cmp_gt_i64_e32 vcc_lo, s[4:5], v[196:197]
	s_and_b32 s16, s2, vcc_lo
	s_and_saveexec_b32 s3, s16
	s_cbranch_execz .LBB176_56
; %bb.55:                               ;   in Loop: Header=BB176_3 Depth=1
	v_add_co_u32 v196, vcc_lo, v74, v34
	s_wait_alu 0xfffd
	v_add_co_ci_u32_e64 v197, null, v75, v35, vcc_lo
	v_add_co_u32 v198, vcc_lo, v76, v34
	s_wait_alu 0xfffd
	v_add_co_ci_u32_e64 v199, null, v77, v35, vcc_lo
	global_load_u16 v26, v[196:197], off
	global_load_u16 v194, v[198:199], off
	s_wait_loadcnt 0x1
	v_cvt_f32_f16_e32 v26, v26
	s_wait_loadcnt 0x0
	v_cvt_f32_f16_e64 v194, v194
.LBB176_56:                             ;   in Loop: Header=BB176_3 Depth=1
	s_wait_alu 0xfffe
	s_or_b32 exec_lo, exec_lo, s3
	v_add_co_u32 v196, vcc_lo, v36, 25
	s_wait_alu 0xfffd
	v_add_co_ci_u32_e64 v197, null, 0, v37, vcc_lo
	v_mov_b32_e32 v198, 0
	s_delay_alu instid0(VALU_DEP_2) | instskip(SKIP_2) | instid1(SALU_CYCLE_1)
	v_cmp_gt_i64_e32 vcc_lo, s[4:5], v[196:197]
	v_mov_b32_e32 v197, 0
	s_and_b32 s16, s2, vcc_lo
	s_and_saveexec_b32 s3, s16
	s_cbranch_execz .LBB176_58
; %bb.57:                               ;   in Loop: Header=BB176_3 Depth=1
	v_add_co_u32 v198, vcc_lo, v70, v34
	s_wait_alu 0xfffd
	v_add_co_ci_u32_e64 v199, null, v71, v35, vcc_lo
	v_add_co_u32 v200, vcc_lo, v72, v34
	s_wait_alu 0xfffd
	v_add_co_ci_u32_e64 v201, null, v73, v35, vcc_lo
	global_load_u16 v27, v[198:199], off
	global_load_u16 v196, v[200:201], off
	s_wait_loadcnt 0x1
	v_cvt_f32_f16_e32 v27, v27
	s_wait_loadcnt 0x0
	v_cvt_f32_f16_e64 v198, v196
.LBB176_58:                             ;   in Loop: Header=BB176_3 Depth=1
	s_wait_alu 0xfffe
	s_or_b32 exec_lo, exec_lo, s3
	v_add_co_u32 v199, vcc_lo, v36, 26
	s_wait_alu 0xfffd
	v_add_co_ci_u32_e64 v200, null, 0, v37, vcc_lo
	s_delay_alu instid0(VALU_DEP_1) | instskip(SKIP_1) | instid1(SALU_CYCLE_1)
	v_cmp_gt_i64_e32 vcc_lo, s[4:5], v[199:200]
	s_and_b32 s16, s2, vcc_lo
	s_and_saveexec_b32 s3, s16
	s_cbranch_execz .LBB176_60
; %bb.59:                               ;   in Loop: Header=BB176_3 Depth=1
	v_add_co_u32 v196, vcc_lo, v66, v34
	s_wait_alu 0xfffd
	v_add_co_ci_u32_e64 v197, null, v67, v35, vcc_lo
	v_add_co_u32 v199, vcc_lo, v68, v34
	s_wait_alu 0xfffd
	v_add_co_ci_u32_e64 v200, null, v69, v35, vcc_lo
	global_load_u16 v28, v[196:197], off
	global_load_u16 v196, v[199:200], off
	s_wait_loadcnt 0x1
	v_cvt_f32_f16_e32 v28, v28
	s_wait_loadcnt 0x0
	v_cvt_f32_f16_e64 v197, v196
.LBB176_60:                             ;   in Loop: Header=BB176_3 Depth=1
	s_wait_alu 0xfffe
	s_or_b32 exec_lo, exec_lo, s3
	v_add_co_u32 v199, vcc_lo, v36, 27
	s_wait_alu 0xfffd
	v_add_co_ci_u32_e64 v200, null, 0, v37, vcc_lo
	s_delay_alu instid0(VALU_DEP_1) | instskip(SKIP_2) | instid1(SALU_CYCLE_1)
	v_cmp_gt_i64_e32 vcc_lo, s[4:5], v[199:200]
	v_dual_mov_b32 v199, 0 :: v_dual_mov_b32 v200, 0
	s_and_b32 s16, s2, vcc_lo
	s_and_saveexec_b32 s3, s16
	s_cbranch_execz .LBB176_62
; %bb.61:                               ;   in Loop: Header=BB176_3 Depth=1
	v_add_co_u32 v200, vcc_lo, v62, v34
	s_wait_alu 0xfffd
	v_add_co_ci_u32_e64 v201, null, v63, v35, vcc_lo
	v_add_co_u32 v202, vcc_lo, v64, v34
	s_wait_alu 0xfffd
	v_add_co_ci_u32_e64 v203, null, v65, v35, vcc_lo
	global_load_u16 v29, v[200:201], off
	global_load_u16 v196, v[202:203], off
	s_wait_loadcnt 0x1
	v_cvt_f32_f16_e32 v29, v29
	s_wait_loadcnt 0x0
	v_cvt_f32_f16_e64 v200, v196
.LBB176_62:                             ;   in Loop: Header=BB176_3 Depth=1
	s_wait_alu 0xfffe
	s_or_b32 exec_lo, exec_lo, s3
	v_add_co_u32 v201, vcc_lo, v36, 28
	s_wait_alu 0xfffd
	v_add_co_ci_u32_e64 v202, null, 0, v37, vcc_lo
	s_delay_alu instid0(VALU_DEP_1) | instskip(SKIP_1) | instid1(SALU_CYCLE_1)
	v_cmp_gt_i64_e32 vcc_lo, s[4:5], v[201:202]
	s_and_b32 s16, s2, vcc_lo
	s_and_saveexec_b32 s3, s16
	s_cbranch_execz .LBB176_64
; %bb.63:                               ;   in Loop: Header=BB176_3 Depth=1
	v_add_co_u32 v201, vcc_lo, v58, v34
	s_wait_alu 0xfffd
	v_add_co_ci_u32_e64 v202, null, v59, v35, vcc_lo
	v_add_co_u32 v203, vcc_lo, v60, v34
	s_wait_alu 0xfffd
	v_add_co_ci_u32_e64 v204, null, v61, v35, vcc_lo
	global_load_u16 v30, v[201:202], off
	global_load_u16 v196, v[203:204], off
	s_wait_loadcnt 0x1
	v_cvt_f32_f16_e32 v30, v30
	s_wait_loadcnt 0x0
	v_cvt_f32_f16_e64 v199, v196
.LBB176_64:                             ;   in Loop: Header=BB176_3 Depth=1
	s_wait_alu 0xfffe
	s_or_b32 exec_lo, exec_lo, s3
	v_add_co_u32 v201, vcc_lo, v36, 29
	s_wait_alu 0xfffd
	v_add_co_ci_u32_e64 v202, null, 0, v37, vcc_lo
	v_mov_b32_e32 v203, 0
	s_delay_alu instid0(VALU_DEP_2) | instskip(SKIP_2) | instid1(SALU_CYCLE_1)
	v_cmp_gt_i64_e32 vcc_lo, s[4:5], v[201:202]
	v_mov_b32_e32 v201, 0
	s_and_b32 s16, s2, vcc_lo
	s_and_saveexec_b32 s3, s16
	s_cbranch_execz .LBB176_66
; %bb.65:                               ;   in Loop: Header=BB176_3 Depth=1
	v_add_co_u32 v202, vcc_lo, v54, v34
	s_wait_alu 0xfffd
	v_add_co_ci_u32_e64 v203, null, v55, v35, vcc_lo
	v_add_co_u32 v204, vcc_lo, v56, v34
	s_wait_alu 0xfffd
	v_add_co_ci_u32_e64 v205, null, v57, v35, vcc_lo
	global_load_u16 v31, v[202:203], off
	global_load_u16 v196, v[204:205], off
	s_wait_loadcnt 0x1
	v_cvt_f32_f16_e32 v31, v31
	s_wait_loadcnt 0x0
	v_cvt_f32_f16_e64 v203, v196
.LBB176_66:                             ;   in Loop: Header=BB176_3 Depth=1
	s_wait_alu 0xfffe
	s_or_b32 exec_lo, exec_lo, s3
	v_add_co_u32 v204, vcc_lo, v36, 30
	s_wait_alu 0xfffd
	v_add_co_ci_u32_e64 v205, null, 0, v37, vcc_lo
	s_delay_alu instid0(VALU_DEP_1) | instskip(SKIP_1) | instid1(SALU_CYCLE_1)
	v_cmp_gt_i64_e32 vcc_lo, s[4:5], v[204:205]
	s_and_b32 s16, s2, vcc_lo
	s_and_saveexec_b32 s3, s16
	s_cbranch_execz .LBB176_68
; %bb.67:                               ;   in Loop: Header=BB176_3 Depth=1
	v_add_co_u32 v201, vcc_lo, v50, v34
	s_wait_alu 0xfffd
	v_add_co_ci_u32_e64 v202, null, v51, v35, vcc_lo
	v_add_co_u32 v204, vcc_lo, v52, v34
	s_wait_alu 0xfffd
	v_add_co_ci_u32_e64 v205, null, v53, v35, vcc_lo
	global_load_u16 v32, v[201:202], off
	global_load_u16 v196, v[204:205], off
	s_wait_loadcnt 0x1
	v_cvt_f32_f16_e32 v32, v32
	s_wait_loadcnt 0x0
	v_cvt_f32_f16_e64 v201, v196
.LBB176_68:                             ;   in Loop: Header=BB176_3 Depth=1
	s_wait_alu 0xfffe
	s_or_b32 exec_lo, exec_lo, s3
	v_add_co_u32 v204, vcc_lo, v36, 31
	s_wait_alu 0xfffd
	v_add_co_ci_u32_e64 v205, null, 0, v37, vcc_lo
	v_mov_b32_e32 v196, 0
	s_delay_alu instid0(VALU_DEP_2) | instskip(SKIP_1) | instid1(SALU_CYCLE_1)
	v_cmp_gt_i64_e32 vcc_lo, s[4:5], v[204:205]
	s_and_b32 s16, s2, vcc_lo
	s_and_saveexec_b32 s3, s16
	s_cbranch_execz .LBB176_70
; %bb.69:                               ;   in Loop: Header=BB176_3 Depth=1
	v_add_co_u32 v204, vcc_lo, v46, v34
	s_wait_alu 0xfffd
	v_add_co_ci_u32_e64 v205, null, v47, v35, vcc_lo
	v_add_co_u32 v206, vcc_lo, v48, v34
	s_wait_alu 0xfffd
	v_add_co_ci_u32_e64 v207, null, v49, v35, vcc_lo
	global_load_u16 v33, v[204:205], off
	global_load_u16 v196, v[206:207], off
	s_wait_loadcnt 0x1
	v_cvt_f32_f16_e32 v33, v33
	s_wait_loadcnt 0x0
	v_cvt_f32_f16_e64 v196, v196
.LBB176_70:                             ;   in Loop: Header=BB176_3 Depth=1
	s_wait_alu 0xfffe
	s_or_b32 exec_lo, exec_lo, s3
	s_wait_loadcnt 0x0
	ds_bpermute_b32 v202, v1, v170
	ds_bpermute_b32 v204, v1, v170 offset:4
	ds_bpermute_b32 v205, v1, v170 offset:8
	v_dual_mul_f32 v2, v171, v2 :: v_dual_mul_f32 v3, v173, v3
	ds_bpermute_b32 v171, v1, v170 offset:12
	ds_bpermute_b32 v173, v1, v170 offset:16
	s_mov_b32 s3, 0
	s_wait_dscnt 0x4
	v_fma_f32 v202, v2, v202, v169
	v_mul_f32_e32 v2, v172, v4
	ds_bpermute_b32 v4, v1, v170 offset:20
	s_wait_dscnt 0x4
	v_fmac_f32_e32 v202, v3, v204
	v_mul_f32_e32 v3, v175, v5
	ds_bpermute_b32 v5, v1, v170 offset:24
	s_wait_dscnt 0x4
	v_fmac_f32_e32 v202, v2, v205
	;; [unrolled: 4-line block ×6, first 2 shown]
	v_mul_f32_e32 v2, v178, v10
	ds_bpermute_b32 v5, v1, v170 offset:44
	s_wait_dscnt 0x4
	v_dual_fmac_f32 v202, v3, v6 :: v_dual_mul_f32 v3, v181, v11
	ds_bpermute_b32 v6, v1, v170 offset:48
	s_wait_dscnt 0x4
	v_fmac_f32_e32 v202, v2, v7
	v_mul_f32_e32 v2, v180, v12
	ds_bpermute_b32 v7, v1, v170 offset:52
	s_wait_dscnt 0x4
	v_fmac_f32_e32 v202, v3, v8
	v_mul_f32_e32 v3, v183, v13
	ds_bpermute_b32 v8, v1, v170 offset:56
	s_wait_dscnt 0x4
	v_fmac_f32_e32 v202, v2, v4
	v_mul_f32_e32 v2, v182, v14
	ds_bpermute_b32 v4, v1, v170 offset:60
	s_wait_dscnt 0x4
	v_dual_fmac_f32 v202, v3, v5 :: v_dual_mul_f32 v3, v185, v15
	ds_bpermute_b32 v5, v1, v170 offset:64
	s_wait_dscnt 0x4
	v_fmac_f32_e32 v202, v2, v6
	v_mul_f32_e32 v2, v184, v16
	ds_bpermute_b32 v6, v1, v170 offset:68
	s_wait_dscnt 0x4
	v_fmac_f32_e32 v202, v3, v7
	v_mul_f32_e32 v3, v187, v17
	ds_bpermute_b32 v7, v1, v170 offset:72
	s_wait_dscnt 0x4
	v_fmac_f32_e32 v202, v2, v8
	;; [unrolled: 15-line block ×4, first 2 shown]
	v_mul_f32_e32 v2, v194, v26
	ds_bpermute_b32 v6, v1, v170 offset:108
	s_wait_dscnt 0x4
	v_fmac_f32_e32 v202, v3, v7
	v_mul_f32_e32 v3, v198, v27
	ds_bpermute_b32 v7, v1, v170 offset:112
	s_wait_dscnt 0x4
	v_fmac_f32_e32 v202, v2, v8
	v_mul_f32_e32 v2, v197, v28
	ds_bpermute_b32 v8, v1, v170 offset:116
	s_wait_dscnt 0x4
	v_dual_fmac_f32 v202, v3, v4 :: v_dual_mul_f32 v3, v200, v29
	ds_bpermute_b32 v4, v1, v170 offset:120
	s_wait_dscnt 0x4
	v_dual_fmac_f32 v202, v2, v5 :: v_dual_mul_f32 v5, v199, v30
	ds_bpermute_b32 v2, v1, v170 offset:124
	s_wait_dscnt 0x4
	v_fmac_f32_e32 v202, v3, v6
	v_mul_f32_e32 v3, v203, v31
	s_wait_dscnt 0x3
	s_delay_alu instid0(VALU_DEP_2) | instskip(SKIP_1) | instid1(VALU_DEP_1)
	v_fmac_f32_e32 v202, v5, v7
	s_wait_dscnt 0x2
	v_fmac_f32_e32 v202, v3, v8
	v_mul_f32_e32 v3, v201, v32
	s_wait_dscnt 0x1
	s_delay_alu instid0(VALU_DEP_1)
	v_fmac_f32_e32 v202, v3, v4
.LBB176_71:                             ;   in Loop: Header=BB176_3 Depth=1
	s_wait_alu 0xfffe
	s_and_b32 vcc_lo, exec_lo, s3
	s_wait_alu 0xfffe
	s_cbranch_vccz .LBB176_137
; %bb.72:                               ;   in Loop: Header=BB176_3 Depth=1
	s_load_b32 s3, s[18:19], 0x0
	s_wait_kmcnt 0x0
	s_cmp_lt_u32 ttmp9, s3
	s_cselect_b32 s16, 12, 18
	s_delay_alu instid0(SALU_CYCLE_1)
	s_add_nc_u64 s[30:31], s[18:19], s[16:17]
	s_load_u16 s3, s[30:31], 0x0
	s_wait_dscnt 0x0
	s_wait_kmcnt 0x0
	v_mad_u32_u24 v2, v38, s3, v40
	s_mov_b32 s3, exec_lo
	s_delay_alu instid0(VALU_DEP_1) | instskip(NEXT) | instid1(VALU_DEP_1)
	v_and_b32_e32 v2, 31, v2
	v_add_co_u32 v2, vcc_lo, v36, v2
	s_wait_alu 0xfffd
	v_add_co_ci_u32_e64 v3, null, 0, v37, vcc_lo
	v_dual_mov_b32 v37, 0 :: v_dual_mov_b32 v36, 0
	s_delay_alu instid0(VALU_DEP_2)
	v_cmpx_gt_i64_e64 s[4:5], v[2:3]
	s_cbranch_execz .LBB176_74
; %bb.73:                               ;   in Loop: Header=BB176_3 Depth=1
	v_lshlrev_b64_e32 v[2:3], 2, v[2:3]
	s_delay_alu instid0(VALU_DEP_1) | instskip(SKIP_1) | instid1(VALU_DEP_2)
	v_add_co_u32 v2, vcc_lo, s12, v2
	s_wait_alu 0xfffd
	v_add_co_ci_u32_e64 v3, null, s13, v3, vcc_lo
	global_load_b32 v36, v[2:3], off
.LBB176_74:                             ;   in Loop: Header=BB176_3 Depth=1
	s_wait_alu 0xfffe
	s_or_b32 exec_lo, exec_lo, s3
	v_mov_b32_e32 v32, v1
	v_dual_mov_b32 v2, v1 :: v_dual_mov_b32 v3, v1
	v_dual_mov_b32 v4, v1 :: v_dual_mov_b32 v5, v1
	;; [unrolled: 1-line block ×15, first 2 shown]
	v_mov_b32_e32 v33, v32
	s_delay_alu instid0(VALU_DEP_2) | instskip(NEXT) | instid1(VALU_DEP_3)
	v_mov_b32_e32 v32, v31
	v_mov_b32_e32 v31, v30
	v_mov_b32_e32 v30, v29
	v_mov_b32_e32 v29, v28
	v_mov_b32_e32 v28, v27
	v_mov_b32_e32 v27, v26
	v_mov_b32_e32 v26, v25
	v_mov_b32_e32 v25, v24
	v_mov_b32_e32 v24, v23
	v_mov_b32_e32 v23, v22
	v_mov_b32_e32 v22, v21
	v_mov_b32_e32 v21, v20
	v_mov_b32_e32 v20, v19
	v_mov_b32_e32 v19, v18
	v_mov_b32_e32 v18, v17
	v_mov_b32_e32 v17, v16
	v_mov_b32_e32 v16, v15
	v_mov_b32_e32 v15, v14
	v_mov_b32_e32 v14, v13
	v_mov_b32_e32 v13, v12
	v_mov_b32_e32 v12, v11
	v_mov_b32_e32 v11, v10
	v_mov_b32_e32 v10, v9
	v_mov_b32_e32 v9, v8
	v_mov_b32_e32 v8, v7
	v_mov_b32_e32 v7, v6
	v_mov_b32_e32 v6, v5
	v_mov_b32_e32 v5, v4
	v_mov_b32_e32 v4, v3
	v_mov_b32_e32 v3, v2
	v_mov_b32_e32 v2, v1
	s_and_saveexec_b32 s3, s2
	s_cbranch_execz .LBB176_76
; %bb.75:                               ;   in Loop: Header=BB176_3 Depth=1
	v_add_co_u32 v2, vcc_lo, v42, v34
	s_wait_alu 0xfffd
	v_add_co_ci_u32_e64 v3, null, v43, v35, vcc_lo
	v_add_co_u32 v4, vcc_lo, v44, v34
	s_wait_alu 0xfffd
	v_add_co_ci_u32_e64 v5, null, v45, v35, vcc_lo
	global_load_u16 v2, v[2:3], off
	global_load_u16 v37, v[4:5], off
	v_dual_mov_b32 v3, v1 :: v_dual_mov_b32 v4, v1
	v_dual_mov_b32 v5, v1 :: v_dual_mov_b32 v6, v1
	;; [unrolled: 1-line block ×15, first 2 shown]
	v_mov_b32_e32 v33, v1
	s_wait_loadcnt 0x1
	v_cvt_f32_f16_e32 v2, v2
	s_wait_loadcnt 0x0
	v_cvt_f32_f16_e32 v37, v37
.LBB176_76:                             ;   in Loop: Header=BB176_3 Depth=1
	s_wait_alu 0xfffe
	s_or_b32 exec_lo, exec_lo, s3
	v_dual_mov_b32 v170, 0 :: v_dual_mov_b32 v171, 0
	s_and_saveexec_b32 s3, s2
	s_cbranch_execz .LBB176_78
; %bb.77:                               ;   in Loop: Header=BB176_3 Depth=1
	v_add_co_u32 v171, vcc_lo, v165, v34
	s_wait_alu 0xfffd
	v_add_co_ci_u32_e64 v172, null, v166, v35, vcc_lo
	v_add_co_u32 v173, vcc_lo, v167, v34
	s_wait_alu 0xfffd
	v_add_co_ci_u32_e64 v174, null, v168, v35, vcc_lo
	global_load_u16 v3, v[171:172], off
	global_load_u16 v171, v[173:174], off
	s_wait_loadcnt 0x1
	v_cvt_f32_f16_e32 v3, v3
	s_wait_loadcnt 0x0
	v_cvt_f32_f16_e64 v171, v171
.LBB176_78:                             ;   in Loop: Header=BB176_3 Depth=1
	s_wait_alu 0xfffe
	s_or_b32 exec_lo, exec_lo, s3
	s_and_saveexec_b32 s3, s2
	s_cbranch_execz .LBB176_80
; %bb.79:                               ;   in Loop: Header=BB176_3 Depth=1
	v_add_co_u32 v172, vcc_lo, v161, v34
	s_wait_alu 0xfffd
	v_add_co_ci_u32_e64 v173, null, v162, v35, vcc_lo
	v_add_co_u32 v174, vcc_lo, v163, v34
	s_wait_alu 0xfffd
	v_add_co_ci_u32_e64 v175, null, v164, v35, vcc_lo
	global_load_u16 v4, v[172:173], off
	global_load_u16 v170, v[174:175], off
	s_wait_loadcnt 0x1
	v_cvt_f32_f16_e32 v4, v4
	s_wait_loadcnt 0x0
	v_cvt_f32_f16_e64 v170, v170
.LBB176_80:                             ;   in Loop: Header=BB176_3 Depth=1
	s_wait_alu 0xfffe
	s_or_b32 exec_lo, exec_lo, s3
	v_dual_mov_b32 v172, 0 :: v_dual_mov_b32 v173, 0
	s_and_saveexec_b32 s3, s2
	s_cbranch_execz .LBB176_82
; %bb.81:                               ;   in Loop: Header=BB176_3 Depth=1
	v_add_co_u32 v173, vcc_lo, v157, v34
	s_wait_alu 0xfffd
	v_add_co_ci_u32_e64 v174, null, v158, v35, vcc_lo
	v_add_co_u32 v175, vcc_lo, v159, v34
	s_wait_alu 0xfffd
	v_add_co_ci_u32_e64 v176, null, v160, v35, vcc_lo
	global_load_u16 v5, v[173:174], off
	global_load_u16 v173, v[175:176], off
	s_wait_loadcnt 0x1
	v_cvt_f32_f16_e32 v5, v5
	s_wait_loadcnt 0x0
	v_cvt_f32_f16_e64 v173, v173
.LBB176_82:                             ;   in Loop: Header=BB176_3 Depth=1
	s_wait_alu 0xfffe
	s_or_b32 exec_lo, exec_lo, s3
	s_and_saveexec_b32 s3, s2
	s_cbranch_execz .LBB176_84
; %bb.83:                               ;   in Loop: Header=BB176_3 Depth=1
	v_add_co_u32 v174, vcc_lo, v153, v34
	s_wait_alu 0xfffd
	v_add_co_ci_u32_e64 v175, null, v154, v35, vcc_lo
	v_add_co_u32 v176, vcc_lo, v155, v34
	s_wait_alu 0xfffd
	v_add_co_ci_u32_e64 v177, null, v156, v35, vcc_lo
	global_load_u16 v6, v[174:175], off
	global_load_u16 v172, v[176:177], off
	s_wait_loadcnt 0x1
	v_cvt_f32_f16_e32 v6, v6
	s_wait_loadcnt 0x0
	v_cvt_f32_f16_e64 v172, v172
.LBB176_84:                             ;   in Loop: Header=BB176_3 Depth=1
	s_wait_alu 0xfffe
	s_or_b32 exec_lo, exec_lo, s3
	v_dual_mov_b32 v174, 0 :: v_dual_mov_b32 v175, 0
	s_and_saveexec_b32 s3, s2
	s_cbranch_execz .LBB176_86
; %bb.85:                               ;   in Loop: Header=BB176_3 Depth=1
	v_add_co_u32 v175, vcc_lo, v149, v34
	s_wait_alu 0xfffd
	v_add_co_ci_u32_e64 v176, null, v150, v35, vcc_lo
	v_add_co_u32 v177, vcc_lo, v151, v34
	s_wait_alu 0xfffd
	v_add_co_ci_u32_e64 v178, null, v152, v35, vcc_lo
	global_load_u16 v7, v[175:176], off
	global_load_u16 v175, v[177:178], off
	s_wait_loadcnt 0x1
	v_cvt_f32_f16_e32 v7, v7
	s_wait_loadcnt 0x0
	v_cvt_f32_f16_e64 v175, v175
.LBB176_86:                             ;   in Loop: Header=BB176_3 Depth=1
	s_wait_alu 0xfffe
	s_or_b32 exec_lo, exec_lo, s3
	s_and_saveexec_b32 s3, s2
	s_cbranch_execz .LBB176_88
; %bb.87:                               ;   in Loop: Header=BB176_3 Depth=1
	v_add_co_u32 v176, vcc_lo, v145, v34
	s_wait_alu 0xfffd
	v_add_co_ci_u32_e64 v177, null, v146, v35, vcc_lo
	v_add_co_u32 v178, vcc_lo, v147, v34
	s_wait_alu 0xfffd
	v_add_co_ci_u32_e64 v179, null, v148, v35, vcc_lo
	global_load_u16 v8, v[176:177], off
	global_load_u16 v174, v[178:179], off
	s_wait_loadcnt 0x1
	v_cvt_f32_f16_e32 v8, v8
	s_wait_loadcnt 0x0
	v_cvt_f32_f16_e64 v174, v174
.LBB176_88:                             ;   in Loop: Header=BB176_3 Depth=1
	s_wait_alu 0xfffe
	s_or_b32 exec_lo, exec_lo, s3
	v_dual_mov_b32 v176, 0 :: v_dual_mov_b32 v177, 0
	s_and_saveexec_b32 s3, s2
	s_cbranch_execz .LBB176_90
; %bb.89:                               ;   in Loop: Header=BB176_3 Depth=1
	v_add_co_u32 v177, vcc_lo, v141, v34
	s_wait_alu 0xfffd
	v_add_co_ci_u32_e64 v178, null, v142, v35, vcc_lo
	v_add_co_u32 v179, vcc_lo, v143, v34
	s_wait_alu 0xfffd
	v_add_co_ci_u32_e64 v180, null, v144, v35, vcc_lo
	global_load_u16 v9, v[177:178], off
	global_load_u16 v177, v[179:180], off
	s_wait_loadcnt 0x1
	v_cvt_f32_f16_e32 v9, v9
	s_wait_loadcnt 0x0
	v_cvt_f32_f16_e64 v177, v177
.LBB176_90:                             ;   in Loop: Header=BB176_3 Depth=1
	s_wait_alu 0xfffe
	s_or_b32 exec_lo, exec_lo, s3
	s_and_saveexec_b32 s3, s2
	s_cbranch_execz .LBB176_92
; %bb.91:                               ;   in Loop: Header=BB176_3 Depth=1
	v_add_co_u32 v178, vcc_lo, v137, v34
	s_wait_alu 0xfffd
	v_add_co_ci_u32_e64 v179, null, v138, v35, vcc_lo
	v_add_co_u32 v180, vcc_lo, v139, v34
	s_wait_alu 0xfffd
	v_add_co_ci_u32_e64 v181, null, v140, v35, vcc_lo
	global_load_u16 v10, v[178:179], off
	global_load_u16 v176, v[180:181], off
	s_wait_loadcnt 0x1
	v_cvt_f32_f16_e32 v10, v10
	s_wait_loadcnt 0x0
	v_cvt_f32_f16_e64 v176, v176
.LBB176_92:                             ;   in Loop: Header=BB176_3 Depth=1
	s_wait_alu 0xfffe
	s_or_b32 exec_lo, exec_lo, s3
	v_dual_mov_b32 v178, 0 :: v_dual_mov_b32 v179, 0
	s_and_saveexec_b32 s3, s2
	s_cbranch_execz .LBB176_94
; %bb.93:                               ;   in Loop: Header=BB176_3 Depth=1
	v_add_co_u32 v179, vcc_lo, v133, v34
	s_wait_alu 0xfffd
	v_add_co_ci_u32_e64 v180, null, v134, v35, vcc_lo
	v_add_co_u32 v181, vcc_lo, v135, v34
	s_wait_alu 0xfffd
	v_add_co_ci_u32_e64 v182, null, v136, v35, vcc_lo
	global_load_u16 v11, v[179:180], off
	global_load_u16 v179, v[181:182], off
	s_wait_loadcnt 0x1
	v_cvt_f32_f16_e32 v11, v11
	s_wait_loadcnt 0x0
	v_cvt_f32_f16_e64 v179, v179
.LBB176_94:                             ;   in Loop: Header=BB176_3 Depth=1
	s_wait_alu 0xfffe
	s_or_b32 exec_lo, exec_lo, s3
	s_and_saveexec_b32 s3, s2
	s_cbranch_execz .LBB176_96
; %bb.95:                               ;   in Loop: Header=BB176_3 Depth=1
	v_add_co_u32 v180, vcc_lo, v129, v34
	s_wait_alu 0xfffd
	v_add_co_ci_u32_e64 v181, null, v130, v35, vcc_lo
	v_add_co_u32 v182, vcc_lo, v131, v34
	s_wait_alu 0xfffd
	v_add_co_ci_u32_e64 v183, null, v132, v35, vcc_lo
	global_load_u16 v12, v[180:181], off
	global_load_u16 v178, v[182:183], off
	s_wait_loadcnt 0x1
	v_cvt_f32_f16_e32 v12, v12
	s_wait_loadcnt 0x0
	v_cvt_f32_f16_e64 v178, v178
.LBB176_96:                             ;   in Loop: Header=BB176_3 Depth=1
	s_wait_alu 0xfffe
	s_or_b32 exec_lo, exec_lo, s3
	v_dual_mov_b32 v180, 0 :: v_dual_mov_b32 v181, 0
	s_and_saveexec_b32 s3, s2
	s_cbranch_execz .LBB176_98
; %bb.97:                               ;   in Loop: Header=BB176_3 Depth=1
	v_add_co_u32 v181, vcc_lo, v125, v34
	s_wait_alu 0xfffd
	v_add_co_ci_u32_e64 v182, null, v126, v35, vcc_lo
	v_add_co_u32 v183, vcc_lo, v127, v34
	s_wait_alu 0xfffd
	v_add_co_ci_u32_e64 v184, null, v128, v35, vcc_lo
	global_load_u16 v13, v[181:182], off
	global_load_u16 v181, v[183:184], off
	s_wait_loadcnt 0x1
	v_cvt_f32_f16_e32 v13, v13
	s_wait_loadcnt 0x0
	v_cvt_f32_f16_e64 v181, v181
.LBB176_98:                             ;   in Loop: Header=BB176_3 Depth=1
	s_wait_alu 0xfffe
	s_or_b32 exec_lo, exec_lo, s3
	s_and_saveexec_b32 s3, s2
	s_cbranch_execz .LBB176_100
; %bb.99:                               ;   in Loop: Header=BB176_3 Depth=1
	v_add_co_u32 v182, vcc_lo, v121, v34
	s_wait_alu 0xfffd
	v_add_co_ci_u32_e64 v183, null, v122, v35, vcc_lo
	v_add_co_u32 v184, vcc_lo, v123, v34
	s_wait_alu 0xfffd
	v_add_co_ci_u32_e64 v185, null, v124, v35, vcc_lo
	global_load_u16 v14, v[182:183], off
	global_load_u16 v180, v[184:185], off
	s_wait_loadcnt 0x1
	v_cvt_f32_f16_e32 v14, v14
	s_wait_loadcnt 0x0
	v_cvt_f32_f16_e64 v180, v180
.LBB176_100:                            ;   in Loop: Header=BB176_3 Depth=1
	s_wait_alu 0xfffe
	s_or_b32 exec_lo, exec_lo, s3
	v_dual_mov_b32 v182, 0 :: v_dual_mov_b32 v183, 0
	s_and_saveexec_b32 s3, s2
	s_cbranch_execz .LBB176_102
; %bb.101:                              ;   in Loop: Header=BB176_3 Depth=1
	v_add_co_u32 v183, vcc_lo, v117, v34
	s_wait_alu 0xfffd
	v_add_co_ci_u32_e64 v184, null, v118, v35, vcc_lo
	v_add_co_u32 v185, vcc_lo, v119, v34
	s_wait_alu 0xfffd
	v_add_co_ci_u32_e64 v186, null, v120, v35, vcc_lo
	global_load_u16 v15, v[183:184], off
	global_load_u16 v183, v[185:186], off
	s_wait_loadcnt 0x1
	v_cvt_f32_f16_e32 v15, v15
	s_wait_loadcnt 0x0
	v_cvt_f32_f16_e64 v183, v183
.LBB176_102:                            ;   in Loop: Header=BB176_3 Depth=1
	s_wait_alu 0xfffe
	s_or_b32 exec_lo, exec_lo, s3
	s_and_saveexec_b32 s3, s2
	s_cbranch_execz .LBB176_104
; %bb.103:                              ;   in Loop: Header=BB176_3 Depth=1
	v_add_co_u32 v184, vcc_lo, v113, v34
	s_wait_alu 0xfffd
	v_add_co_ci_u32_e64 v185, null, v114, v35, vcc_lo
	v_add_co_u32 v186, vcc_lo, v115, v34
	s_wait_alu 0xfffd
	v_add_co_ci_u32_e64 v187, null, v116, v35, vcc_lo
	global_load_u16 v16, v[184:185], off
	global_load_u16 v182, v[186:187], off
	s_wait_loadcnt 0x1
	v_cvt_f32_f16_e32 v16, v16
	s_wait_loadcnt 0x0
	v_cvt_f32_f16_e64 v182, v182
.LBB176_104:                            ;   in Loop: Header=BB176_3 Depth=1
	s_wait_alu 0xfffe
	s_or_b32 exec_lo, exec_lo, s3
	v_dual_mov_b32 v184, 0 :: v_dual_mov_b32 v185, 0
	s_and_saveexec_b32 s3, s2
	s_cbranch_execz .LBB176_106
; %bb.105:                              ;   in Loop: Header=BB176_3 Depth=1
	v_add_co_u32 v185, vcc_lo, v109, v34
	s_wait_alu 0xfffd
	v_add_co_ci_u32_e64 v186, null, v110, v35, vcc_lo
	v_add_co_u32 v187, vcc_lo, v111, v34
	s_wait_alu 0xfffd
	v_add_co_ci_u32_e64 v188, null, v112, v35, vcc_lo
	global_load_u16 v17, v[185:186], off
	global_load_u16 v185, v[187:188], off
	s_wait_loadcnt 0x1
	v_cvt_f32_f16_e32 v17, v17
	s_wait_loadcnt 0x0
	v_cvt_f32_f16_e64 v185, v185
.LBB176_106:                            ;   in Loop: Header=BB176_3 Depth=1
	s_wait_alu 0xfffe
	s_or_b32 exec_lo, exec_lo, s3
	s_and_saveexec_b32 s3, s2
	s_cbranch_execz .LBB176_108
; %bb.107:                              ;   in Loop: Header=BB176_3 Depth=1
	v_add_co_u32 v186, vcc_lo, v105, v34
	s_wait_alu 0xfffd
	v_add_co_ci_u32_e64 v187, null, v106, v35, vcc_lo
	v_add_co_u32 v188, vcc_lo, v107, v34
	s_wait_alu 0xfffd
	v_add_co_ci_u32_e64 v189, null, v108, v35, vcc_lo
	global_load_u16 v18, v[186:187], off
	global_load_u16 v184, v[188:189], off
	s_wait_loadcnt 0x1
	v_cvt_f32_f16_e32 v18, v18
	s_wait_loadcnt 0x0
	v_cvt_f32_f16_e64 v184, v184
.LBB176_108:                            ;   in Loop: Header=BB176_3 Depth=1
	;; [unrolled: 37-line block ×8, first 2 shown]
	s_wait_alu 0xfffe
	s_or_b32 exec_lo, exec_lo, s3
	v_dual_mov_b32 v199, 0 :: v_dual_mov_b32 v200, 0
	s_and_saveexec_b32 s3, s2
	s_cbranch_execnz .LBB176_139
; %bb.133:                              ;   in Loop: Header=BB176_3 Depth=1
	s_wait_alu 0xfffe
	s_or_b32 exec_lo, exec_lo, s3
	s_and_saveexec_b32 s3, s2
	s_cbranch_execnz .LBB176_140
.LBB176_134:                            ;   in Loop: Header=BB176_3 Depth=1
	s_wait_alu 0xfffe
	s_or_b32 exec_lo, exec_lo, s3
	v_mov_b32_e32 v196, 0
	s_and_saveexec_b32 s3, s2
	s_cbranch_execz .LBB176_136
.LBB176_135:                            ;   in Loop: Header=BB176_3 Depth=1
	v_add_co_u32 v201, vcc_lo, v46, v34
	s_wait_alu 0xfffd
	v_add_co_ci_u32_e64 v202, null, v47, v35, vcc_lo
	v_add_co_u32 v203, vcc_lo, v48, v34
	s_wait_alu 0xfffd
	v_add_co_ci_u32_e64 v204, null, v49, v35, vcc_lo
	global_load_u16 v33, v[201:202], off
	global_load_u16 v196, v[203:204], off
	s_wait_loadcnt 0x1
	v_cvt_f32_f16_e32 v33, v33
	s_wait_loadcnt 0x0
	v_cvt_f32_f16_e64 v196, v196
.LBB176_136:                            ;   in Loop: Header=BB176_3 Depth=1
	s_wait_alu 0xfffe
	s_or_b32 exec_lo, exec_lo, s3
	s_wait_loadcnt 0x0
	ds_bpermute_b32 v201, v1, v36
	ds_bpermute_b32 v202, v1, v36 offset:4
	ds_bpermute_b32 v203, v1, v36 offset:8
	v_dual_mul_f32 v2, v37, v2 :: v_dual_mul_f32 v3, v171, v3
	ds_bpermute_b32 v37, v1, v36 offset:12
	ds_bpermute_b32 v171, v1, v36 offset:16
	s_wait_dscnt 0x4
	v_fmac_f32_e32 v169, v2, v201
	v_mul_f32_e32 v2, v170, v4
	ds_bpermute_b32 v4, v1, v36 offset:20
	s_wait_dscnt 0x4
	v_fmac_f32_e32 v169, v3, v202
	v_mul_f32_e32 v3, v173, v5
	ds_bpermute_b32 v5, v1, v36 offset:24
	s_wait_dscnt 0x4
	v_dual_fmac_f32 v169, v2, v203 :: v_dual_mul_f32 v2, v172, v6
	ds_bpermute_b32 v6, v1, v36 offset:28
	s_wait_dscnt 0x4
	v_fmac_f32_e32 v169, v3, v37
	v_mul_f32_e32 v3, v175, v7
	ds_bpermute_b32 v7, v1, v36 offset:32
	s_wait_dscnt 0x4
	v_fmac_f32_e32 v169, v2, v171
	v_mul_f32_e32 v2, v174, v8
	ds_bpermute_b32 v8, v1, v36 offset:36
	s_wait_dscnt 0x4
	v_fmac_f32_e32 v169, v3, v4
	v_mul_f32_e32 v3, v177, v9
	ds_bpermute_b32 v4, v1, v36 offset:40
	s_wait_dscnt 0x4
	v_dual_fmac_f32 v169, v2, v5 :: v_dual_mul_f32 v2, v176, v10
	ds_bpermute_b32 v5, v1, v36 offset:44
	s_wait_dscnt 0x4
	v_fmac_f32_e32 v169, v3, v6
	v_mul_f32_e32 v3, v179, v11
	;; [unrolled: 15-line block ×5, first 2 shown]
	ds_bpermute_b32 v8, v1, v36 offset:96
	s_wait_dscnt 0x4
	v_fmac_f32_e32 v169, v2, v4
	v_mul_f32_e32 v2, v190, v24
	ds_bpermute_b32 v4, v1, v36 offset:100
	s_wait_dscnt 0x4
	v_fmac_f32_e32 v169, v3, v5
	v_mul_f32_e32 v3, v193, v25
	ds_bpermute_b32 v5, v1, v36 offset:104
	s_wait_dscnt 0x4
	v_fmac_f32_e32 v169, v2, v6
	v_mul_f32_e32 v2, v192, v26
	ds_bpermute_b32 v6, v1, v36 offset:108
	s_wait_dscnt 0x4
	v_fmac_f32_e32 v169, v3, v7
	v_mul_f32_e32 v3, v195, v27
	ds_bpermute_b32 v7, v1, v36 offset:112
	s_wait_dscnt 0x4
	v_fmac_f32_e32 v169, v2, v8
	v_mul_f32_e32 v2, v194, v28
	ds_bpermute_b32 v8, v1, v36 offset:116
	s_wait_dscnt 0x4
	v_fmac_f32_e32 v169, v3, v4
	v_mul_f32_e32 v3, v198, v29
	ds_bpermute_b32 v4, v1, v36 offset:120
	s_wait_dscnt 0x4
	v_dual_fmac_f32 v169, v2, v5 :: v_dual_mul_f32 v2, v197, v30
	s_wait_dscnt 0x3
	s_delay_alu instid0(VALU_DEP_1) | instskip(SKIP_2) | instid1(VALU_DEP_2)
	v_fmac_f32_e32 v169, v3, v6
	v_mul_f32_e32 v3, v200, v31
	s_wait_dscnt 0x2
	v_fmac_f32_e32 v169, v2, v7
	ds_bpermute_b32 v2, v1, v36 offset:124
	s_wait_dscnt 0x2
	v_fmac_f32_e32 v169, v3, v8
	v_mul_f32_e32 v3, v199, v32
	s_wait_dscnt 0x1
	s_delay_alu instid0(VALU_DEP_1) | instskip(NEXT) | instid1(VALU_DEP_1)
	v_fmac_f32_e32 v169, v3, v4
	v_mov_b32_e32 v202, v169
.LBB176_137:                            ;   in Loop: Header=BB176_3 Depth=1
	v_add_co_u32 v42, vcc_lo, v42, s22
	s_wait_alu 0xfffd
	v_add_co_ci_u32_e64 v43, null, s23, v43, vcc_lo
	v_add_co_u32 v44, vcc_lo, v44, s22
	s_wait_alu 0xfffd
	v_add_co_ci_u32_e64 v45, null, s23, v45, vcc_lo
	;; [unrolled: 3-line block ×62, first 2 shown]
	v_add_co_u32 v165, vcc_lo, v165, s22
	v_mul_f32_e32 v3, v196, v33
	s_add_nc_u64 s[26:27], s[26:27], s[20:21]
	s_wait_alu 0xfffd
	v_add_co_ci_u32_e64 v166, null, s23, v166, vcc_lo
	v_add_co_u32 v167, vcc_lo, v167, s22
	s_wait_alu 0xfffe
	v_cmp_lt_i64_e64 s3, s[26:27], s[4:5]
	s_wait_alu 0xfffd
	v_add_co_ci_u32_e64 v168, null, s23, v168, vcc_lo
	v_add_co_u32 v39, vcc_lo, v39, s20
	s_wait_dscnt 0x0
	v_fmac_f32_e32 v202, v3, v2
	s_wait_alu 0xfffd
	v_add_co_ci_u32_e64 v41, null, 0, v41, vcc_lo
	s_and_b32 vcc_lo, exec_lo, s3
	s_add_nc_u64 s[24:25], s[24:25], s[20:21]
	s_wait_alu 0xfffe
	s_cbranch_vccz .LBB176_142
; %bb.138:                              ;   in Loop: Header=BB176_3 Depth=1
	v_mov_b32_e32 v169, v202
	s_branch .LBB176_3
.LBB176_139:                            ;   in Loop: Header=BB176_3 Depth=1
	v_add_co_u32 v200, vcc_lo, v54, v34
	s_wait_alu 0xfffd
	v_add_co_ci_u32_e64 v201, null, v55, v35, vcc_lo
	v_add_co_u32 v202, vcc_lo, v56, v34
	s_wait_alu 0xfffd
	v_add_co_ci_u32_e64 v203, null, v57, v35, vcc_lo
	global_load_u16 v31, v[200:201], off
	global_load_u16 v196, v[202:203], off
	s_wait_loadcnt 0x1
	v_cvt_f32_f16_e32 v31, v31
	s_wait_loadcnt 0x0
	v_cvt_f32_f16_e64 v200, v196
	s_wait_alu 0xfffe
	s_or_b32 exec_lo, exec_lo, s3
	s_and_saveexec_b32 s3, s2
	s_cbranch_execz .LBB176_134
.LBB176_140:                            ;   in Loop: Header=BB176_3 Depth=1
	v_add_co_u32 v201, vcc_lo, v50, v34
	s_wait_alu 0xfffd
	v_add_co_ci_u32_e64 v202, null, v51, v35, vcc_lo
	v_add_co_u32 v203, vcc_lo, v52, v34
	s_wait_alu 0xfffd
	v_add_co_ci_u32_e64 v204, null, v53, v35, vcc_lo
	global_load_u16 v32, v[201:202], off
	global_load_u16 v196, v[203:204], off
	s_wait_loadcnt 0x1
	v_cvt_f32_f16_e32 v32, v32
	s_wait_loadcnt 0x0
	v_cvt_f32_f16_e64 v199, v196
	s_wait_alu 0xfffe
	s_or_b32 exec_lo, exec_lo, s3
	v_mov_b32_e32 v196, 0
	s_and_saveexec_b32 s3, s2
	s_cbranch_execnz .LBB176_135
	s_branch .LBB176_136
.LBB176_141:
                                        ; implicit-def: $vgpr202
	s_load_b64 s[2:3], s[0:1], 0x30
	s_branch .LBB176_143
.LBB176_142:
	s_load_b64 s[2:3], s[0:1], 0x30
	s_cbranch_execnz .LBB176_220
.LBB176_143:
	v_mov_b32_e32 v202, 0
	s_and_not1_b32 vcc_lo, exec_lo, s29
	s_wait_alu 0xfffe
	s_cbranch_vccnz .LBB176_220
; %bb.144:
	v_bfe_u32 v202, v208, 10, 10
	s_lshl_b64 s[16:17], s[14:15], 1
	s_mov_b64 s[20:21], 31
	s_mov_b64 s[22:23], s[14:15]
	scratch_store_b32 off, v208, off offset:308 ; 4-byte Folded Spill
	v_lshlrev_b32_e32 v1, 6, v202
	v_lshlrev_b32_e32 v220, 5, v202
	scratch_store_b32 off, v202, off offset:300 ; 4-byte Folded Spill
	v_mov_b32_e32 v204, 0
	v_add_co_u32 v3, s16, v1, s16
	s_wait_alu 0xf1ff
	v_add_co_ci_u32_e64 v4, null, 0, s17, s16
	v_add_co_u32 v0, s18, v220, s14
	s_delay_alu instid0(VALU_DEP_3) | instskip(SKIP_1) | instid1(VALU_DEP_3)
	v_add_co_u32 v7, vcc_lo, v3, 2
	s_wait_alu 0xfffd
	v_add_co_ci_u32_e64 v8, null, 0, v4, vcc_lo
	v_add_co_ci_u32_e64 v9, null, 0, 0, s18
	s_delay_alu instid0(VALU_DEP_3) | instskip(SKIP_1) | instid1(VALU_DEP_4)
	v_mad_co_u64_u32 v[13:14], null, s6, v7, s[8:9]
	v_mul_lo_u32 v10, s7, v7
	v_mul_lo_u32 v8, s6, v8
	;; [unrolled: 1-line block ×4, first 2 shown]
	v_mad_co_u64_u32 v[1:2], null, s6, v0, 0
	v_add_co_u32 v11, vcc_lo, v3, 4
	s_wait_alu 0xfffd
	v_add_co_ci_u32_e64 v12, null, 0, v4, vcc_lo
	v_add3_u32 v14, v10, v14, v8
	v_mad_co_u64_u32 v[42:43], null, s6, v7, s[10:11]
	v_add3_u32 v2, v2, v6, v5
	v_add_co_u32 v5, vcc_lo, v3, 6
	scratch_store_b64 off, v[13:14], off    ; 8-byte Folded Spill
	s_wait_alu 0xfffd
	v_add_co_ci_u32_e64 v6, null, 0, v4, vcc_lo
	v_add_co_u32 v14, vcc_lo, v3, 8
	s_wait_alu 0xfffd
	v_add_co_ci_u32_e64 v16, null, 0, v4, vcc_lo
	v_add_co_u32 v17, vcc_lo, v3, 10
	s_delay_alu instid0(VALU_DEP_3) | instskip(NEXT) | instid1(VALU_DEP_3)
	v_mad_co_u64_u32 v[40:41], null, s6, v14, s[8:9]
	v_mul_lo_u32 v16, s6, v16
	v_mul_lo_u32 v7, s7, v14
	v_mad_co_u64_u32 v[50:51], null, s6, v14, s[10:11]
	v_mad_co_u64_u32 v[38:39], null, s6, v5, s[8:9]
	v_mul_lo_u32 v15, s7, v5
	s_wait_alu 0xfffd
	v_add_co_ci_u32_e64 v18, null, 0, v4, vcc_lo
	v_mad_co_u64_u32 v[48:49], null, s6, v5, s[10:11]
	v_add_co_u32 v5, vcc_lo, v3, 12
	v_mul_lo_u32 v6, s6, v6
	v_add3_u32 v43, v10, v43, v8
	s_wait_alu 0xfffd
	v_add_co_ci_u32_e64 v8, null, 0, v4, vcc_lo
	v_mad_co_u64_u32 v[52:53], null, s6, v5, s[8:9]
	v_add3_u32 v41, v7, v41, v16
	v_add3_u32 v51, v7, v51, v16
	v_mul_lo_u32 v7, s7, v5
	v_mad_co_u64_u32 v[56:57], null, s6, v5, s[10:11]
	v_add_co_u32 v5, vcc_lo, v3, 14
	v_add3_u32 v39, v15, v39, v6
	v_add3_u32 v49, v15, v49, v6
	v_mul_lo_u32 v6, s6, v8
	s_wait_alu 0xfffd
	v_add_co_ci_u32_e64 v8, null, 0, v4, vcc_lo
	v_mad_co_u64_u32 v[58:59], null, s6, v5, s[8:9]
	v_mul_lo_u32 v10, s7, v5
	v_mad_co_u64_u32 v[60:61], null, s6, v5, s[10:11]
	v_add_co_u32 v5, vcc_lo, v3, 16
	v_mad_co_u64_u32 v[20:21], null, s6, v11, s[8:9]
	v_mul_lo_u32 v13, s7, v11
	v_mad_co_u64_u32 v[46:47], null, s6, v11, s[10:11]
	s_wait_alu 0xfffd
	v_add_co_ci_u32_e64 v11, null, 0, v4, vcc_lo
	v_add3_u32 v53, v7, v53, v6
	v_add3_u32 v57, v7, v57, v6
	v_mul_lo_u32 v7, s7, v5
	s_delay_alu instid0(VALU_DEP_4)
	v_mul_lo_u32 v6, s6, v11
	v_mad_co_u64_u32 v[62:63], null, s6, v5, s[8:9]
	v_mad_co_u64_u32 v[64:65], null, s6, v5, s[10:11]
	v_add_co_u32 v5, vcc_lo, v3, 18
	v_mul_lo_u32 v8, s6, v8
	v_mul_lo_u32 v12, s6, v12
	v_add3_u32 v63, v7, v63, v6
	s_delay_alu instid0(VALU_DEP_4)
	v_mad_co_u64_u32 v[66:67], null, s6, v5, s[8:9]
	v_add3_u32 v65, v7, v65, v6
	s_wait_alu 0xfffd
	v_add_co_ci_u32_e64 v6, null, 0, v4, vcc_lo
	v_mul_lo_u32 v7, s7, v5
	v_mad_co_u64_u32 v[68:69], null, s6, v5, s[10:11]
	s_delay_alu instid0(VALU_DEP_3) | instskip(SKIP_4) | instid1(VALU_DEP_4)
	v_mul_lo_u32 v6, s6, v6
	v_add_co_u32 v5, vcc_lo, v3, 20
	v_add3_u32 v59, v10, v59, v8
	v_add3_u32 v61, v10, v61, v8
	;; [unrolled: 1-line block ×3, first 2 shown]
	v_mad_co_u64_u32 v[70:71], null, s6, v5, s[8:9]
	v_add3_u32 v67, v7, v67, v6
	v_add3_u32 v69, v7, v69, v6
	s_wait_alu 0xfffd
	v_add_co_ci_u32_e64 v6, null, 0, v4, vcc_lo
	v_mul_lo_u32 v7, s7, v5
	v_mad_co_u64_u32 v[72:73], null, s6, v5, s[10:11]
	s_delay_alu instid0(VALU_DEP_3) | instskip(SKIP_3) | instid1(VALU_DEP_3)
	v_mul_lo_u32 v6, s6, v6
	v_add_co_u32 v5, vcc_lo, v3, 22
	v_add3_u32 v47, v13, v47, v12
	v_mad_co_u64_u32 v[44:45], null, s6, v17, s[8:9]
	v_mad_co_u64_u32 v[74:75], null, s6, v5, s[8:9]
	v_add3_u32 v71, v7, v71, v6
	v_add3_u32 v73, v7, v73, v6
	s_wait_alu 0xfffd
	v_add_co_ci_u32_e64 v6, null, 0, v4, vcc_lo
	v_mul_lo_u32 v7, s7, v5
	v_mad_co_u64_u32 v[76:77], null, s6, v5, s[10:11]
	s_delay_alu instid0(VALU_DEP_3) | instskip(SKIP_3) | instid1(VALU_DEP_3)
	v_mul_lo_u32 v6, s6, v6
	v_add_co_u32 v5, vcc_lo, v3, 24
	v_mul_lo_u32 v19, s7, v17
	v_mad_co_u64_u32 v[54:55], null, s6, v17, s[10:11]
	v_mad_co_u64_u32 v[78:79], null, s6, v5, s[8:9]
	v_add3_u32 v75, v7, v75, v6
	v_add3_u32 v77, v7, v77, v6
	s_wait_alu 0xfffd
	v_add_co_ci_u32_e64 v6, null, 0, v4, vcc_lo
	v_mul_lo_u32 v7, s7, v5
	v_mad_co_u64_u32 v[80:81], null, s6, v5, s[10:11]
	s_delay_alu instid0(VALU_DEP_3)
	v_mul_lo_u32 v6, s6, v6
	v_add_co_u32 v5, vcc_lo, v3, 26
	v_mul_lo_u32 v18, s6, v18
	scratch_store_b64 off, v[20:21], off offset:8 ; 8-byte Folded Spill
	s_add_nc_u64 s[16:17], s[0:1], 64
	v_mad_co_u64_u32 v[82:83], null, s6, v5, s[8:9]
	v_add3_u32 v79, v7, v79, v6
	v_add3_u32 v81, v7, v81, v6
	s_wait_alu 0xfffd
	v_add_co_ci_u32_e64 v6, null, 0, v4, vcc_lo
	v_mul_lo_u32 v7, s7, v5
	v_mad_co_u64_u32 v[84:85], null, s6, v5, s[10:11]
	s_delay_alu instid0(VALU_DEP_3) | instskip(SKIP_3) | instid1(VALU_DEP_3)
	v_mul_lo_u32 v6, s6, v6
	v_add_co_u32 v5, vcc_lo, v3, 28
	v_add3_u32 v45, v19, v45, v18
	v_add3_u32 v55, v19, v55, v18
	v_mad_co_u64_u32 v[86:87], null, s6, v5, s[8:9]
	v_add3_u32 v83, v7, v83, v6
	v_add3_u32 v85, v7, v85, v6
	s_wait_alu 0xfffd
	v_add_co_ci_u32_e64 v6, null, 0, v4, vcc_lo
	v_mul_lo_u32 v7, s7, v5
	v_mad_co_u64_u32 v[88:89], null, s6, v5, s[10:11]
	s_delay_alu instid0(VALU_DEP_3) | instskip(SKIP_1) | instid1(VALU_DEP_1)
	v_mul_lo_u32 v6, s6, v6
	v_add_co_u32 v5, vcc_lo, v3, 30
	v_mad_co_u64_u32 v[90:91], null, s6, v5, s[8:9]
	s_delay_alu instid0(VALU_DEP_3)
	v_add3_u32 v87, v7, v87, v6
	v_add3_u32 v89, v7, v89, v6
	s_wait_alu 0xfffd
	v_add_co_ci_u32_e64 v6, null, 0, v4, vcc_lo
	v_mul_lo_u32 v7, s7, v5
	v_mad_co_u64_u32 v[92:93], null, s6, v5, s[10:11]
	s_delay_alu instid0(VALU_DEP_3) | instskip(SKIP_1) | instid1(VALU_DEP_1)
	v_mul_lo_u32 v6, s6, v6
	v_add_co_u32 v5, vcc_lo, v3, 32
	v_mad_co_u64_u32 v[94:95], null, s6, v5, s[8:9]
	s_delay_alu instid0(VALU_DEP_3)
	;; [unrolled: 11-line block ×16, first 2 shown]
	v_add3_u32 v147, v7, v147, v6
	v_add3_u32 v149, v7, v149, v6
	s_wait_alu 0xfffd
	v_add_co_ci_u32_e64 v6, null, 0, v4, vcc_lo
	v_add_co_u32 v3, vcc_lo, v3, 62
	s_wait_alu 0xfffd
	v_add_co_ci_u32_e64 v4, null, 0, v4, vcc_lo
	v_mul_lo_u32 v7, s7, v5
	v_mad_co_u64_u32 v[152:153], null, s6, v5, s[10:11]
	s_delay_alu instid0(VALU_DEP_3)
	v_mul_lo_u32 v4, s6, v4
	v_mul_lo_u32 v5, s7, v3
	v_mad_co_u64_u32 v[154:155], null, s6, v3, s[8:9]
	v_mad_co_u64_u32 v[156:157], null, s6, v3, s[10:11]
	v_mul_lo_u32 v6, s6, v6
	v_add_co_u32 v3, vcc_lo, v0, 31
	s_delay_alu instid0(VALU_DEP_4) | instskip(NEXT) | instid1(VALU_DEP_4)
	v_add3_u32 v155, v5, v155, v4
	v_add3_u32 v157, v5, v157, v4
	s_wait_alu 0xfffd
	v_add_co_ci_u32_e64 v4, null, 0, v9, vcc_lo
	v_add3_u32 v151, v7, v151, v6
	v_add3_u32 v153, v7, v153, v6
	v_mul_lo_u32 v6, s7, v3
	s_delay_alu instid0(VALU_DEP_4) | instskip(SKIP_1) | instid1(VALU_DEP_1)
	v_mul_lo_u32 v5, s6, v4
	v_mad_co_u64_u32 v[3:4], null, s6, v3, 0
	v_add3_u32 v4, v4, v5, v6
	v_add_co_u32 v5, vcc_lo, v0, 30
	s_wait_alu 0xfffd
	v_add_co_ci_u32_e64 v6, null, 0, v9, vcc_lo
	s_delay_alu instid0(VALU_DEP_2) | instskip(NEXT) | instid1(VALU_DEP_2)
	v_mul_lo_u32 v8, s7, v5
	v_mul_lo_u32 v7, s6, v6
	v_mad_co_u64_u32 v[5:6], null, s6, v5, 0
	s_delay_alu instid0(VALU_DEP_1) | instskip(SKIP_3) | instid1(VALU_DEP_2)
	v_add3_u32 v6, v6, v7, v8
	v_add_co_u32 v7, vcc_lo, v0, 29
	s_wait_alu 0xfffd
	v_add_co_ci_u32_e64 v8, null, 0, v9, vcc_lo
	v_mul_lo_u32 v11, s7, v7
	s_delay_alu instid0(VALU_DEP_2) | instskip(SKIP_1) | instid1(VALU_DEP_1)
	v_mul_lo_u32 v10, s6, v8
	v_mad_co_u64_u32 v[7:8], null, s6, v7, 0
	v_add3_u32 v8, v8, v10, v11
	v_add_co_u32 v10, vcc_lo, v0, 28
	s_wait_alu 0xfffd
	v_add_co_ci_u32_e64 v11, null, 0, v9, vcc_lo
	s_delay_alu instid0(VALU_DEP_2) | instskip(NEXT) | instid1(VALU_DEP_2)
	v_mul_lo_u32 v13, s7, v10
	v_mul_lo_u32 v12, s6, v11
	v_mad_co_u64_u32 v[10:11], null, s6, v10, 0
	s_delay_alu instid0(VALU_DEP_1) | instskip(SKIP_3) | instid1(VALU_DEP_2)
	v_add3_u32 v11, v11, v12, v13
	v_add_co_u32 v12, vcc_lo, v0, 27
	s_wait_alu 0xfffd
	v_add_co_ci_u32_e64 v13, null, 0, v9, vcc_lo
	v_mul_lo_u32 v15, s7, v12
	s_delay_alu instid0(VALU_DEP_2) | instskip(SKIP_1) | instid1(VALU_DEP_1)
	;; [unrolled: 17-line block ×8, first 2 shown]
	v_mul_lo_u32 v162, s6, v161
	v_mad_co_u64_u32 v[160:161], null, s6, v160, 0
	v_add3_u32 v161, v161, v162, v163
	v_add_co_u32 v162, vcc_lo, v0, 14
	s_wait_alu 0xfffd
	v_add_co_ci_u32_e64 v163, null, 0, v9, vcc_lo
	s_delay_alu instid0(VALU_DEP_2) | instskip(NEXT) | instid1(VALU_DEP_2)
	v_mul_lo_u32 v165, s7, v162
	v_mul_lo_u32 v164, s6, v163
	v_mad_co_u64_u32 v[162:163], null, s6, v162, 0
	s_delay_alu instid0(VALU_DEP_1) | instskip(SKIP_3) | instid1(VALU_DEP_2)
	v_add3_u32 v163, v163, v164, v165
	v_add_co_u32 v164, vcc_lo, v0, 13
	s_wait_alu 0xfffd
	v_add_co_ci_u32_e64 v165, null, 0, v9, vcc_lo
	v_mul_lo_u32 v166, s7, v164
	v_mad_co_u64_u32 v[168:169], null, s6, v164, 0
	s_delay_alu instid0(VALU_DEP_3) | instskip(SKIP_1) | instid1(VALU_DEP_1)
	v_mul_lo_u32 v165, s6, v165
	v_add_co_u32 v164, vcc_lo, v0, 12
	v_mad_co_u64_u32 v[170:171], null, s6, v164, 0
	s_delay_alu instid0(VALU_DEP_3) | instskip(SKIP_4) | instid1(VALU_DEP_3)
	v_add3_u32 v169, v169, v165, v166
	s_wait_alu 0xfffd
	v_add_co_ci_u32_e64 v165, null, 0, v9, vcc_lo
	v_mul_lo_u32 v166, s7, v164
	v_add_co_u32 v164, vcc_lo, v0, 11
	v_mul_lo_u32 v165, s6, v165
	s_delay_alu instid0(VALU_DEP_2) | instskip(NEXT) | instid1(VALU_DEP_2)
	v_mad_co_u64_u32 v[172:173], null, s6, v164, 0
	v_add3_u32 v171, v171, v165, v166
	s_wait_alu 0xfffd
	v_add_co_ci_u32_e64 v165, null, 0, v9, vcc_lo
	v_mul_lo_u32 v166, s7, v164
	v_add_co_u32 v164, vcc_lo, v0, 10
	s_delay_alu instid0(VALU_DEP_3) | instskip(NEXT) | instid1(VALU_DEP_2)
	v_mul_lo_u32 v165, s6, v165
	v_mad_co_u64_u32 v[174:175], null, s6, v164, 0
	s_delay_alu instid0(VALU_DEP_2) | instskip(SKIP_4) | instid1(VALU_DEP_3)
	v_add3_u32 v173, v173, v165, v166
	s_wait_alu 0xfffd
	v_add_co_ci_u32_e64 v165, null, 0, v9, vcc_lo
	v_mul_lo_u32 v166, s7, v164
	v_add_co_u32 v164, vcc_lo, v0, 9
	v_mul_lo_u32 v165, s6, v165
	s_delay_alu instid0(VALU_DEP_2) | instskip(NEXT) | instid1(VALU_DEP_2)
	v_mad_co_u64_u32 v[176:177], null, s6, v164, 0
	v_add3_u32 v175, v175, v165, v166
	s_wait_alu 0xfffd
	v_add_co_ci_u32_e64 v165, null, 0, v9, vcc_lo
	v_mul_lo_u32 v166, s7, v164
	v_add_co_u32 v164, vcc_lo, v0, 8
	s_delay_alu instid0(VALU_DEP_3) | instskip(NEXT) | instid1(VALU_DEP_2)
	v_mul_lo_u32 v165, s6, v165
	v_mad_co_u64_u32 v[178:179], null, s6, v164, 0
	s_delay_alu instid0(VALU_DEP_2) | instskip(SKIP_4) | instid1(VALU_DEP_3)
	;; [unrolled: 17-line block ×4, first 2 shown]
	v_add3_u32 v185, v185, v165, v166
	s_wait_alu 0xfffd
	v_add_co_ci_u32_e64 v165, null, 0, v9, vcc_lo
	v_mul_lo_u32 v166, s7, v164
	v_add_co_u32 v164, vcc_lo, v0, 3
	v_mul_lo_u32 v165, s6, v165
	s_delay_alu instid0(VALU_DEP_2) | instskip(NEXT) | instid1(VALU_DEP_2)
	v_mad_co_u64_u32 v[189:190], null, s6, v164, 0
	v_add3_u32 v187, v187, v165, v166
	s_wait_alu 0xfffd
	v_add_co_ci_u32_e64 v165, null, 0, v9, vcc_lo
	v_add_co_u32 v0, vcc_lo, v0, 2
	s_wait_alu 0xfffd
	v_add_co_ci_u32_e64 v9, null, 0, v9, vcc_lo
	v_mul_lo_u32 v166, s7, v164
	s_delay_alu instid0(VALU_DEP_3) | instskip(SKIP_1) | instid1(VALU_DEP_4)
	v_mul_lo_u32 v164, s7, v0
	v_mad_co_u64_u32 v[193:194], null, s6, v0, 0
	v_mul_lo_u32 v9, s6, v9
	v_mul_lo_u32 v165, s6, v165
	v_add_co_u32 v197, vcc_lo, v1, s6
	v_lshlrev_b64_e32 v[0:1], 1, v[1:2]
	s_wait_alu 0xfffd
	v_add_co_ci_u32_e64 v198, null, s7, v2, vcc_lo
	v_add3_u32 v194, v194, v9, v164
	v_add3_u32 v190, v190, v165, v166
	s_delay_alu instid0(VALU_DEP_4)
	v_add_co_u32 v164, vcc_lo, s8, v0
	s_wait_alu 0xfffd
	v_add_co_ci_u32_e64 v165, null, s9, v1, vcc_lo
	v_add_co_u32 v166, vcc_lo, s10, v0
	s_wait_alu 0xfffd
	v_add_co_ci_u32_e64 v167, null, s11, v1, vcc_lo
	v_lshlrev_b64_e32 v[0:1], 1, v[3:4]
	s_delay_alu instid0(VALU_DEP_1) | instskip(SKIP_1) | instid1(VALU_DEP_2)
	v_add_co_u32 v222, vcc_lo, s8, v0
	s_wait_alu 0xfffd
	v_add_co_ci_u32_e64 v223, null, s9, v1, vcc_lo
	v_add_co_u32 v224, vcc_lo, s10, v0
	s_wait_alu 0xfffd
	v_add_co_ci_u32_e64 v225, null, s11, v1, vcc_lo
	v_lshlrev_b64_e32 v[0:1], 1, v[5:6]
	s_delay_alu instid0(VALU_DEP_1) | instskip(SKIP_1) | instid1(VALU_DEP_2)
	;; [unrolled: 8-line block ×17, first 2 shown]
	v_add_co_u32 v195, vcc_lo, s8, v0
	s_wait_alu 0xfffd
	v_add_co_ci_u32_e64 v196, null, s9, v1, vcc_lo
	v_add_co_u32 v29, vcc_lo, s10, v0
	s_wait_alu 0xfffd
	v_add_co_ci_u32_e64 v30, null, s11, v1, vcc_lo
	v_lshlrev_b64_e32 v[0:1], 1, v[162:163]
	v_dual_mov_b32 v162, v2 :: v_dual_mov_b32 v163, v4
	s_delay_alu instid0(VALU_DEP_2) | instskip(SKIP_1) | instid1(VALU_DEP_3)
	v_add_co_u32 v199, vcc_lo, s8, v0
	s_wait_alu 0xfffd
	v_add_co_ci_u32_e64 v200, null, s9, v1, vcc_lo
	v_add_co_u32 v221, vcc_lo, s10, v0
	s_wait_alu 0xfffd
	v_add_co_ci_u32_e64 v0, null, s11, v1, vcc_lo
	scratch_store_b32 off, v0, off offset:16 ; 4-byte Folded Spill
	v_lshlrev_b64_e32 v[0:1], 1, v[168:169]
	v_dual_mov_b32 v169, v6 :: v_dual_mov_b32 v168, v5
	s_delay_alu instid0(VALU_DEP_2)
	v_add_co_u32 v2, vcc_lo, s8, v0
	scratch_store_b32 off, v2, off offset:20 ; 4-byte Folded Spill
	s_wait_alu 0xfffd
	v_add_co_ci_u32_e64 v2, null, s9, v1, vcc_lo
	v_add_co_u32 v0, vcc_lo, s10, v0
	s_clause 0x1
	scratch_store_b32 off, v2, off offset:24
	scratch_store_b32 off, v0, off offset:28
	s_wait_alu 0xfffd
	v_add_co_ci_u32_e64 v0, null, s11, v1, vcc_lo
	scratch_store_b32 off, v0, off offset:32 ; 4-byte Folded Spill
	v_lshlrev_b64_e32 v[0:1], 1, v[170:171]
	v_dual_mov_b32 v171, v8 :: v_dual_mov_b32 v170, v7
	s_delay_alu instid0(VALU_DEP_2)
	v_add_co_u32 v2, vcc_lo, s8, v0
	scratch_store_b32 off, v2, off offset:36 ; 4-byte Folded Spill
	s_wait_alu 0xfffd
	v_add_co_ci_u32_e64 v2, null, s9, v1, vcc_lo
	v_add_co_u32 v0, vcc_lo, s10, v0
	s_clause 0x1
	scratch_store_b32 off, v2, off offset:40
	scratch_store_b32 off, v0, off offset:44
	;; [unrolled: 14-line block ×3, first 2 shown]
	s_wait_alu 0xfffd
	v_add_co_ci_u32_e64 v0, null, s11, v1, vcc_lo
	scratch_store_b32 off, v0, off offset:64 ; 4-byte Folded Spill
	v_lshlrev_b64_e32 v[0:1], 1, v[174:175]
	v_dual_mov_b32 v175, v12 :: v_dual_mov_b32 v174, v11
	s_delay_alu instid0(VALU_DEP_2)
	v_add_co_u32 v2, vcc_lo, s8, v0
	scratch_store_b32 off, v2, off offset:68 ; 4-byte Folded Spill
	s_wait_alu 0xfffd
	v_add_co_ci_u32_e64 v2, null, s9, v1, vcc_lo
	v_add_co_u32 v0, vcc_lo, s10, v0
	s_wait_alu 0xfffd
	v_add_co_ci_u32_e64 v1, null, s11, v1, vcc_lo
	s_clause 0x1
	scratch_store_b32 off, v2, off offset:72
	scratch_store_b32 off, v0, off offset:76
	v_mov_b32_e32 v0, v3
	scratch_store_b32 off, v1, off offset:80 ; 4-byte Folded Spill
	v_lshlrev_b64_e32 v[1:2], 1, v[176:177]
	v_dual_mov_b32 v177, v14 :: v_dual_mov_b32 v176, v13
	s_delay_alu instid0(VALU_DEP_2)
	v_add_co_u32 v3, vcc_lo, s8, v1
	scratch_store_b32 off, v3, off offset:84 ; 4-byte Folded Spill
	s_wait_alu 0xfffd
	v_add_co_ci_u32_e64 v3, null, s9, v2, vcc_lo
	v_add_co_u32 v1, vcc_lo, s10, v1
	s_clause 0x1
	scratch_store_b32 off, v3, off offset:88
	scratch_store_b32 off, v1, off offset:92
	s_wait_alu 0xfffd
	v_add_co_ci_u32_e64 v1, null, s11, v2, vcc_lo
	scratch_store_b32 off, v1, off offset:96 ; 4-byte Folded Spill
	v_lshlrev_b64_e32 v[1:2], 1, v[178:179]
	v_dual_mov_b32 v179, v16 :: v_dual_mov_b32 v178, v15
	s_delay_alu instid0(VALU_DEP_2)
	v_add_co_u32 v3, vcc_lo, s8, v1
	scratch_store_b32 off, v3, off offset:100 ; 4-byte Folded Spill
	s_wait_alu 0xfffd
	v_add_co_ci_u32_e64 v3, null, s9, v2, vcc_lo
	v_add_co_u32 v1, vcc_lo, s10, v1
	s_clause 0x1
	scratch_store_b32 off, v3, off offset:104
	scratch_store_b32 off, v1, off offset:108
	s_wait_alu 0xfffd
	v_add_co_ci_u32_e64 v1, null, s11, v2, vcc_lo
	;; [unrolled: 14-line block ×8, first 2 shown]
	scratch_store_b32 off, v1, off offset:208 ; 4-byte Folded Spill
	v_lshlrev_b64_e32 v[1:2], 1, v[197:198]
	v_dual_mov_b32 v198, v30 :: v_dual_mov_b32 v197, v29
	s_delay_alu instid0(VALU_DEP_2)
	v_add_co_u32 v3, vcc_lo, s8, v1
	s_load_b32 s8, s[0:1], 0x44
	scratch_store_b32 off, v3, off offset:212 ; 4-byte Folded Spill
	v_add_co_ci_u32_e64 v3, null, s9, v2, vcc_lo
	v_add_co_u32 v1, vcc_lo, s10, v1
	s_mov_b32 s9, 0
	s_clause 0x1
	scratch_store_b32 off, v3, off offset:216
	scratch_store_b32 off, v1, off offset:220
	s_wait_alu 0xfffd
	v_add_co_ci_u32_e64 v1, null, s11, v2, vcc_lo
	s_wait_alu 0xfffe
	s_mov_b32 s11, s9
	scratch_store_b32 off, v1, off offset:224 ; 4-byte Folded Spill
	v_and_b32_e32 v1, 0x3ff, v208
	s_wait_kmcnt 0x0
	s_lshl_b32 s10, s8, 5
	s_wait_alu 0xfffe
	s_mul_u64 s[18:19], s[6:7], s[10:11]
	scratch_store_b32 off, v1, off offset:304 ; 4-byte Folded Spill
	v_dual_mov_b32 v1, 0 :: v_dual_add_nc_u32 v2, s28, v1
	s_wait_alu 0xfffe
	s_lshl_b64 s[18:19], s[18:19], 1
	s_delay_alu instid0(VALU_DEP_1) | instskip(SKIP_1) | instid1(VALU_DEP_2)
	v_mov_b32_e32 v3, v1
	v_mov_b32_e32 v201, v1
	v_lshlrev_b64_e32 v[158:159], 1, v[2:3]
.LBB176_145:                            ; =>This Inner Loop Header: Depth=1
	s_add_nc_u64 s[24:25], s[14:15], s[20:21]
	v_add_co_u32 v160, vcc_lo, s14, v220
	s_wait_alu 0xfffe
	v_cmp_ge_i64_e64 s8, s[24:25], s[4:5]
	s_wait_alu 0xfffd
	v_add_co_ci_u32_e64 v161, null, 0, v201, vcc_lo
                                        ; implicit-def: $vgpr202
	s_and_b32 vcc_lo, exec_lo, s8
	s_mov_b32 s8, -1
	s_wait_alu 0xfffe
	s_cbranch_vccz .LBB176_213
; %bb.146:                              ;   in Loop: Header=BB176_145 Depth=1
	s_load_b32 s8, s[16:17], 0xc
	s_clause 0x1
	scratch_load_b32 v2, off, off offset:300
	scratch_load_b32 v3, off, off offset:304
	v_dual_mov_b32 v4, 0 :: v_dual_mov_b32 v203, 0
	scratch_store_b32 off, v4, off offset:228 ; 4-byte Folded Spill
	s_wait_kmcnt 0x0
	s_and_b32 s8, s8, 0xffff
	s_wait_loadcnt 0x0
	s_wait_alu 0xfffe
	v_mad_u32_u24 v2, v2, s8, v3
	s_mov_b32 s8, exec_lo
	s_delay_alu instid0(VALU_DEP_1) | instskip(NEXT) | instid1(VALU_DEP_1)
	v_and_b32_e32 v2, 31, v2
	v_add_co_u32 v2, vcc_lo, v160, v2
	s_wait_alu 0xfffd
	v_add_co_ci_u32_e64 v3, null, 0, v161, vcc_lo
	s_delay_alu instid0(VALU_DEP_1)
	v_cmpx_gt_i64_e64 s[4:5], v[2:3]
	s_cbranch_execz .LBB176_148
; %bb.147:                              ;   in Loop: Header=BB176_145 Depth=1
	v_lshlrev_b64_e32 v[2:3], 2, v[2:3]
	s_delay_alu instid0(VALU_DEP_1) | instskip(SKIP_1) | instid1(VALU_DEP_2)
	v_add_co_u32 v2, vcc_lo, s12, v2
	s_wait_alu 0xfffd
	v_add_co_ci_u32_e64 v3, null, s13, v3, vcc_lo
	global_load_b32 v203, v[2:3], off
.LBB176_148:                            ;   in Loop: Header=BB176_145 Depth=1
	s_wait_alu 0xfffe
	s_or_b32 exec_lo, exec_lo, s8
	v_mov_b32_e32 v32, v1
	v_dual_mov_b32 v2, v1 :: v_dual_mov_b32 v3, v1
	v_dual_mov_b32 v4, v1 :: v_dual_mov_b32 v5, v1
	;; [unrolled: 1-line block ×15, first 2 shown]
	v_mov_b32_e32 v33, v32
	s_delay_alu instid0(VALU_DEP_2) | instskip(NEXT) | instid1(VALU_DEP_3)
	v_mov_b32_e32 v32, v31
	v_mov_b32_e32 v31, v30
	;; [unrolled: 1-line block ×31, first 2 shown]
	s_mov_b32 s8, exec_lo
	v_cmpx_gt_i64_e64 s[4:5], v[160:161]
	s_cbranch_execz .LBB176_150
; %bb.149:                              ;   in Loop: Header=BB176_145 Depth=1
	v_add_co_u32 v2, vcc_lo, v164, v158
	s_wait_alu 0xfffd
	v_add_co_ci_u32_e64 v3, null, v165, v159, vcc_lo
	v_dual_mov_b32 v5, v1 :: v_dual_mov_b32 v6, v1
	v_dual_mov_b32 v7, v1 :: v_dual_mov_b32 v8, v1
	global_load_u16 v4, v[2:3], off
	v_add_co_u32 v2, vcc_lo, v166, v158
	s_wait_alu 0xfffd
	v_add_co_ci_u32_e64 v3, null, v167, v159, vcc_lo
	v_dual_mov_b32 v9, v1 :: v_dual_mov_b32 v10, v1
	v_dual_mov_b32 v11, v1 :: v_dual_mov_b32 v12, v1
	global_load_u16 v202, v[2:3], off
	v_mov_b32_e32 v3, v1
	v_dual_mov_b32 v13, v1 :: v_dual_mov_b32 v14, v1
	v_dual_mov_b32 v15, v1 :: v_dual_mov_b32 v16, v1
	;; [unrolled: 1-line block ×10, first 2 shown]
	v_mov_b32_e32 v33, v1
	s_wait_loadcnt 0x1
	v_cvt_f32_f16_e32 v2, v4
	v_mov_b32_e32 v4, v1
	s_wait_loadcnt 0x0
	v_cvt_f32_f16_e64 v202, v202
	scratch_store_b32 off, v202, off offset:228 ; 4-byte Folded Spill
.LBB176_150:                            ;   in Loop: Header=BB176_145 Depth=1
	s_wait_alu 0xfffe
	s_or_b32 exec_lo, exec_lo, s8
	v_mov_b32_e32 v202, 0
	v_add_co_u32 v205, vcc_lo, v160, 1
	s_wait_alu 0xfffd
	v_add_co_ci_u32_e64 v206, null, 0, v161, vcc_lo
	scratch_store_b32 off, v202, off offset:232 ; 4-byte Folded Spill
	v_mov_b32_e32 v202, 0
	s_mov_b32 s8, exec_lo
	scratch_store_b32 off, v202, off offset:236 ; 4-byte Folded Spill
	v_cmpx_gt_i64_e64 s[4:5], v[205:206]
	s_cbranch_execz .LBB176_152
; %bb.151:                              ;   in Loop: Header=BB176_145 Depth=1
	scratch_load_b32 v3, off, off offset:220 ; 4-byte Folded Reload
	s_wait_loadcnt 0x0
	v_add_co_u32 v205, vcc_lo, v3, v158
	scratch_load_b32 v3, off, off offset:224 ; 4-byte Folded Reload
	s_wait_loadcnt 0x0
	s_wait_alu 0xfffd
	v_add_co_ci_u32_e64 v206, null, v3, v159, vcc_lo
	scratch_load_b32 v3, off, off offset:212 ; 4-byte Folded Reload
	s_wait_loadcnt 0x0
	v_add_co_u32 v207, vcc_lo, v3, v158
	scratch_load_b32 v3, off, off offset:216 ; 4-byte Folded Reload
	s_wait_loadcnt 0x0
	s_wait_alu 0xfffd
	v_add_co_ci_u32_e64 v208, null, v3, v159, vcc_lo
	global_load_u16 v3, v[205:206], off
	global_load_u16 v202, v[207:208], off
	s_wait_loadcnt 0x1
	v_cvt_f32_f16_e32 v3, v3
	scratch_store_b32 off, v3, off offset:236 ; 4-byte Folded Spill
	s_wait_loadcnt 0x0
	v_cvt_f32_f16_e64 v3, v202
.LBB176_152:                            ;   in Loop: Header=BB176_145 Depth=1
	s_wait_alu 0xfffe
	s_or_b32 exec_lo, exec_lo, s8
	v_add_co_u32 v205, vcc_lo, v160, 2
	s_wait_alu 0xfffd
	v_add_co_ci_u32_e64 v206, null, 0, v161, vcc_lo
	s_mov_b32 s8, exec_lo
	v_cmpx_gt_i64_e64 s[4:5], v[205:206]
	s_cbranch_execz .LBB176_154
; %bb.153:                              ;   in Loop: Header=BB176_145 Depth=1
	scratch_load_b32 v4, off, off offset:204 ; 4-byte Folded Reload
	s_wait_loadcnt 0x0
	v_add_co_u32 v205, vcc_lo, v4, v158
	scratch_load_b32 v4, off, off offset:208 ; 4-byte Folded Reload
	s_wait_loadcnt 0x0
	s_wait_alu 0xfffd
	v_add_co_ci_u32_e64 v206, null, v4, v159, vcc_lo
	scratch_load_b32 v4, off, off offset:196 ; 4-byte Folded Reload
	s_wait_loadcnt 0x0
	v_add_co_u32 v207, vcc_lo, v4, v158
	scratch_load_b32 v4, off, off offset:200 ; 4-byte Folded Reload
	s_wait_loadcnt 0x0
	s_wait_alu 0xfffd
	v_add_co_ci_u32_e64 v208, null, v4, v159, vcc_lo
	global_load_u16 v4, v[205:206], off
	global_load_u16 v202, v[207:208], off
	s_wait_loadcnt 0x1
	v_cvt_f32_f16_e32 v4, v4
	scratch_store_b32 off, v4, off offset:232 ; 4-byte Folded Spill
	s_wait_loadcnt 0x0
	v_cvt_f32_f16_e64 v4, v202
.LBB176_154:                            ;   in Loop: Header=BB176_145 Depth=1
	s_wait_alu 0xfffe
	s_or_b32 exec_lo, exec_lo, s8
	v_mov_b32_e32 v202, 0
	v_add_co_u32 v205, vcc_lo, v160, 3
	s_wait_alu 0xfffd
	v_add_co_ci_u32_e64 v206, null, 0, v161, vcc_lo
	scratch_store_b32 off, v202, off offset:240 ; 4-byte Folded Spill
	v_mov_b32_e32 v202, 0
	s_mov_b32 s8, exec_lo
	scratch_store_b32 off, v202, off offset:244 ; 4-byte Folded Spill
	v_cmpx_gt_i64_e64 s[4:5], v[205:206]
	s_cbranch_execz .LBB176_156
; %bb.155:                              ;   in Loop: Header=BB176_145 Depth=1
	scratch_load_b32 v5, off, off offset:188 ; 4-byte Folded Reload
	s_wait_loadcnt 0x0
	v_add_co_u32 v205, vcc_lo, v5, v158
	scratch_load_b32 v5, off, off offset:192 ; 4-byte Folded Reload
	s_wait_loadcnt 0x0
	s_wait_alu 0xfffd
	v_add_co_ci_u32_e64 v206, null, v5, v159, vcc_lo
	scratch_load_b32 v5, off, off offset:180 ; 4-byte Folded Reload
	s_wait_loadcnt 0x0
	v_add_co_u32 v207, vcc_lo, v5, v158
	scratch_load_b32 v5, off, off offset:184 ; 4-byte Folded Reload
	s_wait_loadcnt 0x0
	s_wait_alu 0xfffd
	v_add_co_ci_u32_e64 v208, null, v5, v159, vcc_lo
	global_load_u16 v5, v[205:206], off
	global_load_u16 v202, v[207:208], off
	s_wait_loadcnt 0x1
	v_cvt_f32_f16_e32 v5, v5
	scratch_store_b32 off, v5, off offset:244 ; 4-byte Folded Spill
	s_wait_loadcnt 0x0
	v_cvt_f32_f16_e64 v5, v202
.LBB176_156:                            ;   in Loop: Header=BB176_145 Depth=1
	s_wait_alu 0xfffe
	s_or_b32 exec_lo, exec_lo, s8
	v_add_co_u32 v205, vcc_lo, v160, 4
	s_wait_alu 0xfffd
	v_add_co_ci_u32_e64 v206, null, 0, v161, vcc_lo
	s_mov_b32 s8, exec_lo
	v_cmpx_gt_i64_e64 s[4:5], v[205:206]
	s_cbranch_execz .LBB176_158
; %bb.157:                              ;   in Loop: Header=BB176_145 Depth=1
	scratch_load_b32 v6, off, off offset:172 ; 4-byte Folded Reload
	s_wait_loadcnt 0x0
	v_add_co_u32 v205, vcc_lo, v6, v158
	scratch_load_b32 v6, off, off offset:176 ; 4-byte Folded Reload
	s_wait_loadcnt 0x0
	s_wait_alu 0xfffd
	v_add_co_ci_u32_e64 v206, null, v6, v159, vcc_lo
	scratch_load_b32 v6, off, off offset:164 ; 4-byte Folded Reload
	s_wait_loadcnt 0x0
	v_add_co_u32 v207, vcc_lo, v6, v158
	scratch_load_b32 v6, off, off offset:168 ; 4-byte Folded Reload
	s_wait_loadcnt 0x0
	s_wait_alu 0xfffd
	v_add_co_ci_u32_e64 v208, null, v6, v159, vcc_lo
	global_load_u16 v6, v[205:206], off
	global_load_u16 v202, v[207:208], off
	s_wait_loadcnt 0x1
	v_cvt_f32_f16_e32 v6, v6
	scratch_store_b32 off, v6, off offset:240 ; 4-byte Folded Spill
	s_wait_loadcnt 0x0
	v_cvt_f32_f16_e64 v6, v202
.LBB176_158:                            ;   in Loop: Header=BB176_145 Depth=1
	s_wait_alu 0xfffe
	s_or_b32 exec_lo, exec_lo, s8
	v_mov_b32_e32 v202, 0
	v_add_co_u32 v205, vcc_lo, v160, 5
	s_wait_alu 0xfffd
	v_add_co_ci_u32_e64 v206, null, 0, v161, vcc_lo
	scratch_store_b32 off, v202, off offset:248 ; 4-byte Folded Spill
	v_mov_b32_e32 v202, 0
	s_mov_b32 s8, exec_lo
	scratch_store_b32 off, v202, off offset:252 ; 4-byte Folded Spill
	v_cmpx_gt_i64_e64 s[4:5], v[205:206]
	s_cbranch_execz .LBB176_160
; %bb.159:                              ;   in Loop: Header=BB176_145 Depth=1
	scratch_load_b32 v7, off, off offset:156 ; 4-byte Folded Reload
	s_wait_loadcnt 0x0
	v_add_co_u32 v205, vcc_lo, v7, v158
	scratch_load_b32 v7, off, off offset:160 ; 4-byte Folded Reload
	s_wait_loadcnt 0x0
	s_wait_alu 0xfffd
	v_add_co_ci_u32_e64 v206, null, v7, v159, vcc_lo
	scratch_load_b32 v7, off, off offset:148 ; 4-byte Folded Reload
	s_wait_loadcnt 0x0
	v_add_co_u32 v207, vcc_lo, v7, v158
	scratch_load_b32 v7, off, off offset:152 ; 4-byte Folded Reload
	s_wait_loadcnt 0x0
	s_wait_alu 0xfffd
	v_add_co_ci_u32_e64 v208, null, v7, v159, vcc_lo
	global_load_u16 v7, v[205:206], off
	global_load_u16 v202, v[207:208], off
	s_wait_loadcnt 0x1
	v_cvt_f32_f16_e32 v7, v7
	scratch_store_b32 off, v7, off offset:252 ; 4-byte Folded Spill
	s_wait_loadcnt 0x0
	v_cvt_f32_f16_e64 v7, v202
.LBB176_160:                            ;   in Loop: Header=BB176_145 Depth=1
	s_wait_alu 0xfffe
	s_or_b32 exec_lo, exec_lo, s8
	v_add_co_u32 v205, vcc_lo, v160, 6
	s_wait_alu 0xfffd
	v_add_co_ci_u32_e64 v206, null, 0, v161, vcc_lo
	s_mov_b32 s8, exec_lo
	v_cmpx_gt_i64_e64 s[4:5], v[205:206]
	s_cbranch_execz .LBB176_162
; %bb.161:                              ;   in Loop: Header=BB176_145 Depth=1
	scratch_load_b32 v8, off, off offset:140 ; 4-byte Folded Reload
	s_wait_loadcnt 0x0
	v_add_co_u32 v205, vcc_lo, v8, v158
	scratch_load_b32 v8, off, off offset:144 ; 4-byte Folded Reload
	s_wait_loadcnt 0x0
	s_wait_alu 0xfffd
	v_add_co_ci_u32_e64 v206, null, v8, v159, vcc_lo
	scratch_load_b32 v8, off, off offset:132 ; 4-byte Folded Reload
	s_wait_loadcnt 0x0
	v_add_co_u32 v207, vcc_lo, v8, v158
	scratch_load_b32 v8, off, off offset:136 ; 4-byte Folded Reload
	s_wait_loadcnt 0x0
	s_wait_alu 0xfffd
	v_add_co_ci_u32_e64 v208, null, v8, v159, vcc_lo
	global_load_u16 v8, v[205:206], off
	global_load_u16 v202, v[207:208], off
	s_wait_loadcnt 0x1
	v_cvt_f32_f16_e32 v8, v8
	scratch_store_b32 off, v8, off offset:248 ; 4-byte Folded Spill
	s_wait_loadcnt 0x0
	v_cvt_f32_f16_e64 v8, v202
.LBB176_162:                            ;   in Loop: Header=BB176_145 Depth=1
	s_wait_alu 0xfffe
	s_or_b32 exec_lo, exec_lo, s8
	v_mov_b32_e32 v202, 0
	v_add_co_u32 v205, vcc_lo, v160, 7
	s_wait_alu 0xfffd
	v_add_co_ci_u32_e64 v206, null, 0, v161, vcc_lo
	scratch_store_b32 off, v202, off offset:256 ; 4-byte Folded Spill
	v_mov_b32_e32 v202, 0
	s_mov_b32 s8, exec_lo
	scratch_store_b32 off, v202, off offset:260 ; 4-byte Folded Spill
	v_cmpx_gt_i64_e64 s[4:5], v[205:206]
	s_cbranch_execz .LBB176_164
; %bb.163:                              ;   in Loop: Header=BB176_145 Depth=1
	scratch_load_b32 v9, off, off offset:124 ; 4-byte Folded Reload
	s_wait_loadcnt 0x0
	v_add_co_u32 v205, vcc_lo, v9, v158
	scratch_load_b32 v9, off, off offset:128 ; 4-byte Folded Reload
	s_wait_loadcnt 0x0
	s_wait_alu 0xfffd
	v_add_co_ci_u32_e64 v206, null, v9, v159, vcc_lo
	scratch_load_b32 v9, off, off offset:116 ; 4-byte Folded Reload
	s_wait_loadcnt 0x0
	v_add_co_u32 v207, vcc_lo, v9, v158
	scratch_load_b32 v9, off, off offset:120 ; 4-byte Folded Reload
	s_wait_loadcnt 0x0
	s_wait_alu 0xfffd
	v_add_co_ci_u32_e64 v208, null, v9, v159, vcc_lo
	global_load_u16 v9, v[205:206], off
	global_load_u16 v202, v[207:208], off
	s_wait_loadcnt 0x1
	v_cvt_f32_f16_e32 v9, v9
	scratch_store_b32 off, v9, off offset:260 ; 4-byte Folded Spill
	s_wait_loadcnt 0x0
	v_cvt_f32_f16_e64 v9, v202
.LBB176_164:                            ;   in Loop: Header=BB176_145 Depth=1
	s_wait_alu 0xfffe
	s_or_b32 exec_lo, exec_lo, s8
	v_add_co_u32 v205, vcc_lo, v160, 8
	s_wait_alu 0xfffd
	v_add_co_ci_u32_e64 v206, null, 0, v161, vcc_lo
	s_mov_b32 s8, exec_lo
	v_cmpx_gt_i64_e64 s[4:5], v[205:206]
	s_cbranch_execz .LBB176_166
; %bb.165:                              ;   in Loop: Header=BB176_145 Depth=1
	scratch_load_b32 v10, off, off offset:108 ; 4-byte Folded Reload
	s_wait_loadcnt 0x0
	v_add_co_u32 v205, vcc_lo, v10, v158
	scratch_load_b32 v10, off, off offset:112 ; 4-byte Folded Reload
	s_wait_loadcnt 0x0
	s_wait_alu 0xfffd
	v_add_co_ci_u32_e64 v206, null, v10, v159, vcc_lo
	scratch_load_b32 v10, off, off offset:100 ; 4-byte Folded Reload
	s_wait_loadcnt 0x0
	v_add_co_u32 v207, vcc_lo, v10, v158
	scratch_load_b32 v10, off, off offset:104 ; 4-byte Folded Reload
	s_wait_loadcnt 0x0
	s_wait_alu 0xfffd
	v_add_co_ci_u32_e64 v208, null, v10, v159, vcc_lo
	global_load_u16 v10, v[205:206], off
	global_load_u16 v202, v[207:208], off
	s_wait_loadcnt 0x1
	v_cvt_f32_f16_e32 v10, v10
	scratch_store_b32 off, v10, off offset:256 ; 4-byte Folded Spill
	s_wait_loadcnt 0x0
	v_cvt_f32_f16_e64 v10, v202
.LBB176_166:                            ;   in Loop: Header=BB176_145 Depth=1
	s_wait_alu 0xfffe
	s_or_b32 exec_lo, exec_lo, s8
	v_mov_b32_e32 v202, 0
	v_add_co_u32 v205, vcc_lo, v160, 9
	s_wait_alu 0xfffd
	v_add_co_ci_u32_e64 v206, null, 0, v161, vcc_lo
	scratch_store_b32 off, v202, off offset:264 ; 4-byte Folded Spill
	v_mov_b32_e32 v202, 0
	s_mov_b32 s8, exec_lo
	scratch_store_b32 off, v202, off offset:268 ; 4-byte Folded Spill
	v_cmpx_gt_i64_e64 s[4:5], v[205:206]
	s_cbranch_execz .LBB176_168
; %bb.167:                              ;   in Loop: Header=BB176_145 Depth=1
	scratch_load_b32 v11, off, off offset:92 ; 4-byte Folded Reload
	s_wait_loadcnt 0x0
	v_add_co_u32 v205, vcc_lo, v11, v158
	scratch_load_b32 v11, off, off offset:96 ; 4-byte Folded Reload
	s_wait_loadcnt 0x0
	s_wait_alu 0xfffd
	v_add_co_ci_u32_e64 v206, null, v11, v159, vcc_lo
	scratch_load_b32 v11, off, off offset:84 ; 4-byte Folded Reload
	s_wait_loadcnt 0x0
	v_add_co_u32 v207, vcc_lo, v11, v158
	scratch_load_b32 v11, off, off offset:88 ; 4-byte Folded Reload
	s_wait_loadcnt 0x0
	s_wait_alu 0xfffd
	v_add_co_ci_u32_e64 v208, null, v11, v159, vcc_lo
	global_load_u16 v11, v[205:206], off
	global_load_u16 v202, v[207:208], off
	s_wait_loadcnt 0x1
	v_cvt_f32_f16_e32 v11, v11
	scratch_store_b32 off, v11, off offset:268 ; 4-byte Folded Spill
	s_wait_loadcnt 0x0
	v_cvt_f32_f16_e64 v11, v202
.LBB176_168:                            ;   in Loop: Header=BB176_145 Depth=1
	s_wait_alu 0xfffe
	s_or_b32 exec_lo, exec_lo, s8
	v_add_co_u32 v205, vcc_lo, v160, 10
	s_wait_alu 0xfffd
	v_add_co_ci_u32_e64 v206, null, 0, v161, vcc_lo
	s_mov_b32 s8, exec_lo
	v_cmpx_gt_i64_e64 s[4:5], v[205:206]
	s_cbranch_execz .LBB176_170
; %bb.169:                              ;   in Loop: Header=BB176_145 Depth=1
	scratch_load_b32 v12, off, off offset:76 ; 4-byte Folded Reload
	s_wait_loadcnt 0x0
	v_add_co_u32 v205, vcc_lo, v12, v158
	scratch_load_b32 v12, off, off offset:80 ; 4-byte Folded Reload
	s_wait_loadcnt 0x0
	s_wait_alu 0xfffd
	v_add_co_ci_u32_e64 v206, null, v12, v159, vcc_lo
	scratch_load_b32 v12, off, off offset:68 ; 4-byte Folded Reload
	s_wait_loadcnt 0x0
	v_add_co_u32 v207, vcc_lo, v12, v158
	scratch_load_b32 v12, off, off offset:72 ; 4-byte Folded Reload
	s_wait_loadcnt 0x0
	s_wait_alu 0xfffd
	v_add_co_ci_u32_e64 v208, null, v12, v159, vcc_lo
	global_load_u16 v12, v[205:206], off
	global_load_u16 v202, v[207:208], off
	s_wait_loadcnt 0x1
	v_cvt_f32_f16_e32 v12, v12
	scratch_store_b32 off, v12, off offset:264 ; 4-byte Folded Spill
	s_wait_loadcnt 0x0
	v_cvt_f32_f16_e64 v12, v202
.LBB176_170:                            ;   in Loop: Header=BB176_145 Depth=1
	s_wait_alu 0xfffe
	s_or_b32 exec_lo, exec_lo, s8
	v_mov_b32_e32 v202, 0
	v_add_co_u32 v205, vcc_lo, v160, 11
	s_wait_alu 0xfffd
	v_add_co_ci_u32_e64 v206, null, 0, v161, vcc_lo
	scratch_store_b32 off, v202, off offset:272 ; 4-byte Folded Spill
	v_mov_b32_e32 v202, 0
	s_mov_b32 s8, exec_lo
	scratch_store_b32 off, v202, off offset:276 ; 4-byte Folded Spill
	v_cmpx_gt_i64_e64 s[4:5], v[205:206]
	s_cbranch_execz .LBB176_172
; %bb.171:                              ;   in Loop: Header=BB176_145 Depth=1
	scratch_load_b32 v13, off, off offset:60 ; 4-byte Folded Reload
	s_wait_loadcnt 0x0
	v_add_co_u32 v205, vcc_lo, v13, v158
	scratch_load_b32 v13, off, off offset:64 ; 4-byte Folded Reload
	s_wait_loadcnt 0x0
	s_wait_alu 0xfffd
	v_add_co_ci_u32_e64 v206, null, v13, v159, vcc_lo
	scratch_load_b32 v13, off, off offset:52 ; 4-byte Folded Reload
	s_wait_loadcnt 0x0
	v_add_co_u32 v207, vcc_lo, v13, v158
	scratch_load_b32 v13, off, off offset:56 ; 4-byte Folded Reload
	s_wait_loadcnt 0x0
	s_wait_alu 0xfffd
	v_add_co_ci_u32_e64 v208, null, v13, v159, vcc_lo
	global_load_u16 v13, v[205:206], off
	global_load_u16 v202, v[207:208], off
	s_wait_loadcnt 0x1
	v_cvt_f32_f16_e32 v13, v13
	scratch_store_b32 off, v13, off offset:276 ; 4-byte Folded Spill
	s_wait_loadcnt 0x0
	v_cvt_f32_f16_e64 v13, v202
.LBB176_172:                            ;   in Loop: Header=BB176_145 Depth=1
	s_wait_alu 0xfffe
	s_or_b32 exec_lo, exec_lo, s8
	v_add_co_u32 v205, vcc_lo, v160, 12
	s_wait_alu 0xfffd
	v_add_co_ci_u32_e64 v206, null, 0, v161, vcc_lo
	s_mov_b32 s8, exec_lo
	v_cmpx_gt_i64_e64 s[4:5], v[205:206]
	s_cbranch_execz .LBB176_174
; %bb.173:                              ;   in Loop: Header=BB176_145 Depth=1
	scratch_load_b32 v14, off, off offset:44 ; 4-byte Folded Reload
	s_wait_loadcnt 0x0
	v_add_co_u32 v205, vcc_lo, v14, v158
	scratch_load_b32 v14, off, off offset:48 ; 4-byte Folded Reload
	s_wait_loadcnt 0x0
	s_wait_alu 0xfffd
	v_add_co_ci_u32_e64 v206, null, v14, v159, vcc_lo
	scratch_load_b32 v14, off, off offset:36 ; 4-byte Folded Reload
	s_wait_loadcnt 0x0
	v_add_co_u32 v207, vcc_lo, v14, v158
	scratch_load_b32 v14, off, off offset:40 ; 4-byte Folded Reload
	s_wait_loadcnt 0x0
	s_wait_alu 0xfffd
	v_add_co_ci_u32_e64 v208, null, v14, v159, vcc_lo
	global_load_u16 v14, v[205:206], off
	global_load_u16 v202, v[207:208], off
	s_wait_loadcnt 0x1
	v_cvt_f32_f16_e32 v14, v14
	scratch_store_b32 off, v14, off offset:272 ; 4-byte Folded Spill
	s_wait_loadcnt 0x0
	v_cvt_f32_f16_e64 v14, v202
.LBB176_174:                            ;   in Loop: Header=BB176_145 Depth=1
	s_wait_alu 0xfffe
	s_or_b32 exec_lo, exec_lo, s8
	v_mov_b32_e32 v202, 0
	v_add_co_u32 v205, vcc_lo, v160, 13
	s_wait_alu 0xfffd
	v_add_co_ci_u32_e64 v206, null, 0, v161, vcc_lo
	scratch_store_b32 off, v202, off offset:280 ; 4-byte Folded Spill
	v_mov_b32_e32 v202, 0
	s_mov_b32 s8, exec_lo
	scratch_store_b32 off, v202, off offset:284 ; 4-byte Folded Spill
	v_cmpx_gt_i64_e64 s[4:5], v[205:206]
	s_cbranch_execz .LBB176_176
; %bb.175:                              ;   in Loop: Header=BB176_145 Depth=1
	scratch_load_b32 v15, off, off offset:28 ; 4-byte Folded Reload
	s_wait_loadcnt 0x0
	v_add_co_u32 v205, vcc_lo, v15, v158
	scratch_load_b32 v15, off, off offset:32 ; 4-byte Folded Reload
	s_wait_loadcnt 0x0
	s_wait_alu 0xfffd
	v_add_co_ci_u32_e64 v206, null, v15, v159, vcc_lo
	scratch_load_b32 v15, off, off offset:20 ; 4-byte Folded Reload
	s_wait_loadcnt 0x0
	v_add_co_u32 v207, vcc_lo, v15, v158
	scratch_load_b32 v15, off, off offset:24 ; 4-byte Folded Reload
	s_wait_loadcnt 0x0
	s_wait_alu 0xfffd
	v_add_co_ci_u32_e64 v208, null, v15, v159, vcc_lo
	global_load_u16 v15, v[205:206], off
	global_load_u16 v202, v[207:208], off
	s_wait_loadcnt 0x1
	v_cvt_f32_f16_e32 v15, v15
	scratch_store_b32 off, v15, off offset:284 ; 4-byte Folded Spill
	s_wait_loadcnt 0x0
	v_cvt_f32_f16_e64 v15, v202
.LBB176_176:                            ;   in Loop: Header=BB176_145 Depth=1
	s_wait_alu 0xfffe
	s_or_b32 exec_lo, exec_lo, s8
	v_add_co_u32 v205, vcc_lo, v160, 14
	s_wait_alu 0xfffd
	v_add_co_ci_u32_e64 v206, null, 0, v161, vcc_lo
	s_mov_b32 s8, exec_lo
	v_cmpx_gt_i64_e64 s[4:5], v[205:206]
	s_cbranch_execz .LBB176_178
; %bb.177:                              ;   in Loop: Header=BB176_145 Depth=1
	scratch_load_b32 v16, off, off offset:16 ; 4-byte Folded Reload
	v_add_co_u32 v205, vcc_lo, v221, v158
	s_wait_loadcnt 0x0
	s_wait_alu 0xfffd
	v_add_co_ci_u32_e64 v206, null, v16, v159, vcc_lo
	v_add_co_u32 v207, vcc_lo, v199, v158
	s_wait_alu 0xfffd
	v_add_co_ci_u32_e64 v208, null, v200, v159, vcc_lo
	global_load_u16 v16, v[205:206], off
	global_load_u16 v202, v[207:208], off
	s_wait_loadcnt 0x1
	v_cvt_f32_f16_e32 v16, v16
	scratch_store_b32 off, v16, off offset:280 ; 4-byte Folded Spill
	s_wait_loadcnt 0x0
	v_cvt_f32_f16_e64 v16, v202
.LBB176_178:                            ;   in Loop: Header=BB176_145 Depth=1
	s_wait_alu 0xfffe
	s_or_b32 exec_lo, exec_lo, s8
	v_mov_b32_e32 v202, 0
	v_add_co_u32 v205, vcc_lo, v160, 15
	s_wait_alu 0xfffd
	v_add_co_ci_u32_e64 v206, null, 0, v161, vcc_lo
	scratch_store_b32 off, v202, off offset:288 ; 4-byte Folded Spill
	v_mov_b32_e32 v202, 0
	s_mov_b32 s8, exec_lo
	scratch_store_b32 off, v202, off offset:292 ; 4-byte Folded Spill
	v_cmpx_gt_i64_e64 s[4:5], v[205:206]
	s_cbranch_execz .LBB176_180
; %bb.179:                              ;   in Loop: Header=BB176_145 Depth=1
	v_add_co_u32 v205, vcc_lo, v197, v158
	s_wait_alu 0xfffd
	v_add_co_ci_u32_e64 v206, null, v198, v159, vcc_lo
	v_add_co_u32 v207, vcc_lo, v195, v158
	s_wait_alu 0xfffd
	v_add_co_ci_u32_e64 v208, null, v196, v159, vcc_lo
	global_load_u16 v17, v[205:206], off
	global_load_u16 v202, v[207:208], off
	s_wait_loadcnt 0x1
	v_cvt_f32_f16_e32 v17, v17
	scratch_store_b32 off, v17, off offset:292 ; 4-byte Folded Spill
	s_wait_loadcnt 0x0
	v_cvt_f32_f16_e64 v17, v202
.LBB176_180:                            ;   in Loop: Header=BB176_145 Depth=1
	s_wait_alu 0xfffe
	s_or_b32 exec_lo, exec_lo, s8
	v_add_co_u32 v205, vcc_lo, v160, 16
	s_wait_alu 0xfffd
	v_add_co_ci_u32_e64 v206, null, 0, v161, vcc_lo
	s_mov_b32 s8, exec_lo
	v_cmpx_gt_i64_e64 s[4:5], v[205:206]
	s_cbranch_execz .LBB176_182
; %bb.181:                              ;   in Loop: Header=BB176_145 Depth=1
	v_add_co_u32 v205, vcc_lo, v193, v158
	s_wait_alu 0xfffd
	v_add_co_ci_u32_e64 v206, null, v194, v159, vcc_lo
	v_add_co_u32 v207, vcc_lo, v191, v158
	s_wait_alu 0xfffd
	v_add_co_ci_u32_e64 v208, null, v192, v159, vcc_lo
	global_load_u16 v18, v[205:206], off
	global_load_u16 v202, v[207:208], off
	s_wait_loadcnt 0x1
	v_cvt_f32_f16_e32 v18, v18
	scratch_store_b32 off, v18, off offset:288 ; 4-byte Folded Spill
	s_wait_loadcnt 0x0
	v_cvt_f32_f16_e64 v18, v202
.LBB176_182:                            ;   in Loop: Header=BB176_145 Depth=1
	s_wait_alu 0xfffe
	s_or_b32 exec_lo, exec_lo, s8
	v_add_co_u32 v205, vcc_lo, v160, 17
	s_wait_alu 0xfffd
	v_add_co_ci_u32_e64 v206, null, 0, v161, vcc_lo
	v_mov_b32_e32 v202, 0
	s_delay_alu instid0(VALU_DEP_2)
	v_cmp_gt_i64_e32 vcc_lo, s[4:5], v[205:206]
	v_mov_b32_e32 v205, 0
	s_and_saveexec_b32 s8, vcc_lo
	s_cbranch_execz .LBB176_184
; %bb.183:                              ;   in Loop: Header=BB176_145 Depth=1
	v_add_co_u32 v205, vcc_lo, v189, v158
	s_wait_alu 0xfffd
	v_add_co_ci_u32_e64 v206, null, v190, v159, vcc_lo
	v_add_co_u32 v207, vcc_lo, v187, v158
	s_wait_alu 0xfffd
	v_add_co_ci_u32_e64 v208, null, v188, v159, vcc_lo
	global_load_u16 v19, v[205:206], off
	v_mov_b32_e32 v205, 0
	global_load_u16 v206, v[207:208], off
	s_wait_loadcnt 0x1
	v_cvt_f32_f16_e64 v202, v19
	s_wait_loadcnt 0x0
	v_cvt_f32_f16_e64 v19, v206
.LBB176_184:                            ;   in Loop: Header=BB176_145 Depth=1
	s_wait_alu 0xfffe
	s_or_b32 exec_lo, exec_lo, s8
	v_add_co_u32 v206, vcc_lo, v160, 18
	s_wait_alu 0xfffd
	v_add_co_ci_u32_e64 v207, null, 0, v161, vcc_lo
	s_mov_b32 s8, exec_lo
	v_cmpx_gt_i64_e64 s[4:5], v[206:207]
	s_cbranch_execz .LBB176_186
; %bb.185:                              ;   in Loop: Header=BB176_145 Depth=1
	v_add_co_u32 v206, vcc_lo, v185, v158
	s_wait_alu 0xfffd
	v_add_co_ci_u32_e64 v207, null, v186, v159, vcc_lo
	v_add_co_u32 v208, vcc_lo, v183, v158
	s_wait_alu 0xfffd
	v_add_co_ci_u32_e64 v209, null, v184, v159, vcc_lo
	global_load_u16 v20, v[206:207], off
	global_load_u16 v206, v[208:209], off
	s_wait_loadcnt 0x1
	v_cvt_f32_f16_e64 v205, v20
	s_wait_loadcnt 0x0
	v_cvt_f32_f16_e64 v20, v206
.LBB176_186:                            ;   in Loop: Header=BB176_145 Depth=1
	s_wait_alu 0xfffe
	s_or_b32 exec_lo, exec_lo, s8
	v_add_co_u32 v206, vcc_lo, v160, 19
	s_wait_alu 0xfffd
	v_add_co_ci_u32_e64 v207, null, 0, v161, vcc_lo
	s_delay_alu instid0(VALU_DEP_1)
	v_cmp_gt_i64_e32 vcc_lo, s[4:5], v[206:207]
	v_dual_mov_b32 v206, 0 :: v_dual_mov_b32 v207, 0
	scratch_store_b32 off, v207, off offset:296 ; 4-byte Folded Spill
	s_and_saveexec_b32 s8, vcc_lo
	s_cbranch_execz .LBB176_188
; %bb.187:                              ;   in Loop: Header=BB176_145 Depth=1
	v_add_co_u32 v207, vcc_lo, v181, v158
	s_wait_alu 0xfffd
	v_add_co_ci_u32_e64 v208, null, v182, v159, vcc_lo
	v_add_co_u32 v209, vcc_lo, v179, v158
	s_wait_alu 0xfffd
	v_add_co_ci_u32_e64 v210, null, v180, v159, vcc_lo
	global_load_u16 v21, v[207:208], off
	global_load_u16 v208, v[209:210], off
	s_wait_loadcnt 0x1
	v_cvt_f32_f16_e32 v21, v21
	scratch_store_b32 off, v21, off offset:296 ; 4-byte Folded Spill
	s_wait_loadcnt 0x0
	v_cvt_f32_f16_e64 v21, v208
.LBB176_188:                            ;   in Loop: Header=BB176_145 Depth=1
	s_wait_alu 0xfffe
	s_or_b32 exec_lo, exec_lo, s8
	v_add_co_u32 v208, vcc_lo, v160, 20
	s_wait_alu 0xfffd
	v_add_co_ci_u32_e64 v209, null, 0, v161, vcc_lo
	s_mov_b32 s8, exec_lo
	v_cmpx_gt_i64_e64 s[4:5], v[208:209]
	s_cbranch_execz .LBB176_190
; %bb.189:                              ;   in Loop: Header=BB176_145 Depth=1
	v_add_co_u32 v208, vcc_lo, v177, v158
	s_wait_alu 0xfffd
	v_add_co_ci_u32_e64 v209, null, v178, v159, vcc_lo
	v_add_co_u32 v210, vcc_lo, v175, v158
	s_wait_alu 0xfffd
	v_add_co_ci_u32_e64 v211, null, v176, v159, vcc_lo
	global_load_u16 v22, v[208:209], off
	global_load_u16 v208, v[210:211], off
	s_wait_loadcnt 0x1
	v_cvt_f32_f16_e64 v206, v22
	s_wait_loadcnt 0x0
	v_cvt_f32_f16_e64 v22, v208
.LBB176_190:                            ;   in Loop: Header=BB176_145 Depth=1
	s_wait_alu 0xfffe
	s_or_b32 exec_lo, exec_lo, s8
	v_add_co_u32 v208, vcc_lo, v160, 21
	s_wait_alu 0xfffd
	v_add_co_ci_u32_e64 v209, null, 0, v161, vcc_lo
	s_delay_alu instid0(VALU_DEP_1)
	v_cmp_gt_i64_e32 vcc_lo, s[4:5], v[208:209]
	v_dual_mov_b32 v208, 0 :: v_dual_mov_b32 v209, 0
	s_and_saveexec_b32 s8, vcc_lo
	s_cbranch_execz .LBB176_192
; %bb.191:                              ;   in Loop: Header=BB176_145 Depth=1
	v_add_co_u32 v209, vcc_lo, v173, v158
	s_wait_alu 0xfffd
	v_add_co_ci_u32_e64 v210, null, v174, v159, vcc_lo
	v_add_co_u32 v211, vcc_lo, v171, v158
	s_wait_alu 0xfffd
	v_add_co_ci_u32_e64 v212, null, v172, v159, vcc_lo
	global_load_u16 v23, v[209:210], off
	global_load_u16 v210, v[211:212], off
	s_wait_loadcnt 0x1
	v_cvt_f32_f16_e64 v209, v23
	s_wait_loadcnt 0x0
	v_cvt_f32_f16_e64 v23, v210
.LBB176_192:                            ;   in Loop: Header=BB176_145 Depth=1
	s_wait_alu 0xfffe
	s_or_b32 exec_lo, exec_lo, s8
	v_add_co_u32 v210, vcc_lo, v160, 22
	s_wait_alu 0xfffd
	v_add_co_ci_u32_e64 v211, null, 0, v161, vcc_lo
	s_mov_b32 s8, exec_lo
	v_cmpx_gt_i64_e64 s[4:5], v[210:211]
	s_cbranch_execz .LBB176_194
; %bb.193:                              ;   in Loop: Header=BB176_145 Depth=1
	v_add_co_u32 v210, vcc_lo, v169, v158
	s_wait_alu 0xfffd
	v_add_co_ci_u32_e64 v211, null, v170, v159, vcc_lo
	v_add_co_u32 v212, vcc_lo, v163, v158
	s_wait_alu 0xfffd
	v_add_co_ci_u32_e64 v213, null, v168, v159, vcc_lo
	global_load_u16 v24, v[210:211], off
	global_load_u16 v210, v[212:213], off
	s_wait_loadcnt 0x1
	v_cvt_f32_f16_e64 v208, v24
	s_wait_loadcnt 0x0
	v_cvt_f32_f16_e64 v24, v210
.LBB176_194:                            ;   in Loop: Header=BB176_145 Depth=1
	s_wait_alu 0xfffe
	s_or_b32 exec_lo, exec_lo, s8
	v_add_co_u32 v210, vcc_lo, v160, 23
	s_wait_alu 0xfffd
	v_add_co_ci_u32_e64 v211, null, 0, v161, vcc_lo
	s_delay_alu instid0(VALU_DEP_1)
	v_cmp_gt_i64_e32 vcc_lo, s[4:5], v[210:211]
	v_dual_mov_b32 v210, 0 :: v_dual_mov_b32 v211, 0
	s_and_saveexec_b32 s8, vcc_lo
	s_cbranch_execz .LBB176_196
; %bb.195:                              ;   in Loop: Header=BB176_145 Depth=1
	v_add_co_u32 v211, vcc_lo, v162, v158
	s_wait_alu 0xfffd
	v_add_co_ci_u32_e64 v212, null, v0, v159, vcc_lo
	v_add_co_u32 v213, vcc_lo, v254, v158
	s_wait_alu 0xfffd
	v_add_co_ci_u32_e64 v214, null, v255, v159, vcc_lo
	global_load_u16 v25, v[211:212], off
	global_load_u16 v212, v[213:214], off
	s_wait_loadcnt 0x1
	v_cvt_f32_f16_e64 v211, v25
	s_wait_loadcnt 0x0
	v_cvt_f32_f16_e64 v25, v212
.LBB176_196:                            ;   in Loop: Header=BB176_145 Depth=1
	s_wait_alu 0xfffe
	s_or_b32 exec_lo, exec_lo, s8
	v_add_co_u32 v212, vcc_lo, v160, 24
	s_wait_alu 0xfffd
	v_add_co_ci_u32_e64 v213, null, 0, v161, vcc_lo
	s_mov_b32 s8, exec_lo
	v_cmpx_gt_i64_e64 s[4:5], v[212:213]
	s_cbranch_execz .LBB176_198
; %bb.197:                              ;   in Loop: Header=BB176_145 Depth=1
	v_add_co_u32 v212, vcc_lo, v252, v158
	s_wait_alu 0xfffd
	v_add_co_ci_u32_e64 v213, null, v253, v159, vcc_lo
	v_add_co_u32 v214, vcc_lo, v250, v158
	s_wait_alu 0xfffd
	v_add_co_ci_u32_e64 v215, null, v251, v159, vcc_lo
	global_load_u16 v26, v[212:213], off
	global_load_u16 v212, v[214:215], off
	s_wait_loadcnt 0x1
	v_cvt_f32_f16_e64 v210, v26
	s_wait_loadcnt 0x0
	v_cvt_f32_f16_e64 v26, v212
.LBB176_198:                            ;   in Loop: Header=BB176_145 Depth=1
	s_wait_alu 0xfffe
	s_or_b32 exec_lo, exec_lo, s8
	v_add_co_u32 v212, vcc_lo, v160, 25
	s_wait_alu 0xfffd
	v_add_co_ci_u32_e64 v213, null, 0, v161, vcc_lo
	v_mov_b32_e32 v37, 0
	s_delay_alu instid0(VALU_DEP_2)
	v_cmp_gt_i64_e32 vcc_lo, s[4:5], v[212:213]
	v_mov_b32_e32 v212, 0
	s_and_saveexec_b32 s8, vcc_lo
	s_cbranch_execz .LBB176_200
; %bb.199:                              ;   in Loop: Header=BB176_145 Depth=1
	v_add_co_u32 v213, vcc_lo, v248, v158
	s_wait_alu 0xfffd
	v_add_co_ci_u32_e64 v214, null, v249, v159, vcc_lo
	v_add_co_u32 v215, vcc_lo, v246, v158
	s_wait_alu 0xfffd
	v_add_co_ci_u32_e64 v216, null, v247, v159, vcc_lo
	global_load_u16 v27, v[213:214], off
	global_load_u16 v214, v[215:216], off
	s_wait_loadcnt 0x1
	v_cvt_f32_f16_e32 v37, v27
	s_wait_loadcnt 0x0
	v_cvt_f32_f16_e64 v27, v214
.LBB176_200:                            ;   in Loop: Header=BB176_145 Depth=1
	s_wait_alu 0xfffe
	s_or_b32 exec_lo, exec_lo, s8
	v_add_co_u32 v214, vcc_lo, v160, 26
	s_wait_alu 0xfffd
	v_add_co_ci_u32_e64 v215, null, 0, v161, vcc_lo
	s_mov_b32 s8, exec_lo
	v_cmpx_gt_i64_e64 s[4:5], v[214:215]
	s_cbranch_execz .LBB176_202
; %bb.201:                              ;   in Loop: Header=BB176_145 Depth=1
	v_add_co_u32 v214, vcc_lo, v244, v158
	s_wait_alu 0xfffd
	v_add_co_ci_u32_e64 v215, null, v245, v159, vcc_lo
	v_add_co_u32 v216, vcc_lo, v242, v158
	s_wait_alu 0xfffd
	v_add_co_ci_u32_e64 v217, null, v243, v159, vcc_lo
	global_load_u16 v28, v[214:215], off
	global_load_u16 v214, v[216:217], off
	s_wait_loadcnt 0x1
	v_cvt_f32_f16_e64 v212, v28
	s_wait_loadcnt 0x0
	v_cvt_f32_f16_e64 v28, v214
.LBB176_202:                            ;   in Loop: Header=BB176_145 Depth=1
	s_wait_alu 0xfffe
	s_or_b32 exec_lo, exec_lo, s8
	v_add_co_u32 v214, vcc_lo, v160, 27
	s_wait_alu 0xfffd
	v_add_co_ci_u32_e64 v215, null, 0, v161, vcc_lo
	v_dual_mov_b32 v105, 0 :: v_dual_mov_b32 v36, 0
	s_mov_b32 s8, exec_lo
	s_delay_alu instid0(VALU_DEP_2)
	v_cmpx_gt_i64_e64 s[4:5], v[214:215]
	s_cbranch_execz .LBB176_204
; %bb.203:                              ;   in Loop: Header=BB176_145 Depth=1
	v_add_co_u32 v215, vcc_lo, v240, v158
	s_wait_alu 0xfffd
	v_add_co_ci_u32_e64 v216, null, v241, v159, vcc_lo
	v_add_co_u32 v217, vcc_lo, v238, v158
	s_wait_alu 0xfffd
	v_add_co_ci_u32_e64 v218, null, v239, v159, vcc_lo
	global_load_u16 v29, v[215:216], off
	global_load_u16 v216, v[217:218], off
	s_wait_loadcnt 0x1
	v_cvt_f32_f16_e32 v36, v29
	s_wait_loadcnt 0x0
	v_cvt_f32_f16_e64 v29, v216
.LBB176_204:                            ;   in Loop: Header=BB176_145 Depth=1
	s_wait_alu 0xfffe
	s_or_b32 exec_lo, exec_lo, s8
	v_add_co_u32 v216, vcc_lo, v160, 28
	s_wait_alu 0xfffd
	v_add_co_ci_u32_e64 v217, null, 0, v161, vcc_lo
	s_mov_b32 s8, exec_lo
	v_cmpx_gt_i64_e64 s[4:5], v[216:217]
	s_cbranch_execz .LBB176_206
; %bb.205:                              ;   in Loop: Header=BB176_145 Depth=1
	v_add_co_u32 v216, vcc_lo, v236, v158
	s_wait_alu 0xfffd
	v_add_co_ci_u32_e64 v217, null, v237, v159, vcc_lo
	v_add_co_u32 v218, vcc_lo, v234, v158
	s_wait_alu 0xfffd
	v_add_co_ci_u32_e64 v219, null, v235, v159, vcc_lo
	global_load_u16 v30, v[216:217], off
	global_load_u16 v216, v[218:219], off
	s_wait_loadcnt 0x1
	v_cvt_f32_f16_e32 v105, v30
	s_wait_loadcnt 0x0
	v_cvt_f32_f16_e64 v30, v216
.LBB176_206:                            ;   in Loop: Header=BB176_145 Depth=1
	s_wait_alu 0xfffe
	s_or_b32 exec_lo, exec_lo, s8
	v_add_co_u32 v216, vcc_lo, v160, 29
	s_wait_alu 0xfffd
	v_add_co_ci_u32_e64 v217, null, 0, v161, vcc_lo
	v_mov_b32_e32 v207, v202
	s_delay_alu instid0(VALU_DEP_2)
	v_cmp_gt_i64_e32 vcc_lo, s[4:5], v[216:217]
	v_dual_mov_b32 v216, 0 :: v_dual_mov_b32 v217, 0
	s_and_saveexec_b32 s8, vcc_lo
	s_cbranch_execz .LBB176_208
; %bb.207:                              ;   in Loop: Header=BB176_145 Depth=1
	v_add_co_u32 v217, vcc_lo, v232, v158
	s_wait_alu 0xfffd
	v_add_co_ci_u32_e64 v218, null, v233, v159, vcc_lo
	v_add_co_u32 v219, vcc_lo, v230, v158
	v_dual_mov_b32 v202, v221 :: v_dual_mov_b32 v221, v223
	v_dual_mov_b32 v223, v222 :: v_dual_mov_b32 v222, v220
	s_wait_alu 0xfffd
	v_add_co_ci_u32_e64 v220, null, v231, v159, vcc_lo
	global_load_u16 v31, v[217:218], off
	global_load_u16 v218, v[219:220], off
	v_mov_b32_e32 v220, v222
	v_dual_mov_b32 v222, v223 :: v_dual_mov_b32 v223, v221
	v_mov_b32_e32 v221, v202
	s_wait_loadcnt 0x1
	v_cvt_f32_f16_e64 v217, v31
	s_wait_loadcnt 0x0
	v_cvt_f32_f16_e64 v31, v218
.LBB176_208:                            ;   in Loop: Header=BB176_145 Depth=1
	s_wait_alu 0xfffe
	s_or_b32 exec_lo, exec_lo, s8
	v_add_co_u32 v218, vcc_lo, v160, 30
	s_wait_alu 0xfffd
	v_add_co_ci_u32_e64 v219, null, 0, v161, vcc_lo
	s_mov_b32 s8, exec_lo
	v_cmpx_gt_i64_e64 s[4:5], v[218:219]
	s_cbranch_execz .LBB176_210
; %bb.209:                              ;   in Loop: Header=BB176_145 Depth=1
	v_add_co_u32 v218, vcc_lo, v228, v158
	s_wait_alu 0xfffd
	v_add_co_ci_u32_e64 v219, null, v229, v159, vcc_lo
	v_mov_b32_e32 v202, v221
	v_mov_b32_e32 v216, v220
	v_add_co_u32 v220, vcc_lo, v226, v158
	s_wait_alu 0xfffd
	v_add_co_ci_u32_e64 v221, null, v227, v159, vcc_lo
	global_load_u16 v32, v[218:219], off
	global_load_u16 v218, v[220:221], off
	v_dual_mov_b32 v221, v202 :: v_dual_mov_b32 v220, v216
	s_wait_loadcnt 0x1
	v_cvt_f32_f16_e64 v216, v32
	s_wait_loadcnt 0x0
	v_cvt_f32_f16_e64 v32, v218
.LBB176_210:                            ;   in Loop: Header=BB176_145 Depth=1
	s_wait_alu 0xfffe
	s_or_b32 exec_lo, exec_lo, s8
	v_add_co_u32 v218, vcc_lo, v160, 31
	s_wait_alu 0xfffd
	v_add_co_ci_u32_e64 v219, null, 0, v161, vcc_lo
	s_delay_alu instid0(VALU_DEP_1)
	v_cmp_gt_i64_e32 vcc_lo, s[4:5], v[218:219]
	v_mov_b32_e32 v218, 0
	s_and_saveexec_b32 s8, vcc_lo
	s_cbranch_execz .LBB176_212
; %bb.211:                              ;   in Loop: Header=BB176_145 Depth=1
	v_dual_mov_b32 v202, v167 :: v_dual_mov_b32 v167, v166
	v_dual_mov_b32 v166, v165 :: v_dual_mov_b32 v165, v164
	v_mov_b32_e32 v164, v200
	v_dual_mov_b32 v200, v199 :: v_dual_mov_b32 v199, v198
	v_dual_mov_b32 v198, v197 :: v_dual_mov_b32 v197, v196
	;; [unrolled: 1-line block ×17, first 2 shown]
	v_mov_b32_e32 v0, v162
	v_dual_mov_b32 v162, v255 :: v_dual_mov_b32 v255, v254
	v_dual_mov_b32 v254, v253 :: v_dual_mov_b32 v253, v252
	;; [unrolled: 1-line block ×15, first 2 shown]
	v_add_co_u32 v218, vcc_lo, v224, v158
	v_mov_b32_e32 v214, v156
	v_dual_mov_b32 v156, v155 :: v_dual_mov_b32 v227, v226
	v_dual_mov_b32 v226, v225 :: v_dual_mov_b32 v155, v154
	v_mov_b32_e32 v154, v153
	s_wait_alu 0xfffd
	v_add_co_ci_u32_e64 v219, null, v225, v159, vcc_lo
	v_dual_mov_b32 v225, v224 :: v_dual_mov_b32 v224, v220
	v_dual_mov_b32 v153, v152 :: v_dual_mov_b32 v152, v151
	v_dual_mov_b32 v151, v150 :: v_dual_mov_b32 v150, v149
	v_dual_mov_b32 v149, v148 :: v_dual_mov_b32 v148, v147
	v_dual_mov_b32 v147, v146 :: v_dual_mov_b32 v146, v145
	v_dual_mov_b32 v145, v144 :: v_dual_mov_b32 v144, v143
	v_dual_mov_b32 v143, v142 :: v_dual_mov_b32 v142, v141
	v_dual_mov_b32 v141, v140 :: v_dual_mov_b32 v140, v139
	v_dual_mov_b32 v139, v138 :: v_dual_mov_b32 v138, v137
	v_dual_mov_b32 v137, v136 :: v_dual_mov_b32 v136, v135
	v_dual_mov_b32 v135, v134 :: v_dual_mov_b32 v134, v133
	v_dual_mov_b32 v133, v132 :: v_dual_mov_b32 v132, v131
	v_dual_mov_b32 v131, v130 :: v_dual_mov_b32 v130, v129
	v_dual_mov_b32 v129, v128 :: v_dual_mov_b32 v128, v127
	v_dual_mov_b32 v127, v126 :: v_dual_mov_b32 v126, v125
	v_dual_mov_b32 v125, v124 :: v_dual_mov_b32 v124, v123
	v_dual_mov_b32 v123, v122 :: v_dual_mov_b32 v122, v121
	v_dual_mov_b32 v121, v120 :: v_dual_mov_b32 v120, v119
	v_dual_mov_b32 v119, v118 :: v_dual_mov_b32 v118, v117
	v_dual_mov_b32 v117, v116 :: v_dual_mov_b32 v116, v115
	v_dual_mov_b32 v115, v114 :: v_dual_mov_b32 v114, v113
	v_dual_mov_b32 v113, v112 :: v_dual_mov_b32 v112, v111
	v_dual_mov_b32 v104, v103 :: v_dual_mov_b32 v111, v110
	v_dual_mov_b32 v110, v109 :: v_dual_mov_b32 v103, v102
	v_dual_mov_b32 v102, v101 :: v_dual_mov_b32 v109, v108
	v_dual_mov_b32 v108, v107 :: v_dual_mov_b32 v101, v100
	v_dual_mov_b32 v100, v99 :: v_dual_mov_b32 v107, v106
	v_dual_mov_b32 v106, v212 :: v_dual_mov_b32 v99, v98
	v_dual_mov_b32 v213, v35 :: v_dual_mov_b32 v98, v97
	v_dual_mov_b32 v212, v34 :: v_dual_mov_b32 v97, v96
	v_mov_b32_e32 v96, v95
	v_dual_mov_b32 v95, v94 :: v_dual_mov_b32 v94, v93
	v_dual_mov_b32 v93, v92 :: v_dual_mov_b32 v92, v91
	;; [unrolled: 1-line block ×25, first 2 shown]
	v_add_co_u32 v220, vcc_lo, v222, v158
	v_dual_mov_b32 v34, v211 :: v_dual_mov_b32 v211, v210
	v_dual_mov_b32 v45, v44 :: v_dual_mov_b32 v44, v43
	;; [unrolled: 1-line block ×7, first 2 shown]
	s_wait_alu 0xfffd
	v_add_co_ci_u32_e64 v221, null, v223, v159, vcc_lo
	global_load_u16 v33, v[218:219], off
	global_load_u16 v219, v[220:221], off
	v_mov_b32_e32 v39, v38
	v_mov_b32_e32 v221, v205
	v_dual_mov_b32 v205, v206 :: v_dual_mov_b32 v206, v201
	s_delay_alu instid0(VALU_DEP_3)
	v_dual_mov_b32 v201, v208 :: v_dual_mov_b32 v38, v39
	v_dual_mov_b32 v208, v209 :: v_dual_mov_b32 v39, v40
	;; [unrolled: 1-line block ×4, first 2 shown]
	v_mov_b32_e32 v42, v43
	v_dual_mov_b32 v43, v44 :: v_dual_mov_b32 v44, v45
	v_dual_mov_b32 v45, v46 :: v_dual_mov_b32 v46, v47
	;; [unrolled: 1-line block ×27, first 2 shown]
	v_mov_b32_e32 v211, v34
	v_dual_mov_b32 v97, v98 :: v_dual_mov_b32 v98, v99
	v_dual_mov_b32 v34, v212 :: v_dual_mov_b32 v99, v100
	;; [unrolled: 1-line block ×3, first 2 shown]
	v_mov_b32_e32 v212, v106
	v_dual_mov_b32 v106, v107 :: v_dual_mov_b32 v101, v102
	v_dual_mov_b32 v102, v103 :: v_dual_mov_b32 v107, v108
	v_mov_b32_e32 v108, v109
	v_dual_mov_b32 v109, v110 :: v_dual_mov_b32 v110, v111
	v_dual_mov_b32 v111, v112 :: v_dual_mov_b32 v112, v113
	;; [unrolled: 1-line block ×22, first 2 shown]
	v_mov_b32_e32 v220, v224
	v_dual_mov_b32 v224, v225 :: v_dual_mov_b32 v225, v226
	v_dual_mov_b32 v153, v154 :: v_dual_mov_b32 v154, v155
	;; [unrolled: 1-line block ×4, first 2 shown]
	v_mov_b32_e32 v103, v104
	v_dual_mov_b32 v157, v215 :: v_dual_mov_b32 v228, v229
	v_dual_mov_b32 v229, v230 :: v_dual_mov_b32 v230, v231
	;; [unrolled: 1-line block ×32, first 2 shown]
	v_mov_b32_e32 v200, v164
	v_dual_mov_b32 v164, v165 :: v_dual_mov_b32 v165, v166
	v_dual_mov_b32 v166, v167 :: v_dual_mov_b32 v167, v202
	s_wait_loadcnt 0x1
	v_cvt_f32_f16_e64 v218, v33
	s_wait_loadcnt 0x0
	v_cvt_f32_f16_e64 v33, v219
.LBB176_212:                            ;   in Loop: Header=BB176_145 Depth=1
	s_wait_alu 0xfffe
	s_or_b32 exec_lo, exec_lo, s8
	scratch_load_b32 v202, off, off offset:228 th:TH_LOAD_LU ; 4-byte Folded Reload
	v_mul_f32_e32 v22, v206, v22
	v_mul_f32_e32 v26, v210, v26
	s_mov_b32 s8, 0
	v_dual_mul_f32 v19, v207, v19 :: v_dual_mul_f32 v20, v205, v20
	v_dual_mul_f32 v23, v209, v23 :: v_dual_mul_f32 v24, v208, v24
	;; [unrolled: 1-line block ×3, first 2 shown]
	v_mul_f32_e32 v27, v37, v27
	v_dual_mul_f32 v30, v105, v30 :: v_dual_mul_f32 v29, v36, v29
	v_dual_mul_f32 v32, v216, v32 :: v_dual_mul_f32 v31, v217, v31
	s_wait_loadcnt 0x0
	v_mul_f32_e32 v2, v202, v2
	scratch_load_b32 v202, off, off offset:236 th:TH_LOAD_LU ; 4-byte Folded Reload
	s_wait_loadcnt 0x0
	v_mul_f32_e32 v3, v202, v3
	scratch_load_b32 v202, off, off offset:232 th:TH_LOAD_LU ; 4-byte Folded Reload
	;; [unrolled: 3-line block ×17, first 2 shown]
	s_wait_loadcnt 0x0
	v_mul_f32_e32 v21, v202, v21
	ds_bpermute_b32 v202, v1, v203
	s_wait_dscnt 0x0
	v_fma_f32 v202, v2, v202, v204
	ds_bpermute_b32 v2, v1, v203 offset:4
	s_wait_dscnt 0x0
	v_fmac_f32_e32 v202, v3, v2
	ds_bpermute_b32 v2, v1, v203 offset:8
	ds_bpermute_b32 v3, v1, v203 offset:104
	s_wait_dscnt 0x1
	v_fmac_f32_e32 v202, v4, v2
	ds_bpermute_b32 v2, v1, v203 offset:12
	;; [unrolled: 4-line block ×4, first 2 shown]
	s_wait_dscnt 0x0
	v_fmac_f32_e32 v202, v7, v2
	ds_bpermute_b32 v2, v1, v203 offset:24
	s_wait_dscnt 0x0
	v_dual_mul_f32 v33, v218, v33 :: v_dual_fmac_f32 v202, v8, v2
	ds_bpermute_b32 v2, v1, v203 offset:28
	s_wait_dscnt 0x0
	v_fmac_f32_e32 v202, v9, v2
	ds_bpermute_b32 v2, v1, v203 offset:32
	s_wait_dscnt 0x0
	v_fmac_f32_e32 v202, v10, v2
	;; [unrolled: 3-line block ×19, first 2 shown]
	ds_bpermute_b32 v2, v1, v203 offset:108
	v_fmac_f32_e32 v202, v28, v3
	ds_bpermute_b32 v3, v1, v203 offset:116
	s_wait_dscnt 0x1
	v_fmac_f32_e32 v202, v29, v2
	ds_bpermute_b32 v2, v1, v203 offset:124
	v_fmac_f32_e32 v202, v30, v4
	s_wait_dscnt 0x1
	s_delay_alu instid0(VALU_DEP_1) | instskip(NEXT) | instid1(VALU_DEP_1)
	v_fmac_f32_e32 v202, v31, v3
	v_fmac_f32_e32 v202, v32, v5
	s_wait_dscnt 0x0
	s_delay_alu instid0(VALU_DEP_1)
	v_fmac_f32_e32 v202, v33, v2
.LBB176_213:                            ;   in Loop: Header=BB176_145 Depth=1
	s_wait_alu 0xfffe
	s_and_b32 vcc_lo, exec_lo, s8
	s_wait_alu 0xfffe
	s_cbranch_vccz .LBB176_217
; %bb.214:                              ;   in Loop: Header=BB176_145 Depth=1
	s_load_b32 s8, s[16:17], 0x0
	v_mov_b32_e32 v4, 0
	s_wait_kmcnt 0x0
	s_cmp_lt_u32 ttmp9, s8
	s_cselect_b32 s8, 12, 18
	s_wait_alu 0xfffe
	s_add_nc_u64 s[24:25], s[16:17], s[8:9]
	s_load_u16 s8, s[24:25], 0x0
	s_clause 0x1
	scratch_load_b32 v2, off, off offset:300
	scratch_load_b32 v3, off, off offset:304
	s_wait_loadcnt 0x0
	s_wait_kmcnt 0x0
	v_mad_u32_u24 v2, v2, s8, v3
	s_mov_b32 s8, exec_lo
	s_delay_alu instid0(VALU_DEP_1) | instskip(NEXT) | instid1(VALU_DEP_1)
	v_and_b32_e32 v2, 31, v2
	v_add_co_u32 v2, vcc_lo, v160, v2
	s_wait_alu 0xfffd
	v_add_co_ci_u32_e64 v3, null, 0, v161, vcc_lo
	s_delay_alu instid0(VALU_DEP_1)
	v_cmpx_gt_i64_e64 s[4:5], v[2:3]
	s_cbranch_execz .LBB176_216
; %bb.215:                              ;   in Loop: Header=BB176_145 Depth=1
	v_lshlrev_b64_e32 v[2:3], 2, v[2:3]
	s_delay_alu instid0(VALU_DEP_1) | instskip(SKIP_1) | instid1(VALU_DEP_2)
	v_add_co_u32 v2, vcc_lo, s12, v2
	s_wait_alu 0xfffd
	v_add_co_ci_u32_e64 v3, null, s13, v3, vcc_lo
	global_load_b32 v4, v[2:3], off
.LBB176_216:                            ;   in Loop: Header=BB176_145 Depth=1
	s_wait_alu 0xfffe
	s_or_b32 exec_lo, exec_lo, s8
	v_add_co_u32 v2, vcc_lo, v164, v158
	s_wait_alu 0xfffd
	v_add_co_ci_u32_e64 v3, null, v165, v159, vcc_lo
	global_load_u16 v5, v[2:3], off
	v_add_co_u32 v2, vcc_lo, v166, v158
	s_wait_alu 0xfffd
	v_add_co_ci_u32_e64 v3, null, v167, v159, vcc_lo
	global_load_u16 v2, v[2:3], off
	s_wait_loadcnt 0x1
	v_cvt_f32_f16_e32 v3, v5
	s_wait_loadcnt 0x0
	v_cvt_f32_f16_e32 v2, v2
	s_delay_alu instid0(VALU_DEP_1)
	v_mul_f32_e32 v2, v3, v2
	ds_bpermute_b32 v3, v1, v4
	s_wait_dscnt 0x0
	v_fmac_f32_e32 v204, v2, v3
	scratch_load_b64 v[2:3], off, off       ; 8-byte Folded Reload
	s_wait_loadcnt 0x0
	v_add_co_u32 v2, vcc_lo, v2, v158
	s_wait_alu 0xfffd
	v_add_co_ci_u32_e64 v3, null, v3, v159, vcc_lo
	global_load_u16 v5, v[2:3], off
	v_add_co_u32 v2, vcc_lo, v42, v158
	s_wait_alu 0xfffd
	v_add_co_ci_u32_e64 v3, null, v43, v159, vcc_lo
	global_load_u16 v2, v[2:3], off
	s_wait_loadcnt 0x1
	v_cvt_f32_f16_e32 v3, v5
	s_wait_loadcnt 0x0
	v_cvt_f32_f16_e32 v2, v2
	s_delay_alu instid0(VALU_DEP_1)
	v_mul_f32_e32 v2, v3, v2
	ds_bpermute_b32 v3, v1, v4 offset:4
	s_wait_dscnt 0x0
	v_fmac_f32_e32 v204, v2, v3
	scratch_load_b64 v[2:3], off, off offset:8 ; 8-byte Folded Reload
	s_wait_loadcnt 0x0
	v_add_co_u32 v2, vcc_lo, v2, v158
	s_wait_alu 0xfffd
	v_add_co_ci_u32_e64 v3, null, v3, v159, vcc_lo
	global_load_u16 v5, v[2:3], off
	v_add_co_u32 v2, vcc_lo, v46, v158
	s_wait_alu 0xfffd
	v_add_co_ci_u32_e64 v3, null, v47, v159, vcc_lo
	global_load_u16 v2, v[2:3], off
	s_wait_loadcnt 0x1
	v_cvt_f32_f16_e32 v3, v5
	s_wait_loadcnt 0x0
	v_cvt_f32_f16_e32 v2, v2
	s_delay_alu instid0(VALU_DEP_1)
	v_mul_f32_e32 v2, v3, v2
	ds_bpermute_b32 v3, v1, v4 offset:8
	s_wait_dscnt 0x0
	v_fmac_f32_e32 v204, v2, v3
	v_add_co_u32 v2, vcc_lo, v38, v158
	s_wait_alu 0xfffd
	v_add_co_ci_u32_e64 v3, null, v39, v159, vcc_lo
	global_load_u16 v5, v[2:3], off
	v_add_co_u32 v2, vcc_lo, v48, v158
	s_wait_alu 0xfffd
	v_add_co_ci_u32_e64 v3, null, v49, v159, vcc_lo
	global_load_u16 v2, v[2:3], off
	s_wait_loadcnt 0x1
	v_cvt_f32_f16_e32 v3, v5
	s_wait_loadcnt 0x0
	v_cvt_f32_f16_e32 v2, v2
	s_delay_alu instid0(VALU_DEP_1)
	v_mul_f32_e32 v2, v3, v2
	ds_bpermute_b32 v3, v1, v4 offset:12
	s_wait_dscnt 0x0
	v_fmac_f32_e32 v204, v2, v3
	v_add_co_u32 v2, vcc_lo, v40, v158
	s_wait_alu 0xfffd
	v_add_co_ci_u32_e64 v3, null, v41, v159, vcc_lo
	global_load_u16 v5, v[2:3], off
	v_add_co_u32 v2, vcc_lo, v50, v158
	s_wait_alu 0xfffd
	v_add_co_ci_u32_e64 v3, null, v51, v159, vcc_lo
	global_load_u16 v2, v[2:3], off
	s_wait_loadcnt 0x1
	v_cvt_f32_f16_e32 v3, v5
	s_wait_loadcnt 0x0
	v_cvt_f32_f16_e32 v2, v2
	s_delay_alu instid0(VALU_DEP_1)
	v_mul_f32_e32 v2, v3, v2
	ds_bpermute_b32 v3, v1, v4 offset:16
	s_wait_dscnt 0x0
	v_fmac_f32_e32 v204, v2, v3
	v_add_co_u32 v2, vcc_lo, v44, v158
	s_wait_alu 0xfffd
	v_add_co_ci_u32_e64 v3, null, v45, v159, vcc_lo
	global_load_u16 v5, v[2:3], off
	v_add_co_u32 v2, vcc_lo, v54, v158
	s_wait_alu 0xfffd
	v_add_co_ci_u32_e64 v3, null, v55, v159, vcc_lo
	global_load_u16 v2, v[2:3], off
	s_wait_loadcnt 0x1
	v_cvt_f32_f16_e32 v3, v5
	s_wait_loadcnt 0x0
	v_cvt_f32_f16_e32 v2, v2
	s_delay_alu instid0(VALU_DEP_1)
	v_mul_f32_e32 v2, v3, v2
	ds_bpermute_b32 v3, v1, v4 offset:20
	s_wait_dscnt 0x0
	v_fmac_f32_e32 v204, v2, v3
	v_add_co_u32 v2, vcc_lo, v52, v158
	s_wait_alu 0xfffd
	v_add_co_ci_u32_e64 v3, null, v53, v159, vcc_lo
	global_load_u16 v5, v[2:3], off
	v_add_co_u32 v2, vcc_lo, v56, v158
	s_wait_alu 0xfffd
	v_add_co_ci_u32_e64 v3, null, v57, v159, vcc_lo
	global_load_u16 v2, v[2:3], off
	s_wait_loadcnt 0x1
	v_cvt_f32_f16_e32 v3, v5
	s_wait_loadcnt 0x0
	v_cvt_f32_f16_e32 v2, v2
	s_delay_alu instid0(VALU_DEP_1)
	v_mul_f32_e32 v2, v3, v2
	ds_bpermute_b32 v3, v1, v4 offset:24
	s_wait_dscnt 0x0
	v_fmac_f32_e32 v204, v2, v3
	v_add_co_u32 v2, vcc_lo, v58, v158
	s_wait_alu 0xfffd
	v_add_co_ci_u32_e64 v3, null, v59, v159, vcc_lo
	global_load_u16 v5, v[2:3], off
	v_add_co_u32 v2, vcc_lo, v60, v158
	s_wait_alu 0xfffd
	v_add_co_ci_u32_e64 v3, null, v61, v159, vcc_lo
	global_load_u16 v2, v[2:3], off
	s_wait_loadcnt 0x1
	v_cvt_f32_f16_e32 v3, v5
	s_wait_loadcnt 0x0
	v_cvt_f32_f16_e32 v2, v2
	s_delay_alu instid0(VALU_DEP_1)
	v_mul_f32_e32 v2, v3, v2
	ds_bpermute_b32 v3, v1, v4 offset:28
	s_wait_dscnt 0x0
	v_fmac_f32_e32 v204, v2, v3
	v_add_co_u32 v2, vcc_lo, v62, v158
	s_wait_alu 0xfffd
	v_add_co_ci_u32_e64 v3, null, v63, v159, vcc_lo
	global_load_u16 v5, v[2:3], off
	v_add_co_u32 v2, vcc_lo, v64, v158
	s_wait_alu 0xfffd
	v_add_co_ci_u32_e64 v3, null, v65, v159, vcc_lo
	global_load_u16 v2, v[2:3], off
	s_wait_loadcnt 0x1
	v_cvt_f32_f16_e32 v3, v5
	s_wait_loadcnt 0x0
	v_cvt_f32_f16_e32 v2, v2
	s_delay_alu instid0(VALU_DEP_1)
	v_mul_f32_e32 v2, v3, v2
	ds_bpermute_b32 v3, v1, v4 offset:32
	s_wait_dscnt 0x0
	v_fmac_f32_e32 v204, v2, v3
	v_add_co_u32 v2, vcc_lo, v66, v158
	s_wait_alu 0xfffd
	v_add_co_ci_u32_e64 v3, null, v67, v159, vcc_lo
	global_load_u16 v5, v[2:3], off
	v_add_co_u32 v2, vcc_lo, v68, v158
	s_wait_alu 0xfffd
	v_add_co_ci_u32_e64 v3, null, v69, v159, vcc_lo
	global_load_u16 v2, v[2:3], off
	s_wait_loadcnt 0x1
	v_cvt_f32_f16_e32 v3, v5
	s_wait_loadcnt 0x0
	v_cvt_f32_f16_e32 v2, v2
	s_delay_alu instid0(VALU_DEP_1)
	v_mul_f32_e32 v2, v3, v2
	ds_bpermute_b32 v3, v1, v4 offset:36
	s_wait_dscnt 0x0
	v_fmac_f32_e32 v204, v2, v3
	v_add_co_u32 v2, vcc_lo, v70, v158
	s_wait_alu 0xfffd
	v_add_co_ci_u32_e64 v3, null, v71, v159, vcc_lo
	global_load_u16 v5, v[2:3], off
	v_add_co_u32 v2, vcc_lo, v72, v158
	s_wait_alu 0xfffd
	v_add_co_ci_u32_e64 v3, null, v73, v159, vcc_lo
	global_load_u16 v2, v[2:3], off
	s_wait_loadcnt 0x1
	v_cvt_f32_f16_e32 v3, v5
	s_wait_loadcnt 0x0
	v_cvt_f32_f16_e32 v2, v2
	s_delay_alu instid0(VALU_DEP_1)
	v_mul_f32_e32 v2, v3, v2
	ds_bpermute_b32 v3, v1, v4 offset:40
	s_wait_dscnt 0x0
	v_fmac_f32_e32 v204, v2, v3
	v_add_co_u32 v2, vcc_lo, v74, v158
	s_wait_alu 0xfffd
	v_add_co_ci_u32_e64 v3, null, v75, v159, vcc_lo
	global_load_u16 v5, v[2:3], off
	v_add_co_u32 v2, vcc_lo, v76, v158
	s_wait_alu 0xfffd
	v_add_co_ci_u32_e64 v3, null, v77, v159, vcc_lo
	global_load_u16 v2, v[2:3], off
	s_wait_loadcnt 0x1
	v_cvt_f32_f16_e32 v3, v5
	s_wait_loadcnt 0x0
	v_cvt_f32_f16_e32 v2, v2
	s_delay_alu instid0(VALU_DEP_1)
	v_mul_f32_e32 v2, v3, v2
	ds_bpermute_b32 v3, v1, v4 offset:44
	s_wait_dscnt 0x0
	v_fmac_f32_e32 v204, v2, v3
	v_add_co_u32 v2, vcc_lo, v78, v158
	s_wait_alu 0xfffd
	v_add_co_ci_u32_e64 v3, null, v79, v159, vcc_lo
	global_load_u16 v5, v[2:3], off
	v_add_co_u32 v2, vcc_lo, v80, v158
	s_wait_alu 0xfffd
	v_add_co_ci_u32_e64 v3, null, v81, v159, vcc_lo
	global_load_u16 v2, v[2:3], off
	s_wait_loadcnt 0x1
	v_cvt_f32_f16_e32 v3, v5
	s_wait_loadcnt 0x0
	v_cvt_f32_f16_e32 v2, v2
	s_delay_alu instid0(VALU_DEP_1)
	v_mul_f32_e32 v2, v3, v2
	ds_bpermute_b32 v3, v1, v4 offset:48
	s_wait_dscnt 0x0
	v_fmac_f32_e32 v204, v2, v3
	v_add_co_u32 v2, vcc_lo, v82, v158
	s_wait_alu 0xfffd
	v_add_co_ci_u32_e64 v3, null, v83, v159, vcc_lo
	global_load_u16 v5, v[2:3], off
	v_add_co_u32 v2, vcc_lo, v84, v158
	s_wait_alu 0xfffd
	v_add_co_ci_u32_e64 v3, null, v85, v159, vcc_lo
	global_load_u16 v2, v[2:3], off
	s_wait_loadcnt 0x1
	v_cvt_f32_f16_e32 v3, v5
	s_wait_loadcnt 0x0
	v_cvt_f32_f16_e32 v2, v2
	s_delay_alu instid0(VALU_DEP_1)
	v_mul_f32_e32 v2, v3, v2
	ds_bpermute_b32 v3, v1, v4 offset:52
	s_wait_dscnt 0x0
	v_fmac_f32_e32 v204, v2, v3
	v_add_co_u32 v2, vcc_lo, v86, v158
	s_wait_alu 0xfffd
	v_add_co_ci_u32_e64 v3, null, v87, v159, vcc_lo
	global_load_u16 v5, v[2:3], off
	v_add_co_u32 v2, vcc_lo, v88, v158
	s_wait_alu 0xfffd
	v_add_co_ci_u32_e64 v3, null, v89, v159, vcc_lo
	global_load_u16 v2, v[2:3], off
	s_wait_loadcnt 0x1
	v_cvt_f32_f16_e32 v3, v5
	s_wait_loadcnt 0x0
	v_cvt_f32_f16_e32 v2, v2
	s_delay_alu instid0(VALU_DEP_1)
	v_mul_f32_e32 v2, v3, v2
	ds_bpermute_b32 v3, v1, v4 offset:56
	s_wait_dscnt 0x0
	v_fmac_f32_e32 v204, v2, v3
	v_add_co_u32 v2, vcc_lo, v90, v158
	s_wait_alu 0xfffd
	v_add_co_ci_u32_e64 v3, null, v91, v159, vcc_lo
	global_load_u16 v5, v[2:3], off
	v_add_co_u32 v2, vcc_lo, v92, v158
	s_wait_alu 0xfffd
	v_add_co_ci_u32_e64 v3, null, v93, v159, vcc_lo
	global_load_u16 v2, v[2:3], off
	s_wait_loadcnt 0x1
	v_cvt_f32_f16_e32 v3, v5
	s_wait_loadcnt 0x0
	v_cvt_f32_f16_e32 v2, v2
	s_delay_alu instid0(VALU_DEP_1)
	v_mul_f32_e32 v2, v3, v2
	ds_bpermute_b32 v3, v1, v4 offset:60
	s_wait_dscnt 0x0
	v_fmac_f32_e32 v204, v2, v3
	v_add_co_u32 v2, vcc_lo, v94, v158
	s_wait_alu 0xfffd
	v_add_co_ci_u32_e64 v3, null, v95, v159, vcc_lo
	global_load_u16 v5, v[2:3], off
	v_add_co_u32 v2, vcc_lo, v96, v158
	s_wait_alu 0xfffd
	v_add_co_ci_u32_e64 v3, null, v97, v159, vcc_lo
	global_load_u16 v2, v[2:3], off
	s_wait_loadcnt 0x1
	v_cvt_f32_f16_e32 v3, v5
	s_wait_loadcnt 0x0
	v_cvt_f32_f16_e32 v2, v2
	s_delay_alu instid0(VALU_DEP_1)
	v_mul_f32_e32 v2, v3, v2
	ds_bpermute_b32 v3, v1, v4 offset:64
	s_wait_dscnt 0x0
	v_fmac_f32_e32 v204, v2, v3
	v_add_co_u32 v2, vcc_lo, v98, v158
	s_wait_alu 0xfffd
	v_add_co_ci_u32_e64 v3, null, v99, v159, vcc_lo
	global_load_u16 v5, v[2:3], off
	v_add_co_u32 v2, vcc_lo, v100, v158
	s_wait_alu 0xfffd
	v_add_co_ci_u32_e64 v3, null, v101, v159, vcc_lo
	global_load_u16 v2, v[2:3], off
	s_wait_loadcnt 0x1
	v_cvt_f32_f16_e32 v3, v5
	s_wait_loadcnt 0x0
	v_cvt_f32_f16_e32 v2, v2
	s_delay_alu instid0(VALU_DEP_1)
	v_mul_f32_e32 v2, v3, v2
	ds_bpermute_b32 v3, v1, v4 offset:68
	s_wait_dscnt 0x0
	v_fmac_f32_e32 v204, v2, v3
	v_add_co_u32 v2, vcc_lo, v102, v158
	s_wait_alu 0xfffd
	v_add_co_ci_u32_e64 v3, null, v103, v159, vcc_lo
	global_load_u16 v5, v[2:3], off
	v_add_co_u32 v2, vcc_lo, v34, v158
	s_wait_alu 0xfffd
	v_add_co_ci_u32_e64 v3, null, v35, v159, vcc_lo
	global_load_u16 v2, v[2:3], off
	s_wait_loadcnt 0x1
	v_cvt_f32_f16_e32 v3, v5
	s_wait_loadcnt 0x0
	v_cvt_f32_f16_e32 v2, v2
	s_delay_alu instid0(VALU_DEP_1)
	v_mul_f32_e32 v2, v3, v2
	ds_bpermute_b32 v3, v1, v4 offset:72
	s_wait_dscnt 0x0
	v_fmac_f32_e32 v204, v2, v3
	v_add_co_u32 v2, vcc_lo, v106, v158
	s_wait_alu 0xfffd
	v_add_co_ci_u32_e64 v3, null, v107, v159, vcc_lo
	global_load_u16 v5, v[2:3], off
	v_add_co_u32 v2, vcc_lo, v108, v158
	s_wait_alu 0xfffd
	v_add_co_ci_u32_e64 v3, null, v109, v159, vcc_lo
	global_load_u16 v2, v[2:3], off
	s_wait_loadcnt 0x1
	v_cvt_f32_f16_e32 v3, v5
	s_wait_loadcnt 0x0
	v_cvt_f32_f16_e32 v2, v2
	s_delay_alu instid0(VALU_DEP_1)
	v_mul_f32_e32 v2, v3, v2
	ds_bpermute_b32 v3, v1, v4 offset:76
	s_wait_dscnt 0x0
	v_fmac_f32_e32 v204, v2, v3
	v_add_co_u32 v2, vcc_lo, v110, v158
	s_wait_alu 0xfffd
	v_add_co_ci_u32_e64 v3, null, v111, v159, vcc_lo
	global_load_u16 v5, v[2:3], off
	v_add_co_u32 v2, vcc_lo, v112, v158
	s_wait_alu 0xfffd
	v_add_co_ci_u32_e64 v3, null, v113, v159, vcc_lo
	global_load_u16 v2, v[2:3], off
	s_wait_loadcnt 0x1
	v_cvt_f32_f16_e32 v3, v5
	s_wait_loadcnt 0x0
	v_cvt_f32_f16_e32 v2, v2
	s_delay_alu instid0(VALU_DEP_1)
	v_mul_f32_e32 v2, v3, v2
	ds_bpermute_b32 v3, v1, v4 offset:80
	s_wait_dscnt 0x0
	v_fmac_f32_e32 v204, v2, v3
	v_add_co_u32 v2, vcc_lo, v114, v158
	s_wait_alu 0xfffd
	v_add_co_ci_u32_e64 v3, null, v115, v159, vcc_lo
	global_load_u16 v5, v[2:3], off
	v_add_co_u32 v2, vcc_lo, v116, v158
	s_wait_alu 0xfffd
	v_add_co_ci_u32_e64 v3, null, v117, v159, vcc_lo
	global_load_u16 v2, v[2:3], off
	s_wait_loadcnt 0x1
	v_cvt_f32_f16_e32 v3, v5
	s_wait_loadcnt 0x0
	v_cvt_f32_f16_e32 v2, v2
	s_delay_alu instid0(VALU_DEP_1)
	v_mul_f32_e32 v2, v3, v2
	ds_bpermute_b32 v3, v1, v4 offset:84
	s_wait_dscnt 0x0
	v_fmac_f32_e32 v204, v2, v3
	v_add_co_u32 v2, vcc_lo, v118, v158
	s_wait_alu 0xfffd
	v_add_co_ci_u32_e64 v3, null, v119, v159, vcc_lo
	global_load_u16 v5, v[2:3], off
	v_add_co_u32 v2, vcc_lo, v120, v158
	s_wait_alu 0xfffd
	v_add_co_ci_u32_e64 v3, null, v121, v159, vcc_lo
	global_load_u16 v2, v[2:3], off
	s_wait_loadcnt 0x1
	v_cvt_f32_f16_e32 v3, v5
	s_wait_loadcnt 0x0
	v_cvt_f32_f16_e32 v2, v2
	s_delay_alu instid0(VALU_DEP_1)
	v_mul_f32_e32 v2, v3, v2
	ds_bpermute_b32 v3, v1, v4 offset:88
	s_wait_dscnt 0x0
	v_fmac_f32_e32 v204, v2, v3
	v_add_co_u32 v2, vcc_lo, v122, v158
	s_wait_alu 0xfffd
	v_add_co_ci_u32_e64 v3, null, v123, v159, vcc_lo
	global_load_u16 v5, v[2:3], off
	v_add_co_u32 v2, vcc_lo, v124, v158
	s_wait_alu 0xfffd
	v_add_co_ci_u32_e64 v3, null, v125, v159, vcc_lo
	global_load_u16 v2, v[2:3], off
	s_wait_loadcnt 0x1
	v_cvt_f32_f16_e32 v3, v5
	s_wait_loadcnt 0x0
	v_cvt_f32_f16_e32 v2, v2
	s_delay_alu instid0(VALU_DEP_1)
	v_mul_f32_e32 v2, v3, v2
	ds_bpermute_b32 v3, v1, v4 offset:92
	s_wait_dscnt 0x0
	v_fmac_f32_e32 v204, v2, v3
	v_add_co_u32 v2, vcc_lo, v126, v158
	s_wait_alu 0xfffd
	v_add_co_ci_u32_e64 v3, null, v127, v159, vcc_lo
	global_load_u16 v5, v[2:3], off
	v_add_co_u32 v2, vcc_lo, v128, v158
	s_wait_alu 0xfffd
	v_add_co_ci_u32_e64 v3, null, v129, v159, vcc_lo
	global_load_u16 v2, v[2:3], off
	s_wait_loadcnt 0x1
	v_cvt_f32_f16_e32 v3, v5
	s_wait_loadcnt 0x0
	v_cvt_f32_f16_e32 v2, v2
	s_delay_alu instid0(VALU_DEP_1)
	v_mul_f32_e32 v2, v3, v2
	ds_bpermute_b32 v3, v1, v4 offset:96
	s_wait_dscnt 0x0
	v_fmac_f32_e32 v204, v2, v3
	v_add_co_u32 v2, vcc_lo, v130, v158
	s_wait_alu 0xfffd
	v_add_co_ci_u32_e64 v3, null, v131, v159, vcc_lo
	global_load_u16 v5, v[2:3], off
	v_add_co_u32 v2, vcc_lo, v132, v158
	s_wait_alu 0xfffd
	v_add_co_ci_u32_e64 v3, null, v133, v159, vcc_lo
	global_load_u16 v2, v[2:3], off
	s_wait_loadcnt 0x1
	v_cvt_f32_f16_e32 v3, v5
	s_wait_loadcnt 0x0
	v_cvt_f32_f16_e32 v2, v2
	s_delay_alu instid0(VALU_DEP_1)
	v_mul_f32_e32 v2, v3, v2
	ds_bpermute_b32 v3, v1, v4 offset:100
	s_wait_dscnt 0x0
	v_fmac_f32_e32 v204, v2, v3
	v_add_co_u32 v2, vcc_lo, v134, v158
	s_wait_alu 0xfffd
	v_add_co_ci_u32_e64 v3, null, v135, v159, vcc_lo
	global_load_u16 v5, v[2:3], off
	v_add_co_u32 v2, vcc_lo, v136, v158
	s_wait_alu 0xfffd
	v_add_co_ci_u32_e64 v3, null, v137, v159, vcc_lo
	global_load_u16 v2, v[2:3], off
	s_wait_loadcnt 0x1
	v_cvt_f32_f16_e32 v3, v5
	s_wait_loadcnt 0x0
	v_cvt_f32_f16_e32 v2, v2
	s_delay_alu instid0(VALU_DEP_1)
	v_mul_f32_e32 v2, v3, v2
	ds_bpermute_b32 v3, v1, v4 offset:104
	s_wait_dscnt 0x0
	v_fmac_f32_e32 v204, v2, v3
	v_add_co_u32 v2, vcc_lo, v138, v158
	s_wait_alu 0xfffd
	v_add_co_ci_u32_e64 v3, null, v139, v159, vcc_lo
	global_load_u16 v5, v[2:3], off
	v_add_co_u32 v2, vcc_lo, v140, v158
	s_wait_alu 0xfffd
	v_add_co_ci_u32_e64 v3, null, v141, v159, vcc_lo
	global_load_u16 v2, v[2:3], off
	s_wait_loadcnt 0x1
	v_cvt_f32_f16_e32 v3, v5
	s_wait_loadcnt 0x0
	v_cvt_f32_f16_e32 v2, v2
	s_delay_alu instid0(VALU_DEP_1)
	v_mul_f32_e32 v2, v3, v2
	ds_bpermute_b32 v3, v1, v4 offset:108
	s_wait_dscnt 0x0
	v_fmac_f32_e32 v204, v2, v3
	v_add_co_u32 v2, vcc_lo, v142, v158
	s_wait_alu 0xfffd
	v_add_co_ci_u32_e64 v3, null, v143, v159, vcc_lo
	global_load_u16 v5, v[2:3], off
	v_add_co_u32 v2, vcc_lo, v144, v158
	s_wait_alu 0xfffd
	v_add_co_ci_u32_e64 v3, null, v145, v159, vcc_lo
	global_load_u16 v2, v[2:3], off
	s_wait_loadcnt 0x1
	v_cvt_f32_f16_e32 v3, v5
	s_wait_loadcnt 0x0
	v_cvt_f32_f16_e32 v2, v2
	s_delay_alu instid0(VALU_DEP_1)
	v_mul_f32_e32 v2, v3, v2
	ds_bpermute_b32 v3, v1, v4 offset:112
	s_wait_dscnt 0x0
	v_fmac_f32_e32 v204, v2, v3
	v_add_co_u32 v2, vcc_lo, v146, v158
	s_wait_alu 0xfffd
	v_add_co_ci_u32_e64 v3, null, v147, v159, vcc_lo
	global_load_u16 v5, v[2:3], off
	v_add_co_u32 v2, vcc_lo, v148, v158
	s_wait_alu 0xfffd
	v_add_co_ci_u32_e64 v3, null, v149, v159, vcc_lo
	global_load_u16 v2, v[2:3], off
	s_wait_loadcnt 0x1
	v_cvt_f32_f16_e32 v3, v5
	s_wait_loadcnt 0x0
	v_cvt_f32_f16_e32 v2, v2
	s_delay_alu instid0(VALU_DEP_1)
	v_mul_f32_e32 v2, v3, v2
	ds_bpermute_b32 v3, v1, v4 offset:116
	s_wait_dscnt 0x0
	v_fmac_f32_e32 v204, v2, v3
	v_add_co_u32 v2, vcc_lo, v150, v158
	s_wait_alu 0xfffd
	v_add_co_ci_u32_e64 v3, null, v151, v159, vcc_lo
	global_load_u16 v5, v[2:3], off
	v_add_co_u32 v2, vcc_lo, v152, v158
	s_wait_alu 0xfffd
	v_add_co_ci_u32_e64 v3, null, v153, v159, vcc_lo
	global_load_u16 v2, v[2:3], off
	s_wait_loadcnt 0x1
	v_cvt_f32_f16_e32 v3, v5
	s_wait_loadcnt 0x0
	v_cvt_f32_f16_e32 v2, v2
	s_delay_alu instid0(VALU_DEP_1)
	v_mul_f32_e32 v2, v3, v2
	ds_bpermute_b32 v3, v1, v4 offset:120
	s_wait_dscnt 0x0
	v_fmac_f32_e32 v204, v2, v3
	v_add_co_u32 v2, vcc_lo, v154, v158
	s_wait_alu 0xfffd
	v_add_co_ci_u32_e64 v3, null, v155, v159, vcc_lo
	global_load_u16 v5, v[2:3], off
	v_add_co_u32 v2, vcc_lo, v156, v158
	s_wait_alu 0xfffd
	v_add_co_ci_u32_e64 v3, null, v157, v159, vcc_lo
	global_load_u16 v2, v[2:3], off
	s_wait_loadcnt 0x1
	v_cvt_f32_f16_e32 v3, v5
	s_wait_loadcnt 0x0
	v_cvt_f32_f16_e32 v2, v2
	s_delay_alu instid0(VALU_DEP_1) | instskip(SKIP_3) | instid1(VALU_DEP_1)
	v_mul_f32_e32 v2, v3, v2
	ds_bpermute_b32 v3, v1, v4 offset:124
	s_wait_dscnt 0x0
	v_fmac_f32_e32 v204, v2, v3
	v_mov_b32_e32 v202, v204
.LBB176_217:                            ;   in Loop: Header=BB176_145 Depth=1
	scratch_load_b64 v[2:3], off, off th:TH_LOAD_LU ; 8-byte Folded Reload
	v_add_co_u32 v164, vcc_lo, v164, s18
	s_wait_alu 0xfffd
	v_add_co_ci_u32_e64 v165, null, s19, v165, vcc_lo
	v_add_co_u32 v166, vcc_lo, v166, s18
	s_wait_alu 0xfffd
	v_add_co_ci_u32_e64 v167, null, s19, v167, vcc_lo
	s_add_nc_u64 s[22:23], s[22:23], s[10:11]
	s_add_nc_u64 s[20:21], s[20:21], s[10:11]
	s_wait_alu 0xfffe
	v_cmp_ge_i64_e64 s8, s[22:23], s[4:5]
	s_wait_loadcnt 0x0
	v_add_co_u32 v2, vcc_lo, v2, s18
	s_wait_alu 0xfffd
	v_add_co_ci_u32_e64 v3, null, s19, v3, vcc_lo
	scratch_store_b64 off, v[2:3], off      ; 8-byte Folded Spill
	scratch_load_b64 v[2:3], off, off offset:8 th:TH_LOAD_LU ; 8-byte Folded Reload
	s_wait_loadcnt 0x0
	v_add_co_u32 v2, vcc_lo, v2, s18
	s_wait_alu 0xfffd
	v_add_co_ci_u32_e64 v3, null, s19, v3, vcc_lo
	v_add_co_u32 v38, vcc_lo, v38, s18
	s_wait_alu 0xfffd
	v_add_co_ci_u32_e64 v39, null, s19, v39, vcc_lo
	scratch_store_b64 off, v[2:3], off offset:8 ; 8-byte Folded Spill
	scratch_load_b32 v2, off, off offset:16 ; 4-byte Folded Reload
	v_add_co_u32 v40, vcc_lo, v40, s18
	s_wait_alu 0xfffd
	v_add_co_ci_u32_e64 v41, null, s19, v41, vcc_lo
	v_add_co_u32 v44, vcc_lo, v44, s18
	s_wait_alu 0xfffd
	v_add_co_ci_u32_e64 v45, null, s19, v45, vcc_lo
	;; [unrolled: 3-line block ×95, first 2 shown]
	v_add_co_u32 v221, vcc_lo, v221, s18
	s_wait_loadcnt 0x0
	s_wait_alu 0xfffd
	v_add_co_ci_u32_e64 v2, null, s19, v2, vcc_lo
	scratch_store_b32 off, v2, off offset:16 ; 4-byte Folded Spill
	scratch_load_b32 v2, off, off offset:20 ; 4-byte Folded Reload
	s_wait_loadcnt 0x0
	v_add_co_u32 v2, vcc_lo, v2, s18
	scratch_store_b32 off, v2, off offset:20 ; 4-byte Folded Spill
	scratch_load_b32 v2, off, off offset:24 ; 4-byte Folded Reload
	s_wait_loadcnt 0x0
	s_wait_alu 0xfffd
	v_add_co_ci_u32_e64 v2, null, s19, v2, vcc_lo
	scratch_store_b32 off, v2, off offset:24 ; 4-byte Folded Spill
	scratch_load_b32 v2, off, off offset:28 ; 4-byte Folded Reload
	s_wait_loadcnt 0x0
	v_add_co_u32 v2, vcc_lo, v2, s18
	scratch_store_b32 off, v2, off offset:28 ; 4-byte Folded Spill
	scratch_load_b32 v2, off, off offset:32 ; 4-byte Folded Reload
	;; [unrolled: 9-line block ×26, first 2 shown]
	s_wait_loadcnt 0x0
	s_wait_alu 0xfffd
	v_add_co_ci_u32_e64 v2, null, s19, v2, vcc_lo
	s_and_b32 vcc_lo, exec_lo, s8
	scratch_store_b32 off, v2, off offset:224 ; 4-byte Folded Spill
	s_wait_alu 0xfffe
	s_cbranch_vccnz .LBB176_219
; %bb.218:                              ;   in Loop: Header=BB176_145 Depth=1
	v_mov_b32_e32 v204, v202
	s_branch .LBB176_145
.LBB176_219:
	scratch_load_b32 v208, off, off offset:308 ; 4-byte Folded Reload
.LBB176_220:
	s_mov_b32 s4, ttmp9
	s_mov_b32 s5, 0
	s_wait_alu 0xfffe
	s_lshl_b64 s[4:5], s[4:5], 5
	s_wait_kmcnt 0x0
	s_cmp_lg_u64 s[2:3], 0
	s_wait_loadcnt 0x0
	s_wait_alu 0xfffe
	v_and_or_b32 v1, 0x3ff, v208, s4
	v_mov_b32_e32 v2, s5
	s_cselect_b32 s4, -1, 0
	s_delay_alu instid0(VALU_DEP_1)
	v_cmp_gt_i64_e32 vcc_lo, s[6:7], v[1:2]
	s_wait_alu 0xfffe
	s_and_b32 s4, vcc_lo, s4
	s_wait_alu 0xfffe
	s_and_saveexec_b32 s5, s4
	s_cbranch_execz .LBB176_222
; %bb.221:
	s_load_u16 s0, s[0:1], 0x4e
	v_bfe_u32 v3, v208, 10, 10
	v_mov_b32_e32 v4, 0
	s_wait_kmcnt 0x0
	s_delay_alu instid0(VALU_DEP_1) | instskip(NEXT) | instid1(VALU_DEP_1)
	v_mad_co_u64_u32 v[3:4], null, s0, ttmp7, v[3:4]
	v_mul_lo_u32 v0, v4, s6
	s_delay_alu instid0(VALU_DEP_2) | instskip(SKIP_1) | instid1(VALU_DEP_1)
	v_mul_lo_u32 v5, v3, s7
	v_mad_co_u64_u32 v[3:4], null, v3, s6, 0
	v_add3_u32 v4, v4, v5, v0
	v_lshlrev_b64_e32 v[0:1], 1, v[1:2]
	s_delay_alu instid0(VALU_DEP_2) | instskip(NEXT) | instid1(VALU_DEP_1)
	v_lshlrev_b64_e32 v[3:4], 1, v[3:4]
	v_add_co_u32 v2, vcc_lo, s2, v3
	s_wait_alu 0xfffd
	s_delay_alu instid0(VALU_DEP_2) | instskip(SKIP_1) | instid1(VALU_DEP_3)
	v_add_co_ci_u32_e64 v3, null, s3, v4, vcc_lo
	v_cvt_f16_f32_e64 v4, v202
	v_add_co_u32 v0, vcc_lo, v2, v0
	s_wait_alu 0xfffd
	s_delay_alu instid0(VALU_DEP_3)
	v_add_co_ci_u32_e64 v1, null, v3, v1, vcc_lo
	global_store_b16 v[0:1], v4, off
.LBB176_222:
	s_nop 0
	s_sendmsg sendmsg(MSG_DEALLOC_VGPRS)
	s_endpgm
	.section	.rodata,"a",@progbits
	.p2align	6, 0x0
	.amdhsa_kernel _ZN2at6native12_GLOBAL__N_135GammaBetaBackwardCUDAKernelTemplateIN3c104HalfEfLj32ELj1ELj32ELb1ELb0ELb1EEEvllPKT_S7_PKT0_SA_PS5_SB_
		.amdhsa_group_segment_fixed_size 0
		.amdhsa_private_segment_fixed_size 316
		.amdhsa_kernarg_size 320
		.amdhsa_user_sgpr_count 2
		.amdhsa_user_sgpr_dispatch_ptr 0
		.amdhsa_user_sgpr_queue_ptr 0
		.amdhsa_user_sgpr_kernarg_segment_ptr 1
		.amdhsa_user_sgpr_dispatch_id 0
		.amdhsa_user_sgpr_private_segment_size 0
		.amdhsa_wavefront_size32 1
		.amdhsa_uses_dynamic_stack 0
		.amdhsa_enable_private_segment 1
		.amdhsa_system_sgpr_workgroup_id_x 1
		.amdhsa_system_sgpr_workgroup_id_y 1
		.amdhsa_system_sgpr_workgroup_id_z 0
		.amdhsa_system_sgpr_workgroup_info 0
		.amdhsa_system_vgpr_workitem_id 1
		.amdhsa_next_free_vgpr 256
		.amdhsa_next_free_sgpr 32
		.amdhsa_reserve_vcc 1
		.amdhsa_float_round_mode_32 0
		.amdhsa_float_round_mode_16_64 0
		.amdhsa_float_denorm_mode_32 3
		.amdhsa_float_denorm_mode_16_64 3
		.amdhsa_fp16_overflow 0
		.amdhsa_workgroup_processor_mode 1
		.amdhsa_memory_ordered 1
		.amdhsa_forward_progress 1
		.amdhsa_inst_pref_size 255
		.amdhsa_round_robin_scheduling 0
		.amdhsa_exception_fp_ieee_invalid_op 0
		.amdhsa_exception_fp_denorm_src 0
		.amdhsa_exception_fp_ieee_div_zero 0
		.amdhsa_exception_fp_ieee_overflow 0
		.amdhsa_exception_fp_ieee_underflow 0
		.amdhsa_exception_fp_ieee_inexact 0
		.amdhsa_exception_int_div_zero 0
	.end_amdhsa_kernel
	.section	.text._ZN2at6native12_GLOBAL__N_135GammaBetaBackwardCUDAKernelTemplateIN3c104HalfEfLj32ELj1ELj32ELb1ELb0ELb1EEEvllPKT_S7_PKT0_SA_PS5_SB_,"axG",@progbits,_ZN2at6native12_GLOBAL__N_135GammaBetaBackwardCUDAKernelTemplateIN3c104HalfEfLj32ELj1ELj32ELb1ELb0ELb1EEEvllPKT_S7_PKT0_SA_PS5_SB_,comdat
.Lfunc_end176:
	.size	_ZN2at6native12_GLOBAL__N_135GammaBetaBackwardCUDAKernelTemplateIN3c104HalfEfLj32ELj1ELj32ELb1ELb0ELb1EEEvllPKT_S7_PKT0_SA_PS5_SB_, .Lfunc_end176-_ZN2at6native12_GLOBAL__N_135GammaBetaBackwardCUDAKernelTemplateIN3c104HalfEfLj32ELj1ELj32ELb1ELb0ELb1EEEvllPKT_S7_PKT0_SA_PS5_SB_
                                        ; -- End function
	.set _ZN2at6native12_GLOBAL__N_135GammaBetaBackwardCUDAKernelTemplateIN3c104HalfEfLj32ELj1ELj32ELb1ELb0ELb1EEEvllPKT_S7_PKT0_SA_PS5_SB_.num_vgpr, 256
	.set _ZN2at6native12_GLOBAL__N_135GammaBetaBackwardCUDAKernelTemplateIN3c104HalfEfLj32ELj1ELj32ELb1ELb0ELb1EEEvllPKT_S7_PKT0_SA_PS5_SB_.num_agpr, 0
	.set _ZN2at6native12_GLOBAL__N_135GammaBetaBackwardCUDAKernelTemplateIN3c104HalfEfLj32ELj1ELj32ELb1ELb0ELb1EEEvllPKT_S7_PKT0_SA_PS5_SB_.numbered_sgpr, 32
	.set _ZN2at6native12_GLOBAL__N_135GammaBetaBackwardCUDAKernelTemplateIN3c104HalfEfLj32ELj1ELj32ELb1ELb0ELb1EEEvllPKT_S7_PKT0_SA_PS5_SB_.num_named_barrier, 0
	.set _ZN2at6native12_GLOBAL__N_135GammaBetaBackwardCUDAKernelTemplateIN3c104HalfEfLj32ELj1ELj32ELb1ELb0ELb1EEEvllPKT_S7_PKT0_SA_PS5_SB_.private_seg_size, 316
	.set _ZN2at6native12_GLOBAL__N_135GammaBetaBackwardCUDAKernelTemplateIN3c104HalfEfLj32ELj1ELj32ELb1ELb0ELb1EEEvllPKT_S7_PKT0_SA_PS5_SB_.uses_vcc, 1
	.set _ZN2at6native12_GLOBAL__N_135GammaBetaBackwardCUDAKernelTemplateIN3c104HalfEfLj32ELj1ELj32ELb1ELb0ELb1EEEvllPKT_S7_PKT0_SA_PS5_SB_.uses_flat_scratch, 1
	.set _ZN2at6native12_GLOBAL__N_135GammaBetaBackwardCUDAKernelTemplateIN3c104HalfEfLj32ELj1ELj32ELb1ELb0ELb1EEEvllPKT_S7_PKT0_SA_PS5_SB_.has_dyn_sized_stack, 0
	.set _ZN2at6native12_GLOBAL__N_135GammaBetaBackwardCUDAKernelTemplateIN3c104HalfEfLj32ELj1ELj32ELb1ELb0ELb1EEEvllPKT_S7_PKT0_SA_PS5_SB_.has_recursion, 0
	.set _ZN2at6native12_GLOBAL__N_135GammaBetaBackwardCUDAKernelTemplateIN3c104HalfEfLj32ELj1ELj32ELb1ELb0ELb1EEEvllPKT_S7_PKT0_SA_PS5_SB_.has_indirect_call, 0
	.section	.AMDGPU.csdata,"",@progbits
; Kernel info:
; codeLenInByte = 38132
; TotalNumSgprs: 34
; NumVgprs: 256
; ScratchSize: 316
; MemoryBound: 0
; FloatMode: 240
; IeeeMode: 1
; LDSByteSize: 0 bytes/workgroup (compile time only)
; SGPRBlocks: 0
; VGPRBlocks: 31
; NumSGPRsForWavesPerEU: 34
; NumVGPRsForWavesPerEU: 256
; Occupancy: 5
; WaveLimiterHint : 0
; COMPUTE_PGM_RSRC2:SCRATCH_EN: 1
; COMPUTE_PGM_RSRC2:USER_SGPR: 2
; COMPUTE_PGM_RSRC2:TRAP_HANDLER: 0
; COMPUTE_PGM_RSRC2:TGID_X_EN: 1
; COMPUTE_PGM_RSRC2:TGID_Y_EN: 1
; COMPUTE_PGM_RSRC2:TGID_Z_EN: 0
; COMPUTE_PGM_RSRC2:TIDIG_COMP_CNT: 1
	.section	.text._ZN2at6native12_GLOBAL__N_135GammaBetaBackwardCUDAKernelTemplateIN3c104HalfEfLj32ELj1ELj8ELb1ELb1ELb1EEEvllPKT_S7_PKT0_SA_PS5_SB_,"axG",@progbits,_ZN2at6native12_GLOBAL__N_135GammaBetaBackwardCUDAKernelTemplateIN3c104HalfEfLj32ELj1ELj8ELb1ELb1ELb1EEEvllPKT_S7_PKT0_SA_PS5_SB_,comdat
	.globl	_ZN2at6native12_GLOBAL__N_135GammaBetaBackwardCUDAKernelTemplateIN3c104HalfEfLj32ELj1ELj8ELb1ELb1ELb1EEEvllPKT_S7_PKT0_SA_PS5_SB_ ; -- Begin function _ZN2at6native12_GLOBAL__N_135GammaBetaBackwardCUDAKernelTemplateIN3c104HalfEfLj32ELj1ELj8ELb1ELb1ELb1EEEvllPKT_S7_PKT0_SA_PS5_SB_
	.p2align	8
	.type	_ZN2at6native12_GLOBAL__N_135GammaBetaBackwardCUDAKernelTemplateIN3c104HalfEfLj32ELj1ELj8ELb1ELb1ELb1EEEvllPKT_S7_PKT0_SA_PS5_SB_,@function
_ZN2at6native12_GLOBAL__N_135GammaBetaBackwardCUDAKernelTemplateIN3c104HalfEfLj32ELj1ELj8ELb1ELb1ELb1EEEvllPKT_S7_PKT0_SA_PS5_SB_: ; @_ZN2at6native12_GLOBAL__N_135GammaBetaBackwardCUDAKernelTemplateIN3c104HalfEfLj32ELj1ELj8ELb1ELb1ELb1EEEvllPKT_S7_PKT0_SA_PS5_SB_
; %bb.0:
	s_clause 0x1
	s_load_b128 s[4:7], s[0:1], 0x0
	s_load_b64 s[12:13], s[0:1], 0x30
	s_lshl_b32 s14, ttmp7, 3
	s_mov_b32 s15, 0
	v_mov_b32_e32 v3, 0
	v_bfe_u32 v1, v0, 10, 10
	v_and_b32_e32 v0, 0x3ff, v0
	s_wait_kmcnt 0x0
	v_cmp_le_i64_e64 s2, s[4:5], s[14:15]
	s_and_b32 vcc_lo, exec_lo, s2
	s_cbranch_vccnz .LBB177_8
; %bb.1:
	s_load_b32 s2, s[0:1], 0x4c
	v_dual_mov_b32 v3, 0 :: v_dual_lshlrev_b32 v2, 3, v1
	s_clause 0x2
	s_load_b32 s3, s[0:1], 0x44
	s_load_b128 s[8:11], s[0:1], 0x10
	s_load_b64 s[18:19], s[0:1], 0x28
	s_mov_b32 s17, s15
	v_dual_mov_b32 v8, 8 :: v_dual_mov_b32 v9, 4
	v_add_co_u32 v4, s16, v2, s14
	s_delay_alu instid0(VALU_DEP_1) | instskip(SKIP_1) | instid1(VALU_DEP_3)
	v_add_co_ci_u32_e64 v5, null, 0, 0, s16
	v_lshl_or_b32 v2, ttmp9, 5, v0
	v_mul_lo_u32 v16, s7, v4
	v_mad_co_u64_u32 v[6:7], null, s6, v4, 0
	s_delay_alu instid0(VALU_DEP_4) | instskip(NEXT) | instid1(VALU_DEP_4)
	v_mul_lo_u32 v17, s6, v5
	v_lshlrev_b64_e32 v[14:15], 1, v[2:3]
	v_dual_mov_b32 v10, 12 :: v_dual_mov_b32 v11, 16
	v_mov_b32_e32 v12, 20
	s_wait_kmcnt 0x0
	s_and_b32 s2, s2, 0xffff
	s_lshl_b32 s16, s3, 3
	v_mad_u32_u24 v13, v1, s2, v0
	v_add3_u32 v7, v7, v17, v16
	v_mov_b32_e32 v2, 28
	s_wait_alu 0xfffe
	s_mul_u64 s[20:21], s[6:7], s[16:17]
	s_lshl_b64 s[22:23], s[6:7], 1
	v_and_b32_e32 v18, 31, v13
	v_lshlrev_b64_e32 v[6:7], 1, v[6:7]
	v_mov_b32_e32 v13, 24
	s_lshl_b64 s[20:21], s[20:21], 1
	s_delay_alu instid0(VALU_DEP_3) | instskip(NEXT) | instid1(VALU_DEP_1)
	v_add_co_u32 v4, vcc_lo, v4, v18
	v_add_co_ci_u32_e64 v5, null, 0, v5, vcc_lo
	s_delay_alu instid0(VALU_DEP_4) | instskip(SKIP_2) | instid1(VALU_DEP_3)
	v_add_co_u32 v14, vcc_lo, v6, v14
	s_wait_alu 0xfffd
	v_add_co_ci_u32_e64 v15, null, v7, v15, vcc_lo
	v_lshlrev_b64_e32 v[16:17], 2, v[4:5]
	v_cmp_gt_u32_e64 s2, 8, v18
	s_delay_alu instid0(VALU_DEP_2) | instskip(SKIP_1) | instid1(VALU_DEP_3)
	v_add_co_u32 v6, vcc_lo, s18, v16
	s_wait_alu 0xfffd
	v_add_co_ci_u32_e64 v7, null, s19, v17, vcc_lo
	v_mov_b32_e32 v16, 0
	s_lshl_b64 s[18:19], s[16:17], 2
	s_branch .LBB177_4
.LBB177_2:                              ;   in Loop: Header=BB177_4 Depth=1
	s_or_b32 exec_lo, exec_lo, s24
.LBB177_3:                              ;   in Loop: Header=BB177_4 Depth=1
	s_wait_alu 0xfffe
	s_or_b32 exec_lo, exec_lo, s3
	v_add_co_u32 v18, vcc_lo, s8, v14
	s_wait_alu 0xfffd
	v_add_co_ci_u32_e64 v19, null, s9, v15, vcc_lo
	v_add_co_u32 v20, vcc_lo, s10, v14
	s_wait_alu 0xfffd
	v_add_co_ci_u32_e64 v21, null, s11, v15, vcc_lo
	;; [unrolled: 3-line block ×4, first 2 shown]
	global_load_u16 v28, v[18:19], off
	global_load_u16 v29, v[20:21], off
	;; [unrolled: 1-line block ×4, first 2 shown]
	v_add_co_u32 v18, vcc_lo, v22, s22
	s_wait_alu 0xfffd
	v_add_co_ci_u32_e64 v19, null, s23, v23, vcc_lo
	v_add_co_u32 v20, vcc_lo, v24, s22
	s_wait_alu 0xfffd
	v_add_co_ci_u32_e64 v21, null, s23, v25, vcc_lo
	;; [unrolled: 3-line block ×5, first 2 shown]
	global_load_u16 v32, v[18:19], off
	global_load_u16 v33, v[20:21], off
	;; [unrolled: 1-line block ×5, first 2 shown]
	v_add_co_u32 v18, vcc_lo, v24, s22
	s_wait_alu 0xfffd
	v_add_co_ci_u32_e64 v19, null, s23, v25, vcc_lo
	v_add_co_u32 v20, vcc_lo, v26, s22
	s_wait_alu 0xfffd
	v_add_co_ci_u32_e64 v21, null, s23, v27, vcc_lo
	;; [unrolled: 3-line block ×5, first 2 shown]
	global_load_u16 v37, v[18:19], off
	global_load_u16 v38, v[20:21], off
	;; [unrolled: 1-line block ×5, first 2 shown]
	v_add_co_u32 v18, vcc_lo, v24, s22
	s_wait_alu 0xfffd
	v_add_co_ci_u32_e64 v19, null, s23, v25, vcc_lo
	v_add_co_u32 v20, vcc_lo, v26, s22
	s_wait_alu 0xfffd
	v_add_co_ci_u32_e64 v21, null, s23, v27, vcc_lo
	global_load_u16 v18, v[18:19], off
	global_load_u16 v19, v[20:21], off
	s_wait_loadcnt 0x10
	ds_bpermute_b32 v20, v3, v17
	ds_bpermute_b32 v21, v9, v17
	;; [unrolled: 1-line block ×3, first 2 shown]
	v_add_co_u32 v6, vcc_lo, v6, s18
	s_add_nc_u64 s[14:15], s[14:15], s[16:17]
	s_wait_alu 0xfffd
	v_add_co_ci_u32_e64 v7, null, s19, v7, vcc_lo
	v_add_co_u32 v4, vcc_lo, v4, s16
	s_wait_alu 0xfffe
	v_cmp_lt_i64_e64 s3, s[14:15], s[4:5]
	s_wait_alu 0xfffd
	v_add_co_ci_u32_e64 v5, null, 0, v5, vcc_lo
	v_add_co_u32 v14, vcc_lo, v14, s20
	s_wait_alu 0xfffd
	v_add_co_ci_u32_e64 v15, null, s21, v15, vcc_lo
	s_and_b32 vcc_lo, exec_lo, s3
	s_wait_loadcnt 0xf
	v_cvt_f32_f16_e32 v24, v28
	s_wait_loadcnt 0xe
	v_cvt_f32_f16_e32 v25, v29
	;; [unrolled: 2-line block ×3, first 2 shown]
	ds_bpermute_b32 v28, v10, v17
	v_mul_f32_e32 v24, v24, v25
	s_wait_loadcnt 0xc
	v_cvt_f32_f16_e32 v25, v31
	s_wait_dscnt 0x3
	s_delay_alu instid0(VALU_DEP_2) | instskip(NEXT) | instid1(VALU_DEP_2)
	v_fmac_f32_e32 v16, v24, v20
	v_mul_f32_e32 v20, v27, v25
	ds_bpermute_b32 v25, v11, v17
	s_wait_dscnt 0x3
	v_fmac_f32_e32 v16, v20, v21
	s_wait_loadcnt 0xb
	v_cvt_f32_f16_e32 v29, v32
	s_wait_loadcnt 0xa
	v_cvt_f32_f16_e32 v24, v33
	;; [unrolled: 2-line block ×4, first 2 shown]
	v_mul_f32_e32 v20, v29, v24
	ds_bpermute_b32 v24, v12, v17
	s_wait_loadcnt 0x7
	v_cvt_f32_f16_e32 v29, v36
	s_wait_dscnt 0x3
	v_fmac_f32_e32 v16, v20, v26
	v_mul_f32_e32 v20, v27, v21
	ds_bpermute_b32 v26, v13, v17
	ds_bpermute_b32 v17, v2, v17
	s_wait_dscnt 0x4
	v_fmac_f32_e32 v16, v20, v28
	s_wait_loadcnt 0x6
	v_cvt_f32_f16_e32 v21, v37
	s_wait_loadcnt 0x5
	v_cvt_f32_f16_e32 v27, v38
	s_delay_alu instid0(VALU_DEP_2)
	v_mul_f32_e32 v20, v29, v21
	s_wait_loadcnt 0x4
	v_cvt_f32_f16_e32 v21, v22
	s_wait_loadcnt 0x3
	v_cvt_f32_f16_e32 v22, v23
	;; [unrolled: 2-line block ×3, first 2 shown]
	s_wait_dscnt 0x3
	v_fmac_f32_e32 v16, v20, v25
	v_mul_f32_e32 v20, v27, v21
	s_wait_loadcnt 0x1
	v_cvt_f32_f16_e32 v18, v18
	s_wait_loadcnt 0x0
	v_cvt_f32_f16_e32 v19, v19
	s_wait_dscnt 0x2
	v_fmac_f32_e32 v16, v20, v24
	v_mul_f32_e32 v20, v22, v23
	s_delay_alu instid0(VALU_DEP_3) | instskip(SKIP_1) | instid1(VALU_DEP_2)
	v_mul_f32_e32 v18, v18, v19
	s_wait_dscnt 0x1
	v_fmac_f32_e32 v16, v20, v26
	s_wait_dscnt 0x0
	s_delay_alu instid0(VALU_DEP_1)
	v_fmac_f32_e32 v16, v18, v17
	s_wait_alu 0xfffe
	s_cbranch_vccz .LBB177_7
.LBB177_4:                              ; =>This Inner Loop Header: Depth=1
	v_mov_b32_e32 v17, 0
	s_and_saveexec_b32 s3, s2
	s_cbranch_execz .LBB177_3
; %bb.5:                                ;   in Loop: Header=BB177_4 Depth=1
	v_mov_b32_e32 v17, 0
	s_mov_b32 s24, exec_lo
	v_cmpx_gt_i64_e64 s[4:5], v[4:5]
	s_cbranch_execz .LBB177_2
; %bb.6:                                ;   in Loop: Header=BB177_4 Depth=1
	global_load_b32 v17, v[6:7], off
	s_branch .LBB177_2
.LBB177_7:
	s_delay_alu instid0(VALU_DEP_1)
	v_cvt_f16_f32_e32 v3, v16
.LBB177_8:
	s_cmp_eq_u64 s[12:13], 0
	s_cbranch_scc1 .LBB177_10
; %bb.9:
	s_load_u16 s0, s[0:1], 0x4e
	v_mov_b32_e32 v2, 0
	s_mov_b32 s2, ttmp9
	s_mov_b32 s3, 0
	v_lshlrev_b32_e32 v0, 1, v0
	s_wait_kmcnt 0x0
	v_mad_co_u64_u32 v[1:2], null, s0, ttmp7, v[1:2]
	s_wait_alu 0xfffe
	s_lshl_b64 s[0:1], s[2:3], 6
	s_delay_alu instid0(VALU_DEP_1) | instskip(NEXT) | instid1(VALU_DEP_2)
	v_mul_lo_u32 v4, v2, s6
	v_mul_lo_u32 v5, v1, s7
	v_mad_co_u64_u32 v[1:2], null, v1, s6, 0
	s_delay_alu instid0(VALU_DEP_1) | instskip(NEXT) | instid1(VALU_DEP_1)
	v_add3_u32 v2, v2, v5, v4
	v_lshlrev_b64_e32 v[1:2], 1, v[1:2]
	s_delay_alu instid0(VALU_DEP_1) | instskip(SKIP_1) | instid1(VALU_DEP_2)
	v_add_co_u32 v1, vcc_lo, s12, v1
	s_wait_alu 0xfffd
	v_add_co_ci_u32_e64 v2, null, s13, v2, vcc_lo
	s_wait_alu 0xfffe
	s_delay_alu instid0(VALU_DEP_2) | instskip(SKIP_1) | instid1(VALU_DEP_2)
	v_add_co_u32 v1, vcc_lo, v1, s0
	s_wait_alu 0xfffd
	v_add_co_ci_u32_e64 v2, null, s1, v2, vcc_lo
	s_delay_alu instid0(VALU_DEP_2) | instskip(SKIP_1) | instid1(VALU_DEP_2)
	v_add_co_u32 v0, vcc_lo, v1, v0
	s_wait_alu 0xfffd
	v_add_co_ci_u32_e64 v1, null, 0, v2, vcc_lo
	global_store_b16 v[0:1], v3, off
.LBB177_10:
	s_endpgm
	.section	.rodata,"a",@progbits
	.p2align	6, 0x0
	.amdhsa_kernel _ZN2at6native12_GLOBAL__N_135GammaBetaBackwardCUDAKernelTemplateIN3c104HalfEfLj32ELj1ELj8ELb1ELb1ELb1EEEvllPKT_S7_PKT0_SA_PS5_SB_
		.amdhsa_group_segment_fixed_size 0
		.amdhsa_private_segment_fixed_size 0
		.amdhsa_kernarg_size 320
		.amdhsa_user_sgpr_count 2
		.amdhsa_user_sgpr_dispatch_ptr 0
		.amdhsa_user_sgpr_queue_ptr 0
		.amdhsa_user_sgpr_kernarg_segment_ptr 1
		.amdhsa_user_sgpr_dispatch_id 0
		.amdhsa_user_sgpr_private_segment_size 0
		.amdhsa_wavefront_size32 1
		.amdhsa_uses_dynamic_stack 0
		.amdhsa_enable_private_segment 0
		.amdhsa_system_sgpr_workgroup_id_x 1
		.amdhsa_system_sgpr_workgroup_id_y 1
		.amdhsa_system_sgpr_workgroup_id_z 0
		.amdhsa_system_sgpr_workgroup_info 0
		.amdhsa_system_vgpr_workitem_id 1
		.amdhsa_next_free_vgpr 40
		.amdhsa_next_free_sgpr 25
		.amdhsa_reserve_vcc 1
		.amdhsa_float_round_mode_32 0
		.amdhsa_float_round_mode_16_64 0
		.amdhsa_float_denorm_mode_32 3
		.amdhsa_float_denorm_mode_16_64 3
		.amdhsa_fp16_overflow 0
		.amdhsa_workgroup_processor_mode 1
		.amdhsa_memory_ordered 1
		.amdhsa_forward_progress 1
		.amdhsa_inst_pref_size 12
		.amdhsa_round_robin_scheduling 0
		.amdhsa_exception_fp_ieee_invalid_op 0
		.amdhsa_exception_fp_denorm_src 0
		.amdhsa_exception_fp_ieee_div_zero 0
		.amdhsa_exception_fp_ieee_overflow 0
		.amdhsa_exception_fp_ieee_underflow 0
		.amdhsa_exception_fp_ieee_inexact 0
		.amdhsa_exception_int_div_zero 0
	.end_amdhsa_kernel
	.section	.text._ZN2at6native12_GLOBAL__N_135GammaBetaBackwardCUDAKernelTemplateIN3c104HalfEfLj32ELj1ELj8ELb1ELb1ELb1EEEvllPKT_S7_PKT0_SA_PS5_SB_,"axG",@progbits,_ZN2at6native12_GLOBAL__N_135GammaBetaBackwardCUDAKernelTemplateIN3c104HalfEfLj32ELj1ELj8ELb1ELb1ELb1EEEvllPKT_S7_PKT0_SA_PS5_SB_,comdat
.Lfunc_end177:
	.size	_ZN2at6native12_GLOBAL__N_135GammaBetaBackwardCUDAKernelTemplateIN3c104HalfEfLj32ELj1ELj8ELb1ELb1ELb1EEEvllPKT_S7_PKT0_SA_PS5_SB_, .Lfunc_end177-_ZN2at6native12_GLOBAL__N_135GammaBetaBackwardCUDAKernelTemplateIN3c104HalfEfLj32ELj1ELj8ELb1ELb1ELb1EEEvllPKT_S7_PKT0_SA_PS5_SB_
                                        ; -- End function
	.set _ZN2at6native12_GLOBAL__N_135GammaBetaBackwardCUDAKernelTemplateIN3c104HalfEfLj32ELj1ELj8ELb1ELb1ELb1EEEvllPKT_S7_PKT0_SA_PS5_SB_.num_vgpr, 40
	.set _ZN2at6native12_GLOBAL__N_135GammaBetaBackwardCUDAKernelTemplateIN3c104HalfEfLj32ELj1ELj8ELb1ELb1ELb1EEEvllPKT_S7_PKT0_SA_PS5_SB_.num_agpr, 0
	.set _ZN2at6native12_GLOBAL__N_135GammaBetaBackwardCUDAKernelTemplateIN3c104HalfEfLj32ELj1ELj8ELb1ELb1ELb1EEEvllPKT_S7_PKT0_SA_PS5_SB_.numbered_sgpr, 25
	.set _ZN2at6native12_GLOBAL__N_135GammaBetaBackwardCUDAKernelTemplateIN3c104HalfEfLj32ELj1ELj8ELb1ELb1ELb1EEEvllPKT_S7_PKT0_SA_PS5_SB_.num_named_barrier, 0
	.set _ZN2at6native12_GLOBAL__N_135GammaBetaBackwardCUDAKernelTemplateIN3c104HalfEfLj32ELj1ELj8ELb1ELb1ELb1EEEvllPKT_S7_PKT0_SA_PS5_SB_.private_seg_size, 0
	.set _ZN2at6native12_GLOBAL__N_135GammaBetaBackwardCUDAKernelTemplateIN3c104HalfEfLj32ELj1ELj8ELb1ELb1ELb1EEEvllPKT_S7_PKT0_SA_PS5_SB_.uses_vcc, 1
	.set _ZN2at6native12_GLOBAL__N_135GammaBetaBackwardCUDAKernelTemplateIN3c104HalfEfLj32ELj1ELj8ELb1ELb1ELb1EEEvllPKT_S7_PKT0_SA_PS5_SB_.uses_flat_scratch, 0
	.set _ZN2at6native12_GLOBAL__N_135GammaBetaBackwardCUDAKernelTemplateIN3c104HalfEfLj32ELj1ELj8ELb1ELb1ELb1EEEvllPKT_S7_PKT0_SA_PS5_SB_.has_dyn_sized_stack, 0
	.set _ZN2at6native12_GLOBAL__N_135GammaBetaBackwardCUDAKernelTemplateIN3c104HalfEfLj32ELj1ELj8ELb1ELb1ELb1EEEvllPKT_S7_PKT0_SA_PS5_SB_.has_recursion, 0
	.set _ZN2at6native12_GLOBAL__N_135GammaBetaBackwardCUDAKernelTemplateIN3c104HalfEfLj32ELj1ELj8ELb1ELb1ELb1EEEvllPKT_S7_PKT0_SA_PS5_SB_.has_indirect_call, 0
	.section	.AMDGPU.csdata,"",@progbits
; Kernel info:
; codeLenInByte = 1516
; TotalNumSgprs: 27
; NumVgprs: 40
; ScratchSize: 0
; MemoryBound: 0
; FloatMode: 240
; IeeeMode: 1
; LDSByteSize: 0 bytes/workgroup (compile time only)
; SGPRBlocks: 0
; VGPRBlocks: 4
; NumSGPRsForWavesPerEU: 27
; NumVGPRsForWavesPerEU: 40
; Occupancy: 16
; WaveLimiterHint : 0
; COMPUTE_PGM_RSRC2:SCRATCH_EN: 0
; COMPUTE_PGM_RSRC2:USER_SGPR: 2
; COMPUTE_PGM_RSRC2:TRAP_HANDLER: 0
; COMPUTE_PGM_RSRC2:TGID_X_EN: 1
; COMPUTE_PGM_RSRC2:TGID_Y_EN: 1
; COMPUTE_PGM_RSRC2:TGID_Z_EN: 0
; COMPUTE_PGM_RSRC2:TIDIG_COMP_CNT: 1
	.section	.text._ZN2at6native12_GLOBAL__N_135GammaBetaBackwardCUDAKernelTemplateIN3c104HalfEfLj32ELj1ELj8ELb1ELb0ELb1EEEvllPKT_S7_PKT0_SA_PS5_SB_,"axG",@progbits,_ZN2at6native12_GLOBAL__N_135GammaBetaBackwardCUDAKernelTemplateIN3c104HalfEfLj32ELj1ELj8ELb1ELb0ELb1EEEvllPKT_S7_PKT0_SA_PS5_SB_,comdat
	.globl	_ZN2at6native12_GLOBAL__N_135GammaBetaBackwardCUDAKernelTemplateIN3c104HalfEfLj32ELj1ELj8ELb1ELb0ELb1EEEvllPKT_S7_PKT0_SA_PS5_SB_ ; -- Begin function _ZN2at6native12_GLOBAL__N_135GammaBetaBackwardCUDAKernelTemplateIN3c104HalfEfLj32ELj1ELj8ELb1ELb0ELb1EEEvllPKT_S7_PKT0_SA_PS5_SB_
	.p2align	8
	.type	_ZN2at6native12_GLOBAL__N_135GammaBetaBackwardCUDAKernelTemplateIN3c104HalfEfLj32ELj1ELj8ELb1ELb0ELb1EEEvllPKT_S7_PKT0_SA_PS5_SB_,@function
_ZN2at6native12_GLOBAL__N_135GammaBetaBackwardCUDAKernelTemplateIN3c104HalfEfLj32ELj1ELj8ELb1ELb0ELb1EEEvllPKT_S7_PKT0_SA_PS5_SB_: ; @_ZN2at6native12_GLOBAL__N_135GammaBetaBackwardCUDAKernelTemplateIN3c104HalfEfLj32ELj1ELj8ELb1ELb0ELb1EEEvllPKT_S7_PKT0_SA_PS5_SB_
; %bb.0:
	s_clause 0x1
	s_load_b256 s[4:11], s[0:1], 0x0
	s_load_b64 s[12:13], s[0:1], 0x28
	s_lshl_b32 s28, ttmp9, 5
	s_mov_b32 s15, 0
	s_or_b32 s14, s28, 31
	s_wait_kmcnt 0x0
	v_cmp_le_i64_e64 s2, s[6:7], s[14:15]
	s_lshl_b32 s14, ttmp7, 3
	s_wait_alu 0xfffe
	v_cmp_gt_i64_e64 s29, s[4:5], s[14:15]
	s_and_b32 vcc_lo, exec_lo, s2
	v_cndmask_b32_e64 v1, 0, 1, s29
	s_delay_alu instid0(VALU_DEP_1)
	v_cmp_ne_u32_e64 s2, 1, v1
	s_cbranch_vccz .LBB178_49
; %bb.1:
	v_mov_b32_e32 v87, 0
	s_and_b32 vcc_lo, exec_lo, s2
	s_cbranch_vccnz .LBB178_50
; %bb.2:
	v_bfe_u32 v22, v0, 10, 10
	v_dual_mov_b32 v1, 0 :: v_dual_and_b32 v24, 0x3ff, v0
	s_load_b32 s3, s[0:1], 0x44
	s_mov_b32 s17, 0
	s_delay_alu instid0(VALU_DEP_2) | instskip(NEXT) | instid1(VALU_DEP_2)
	v_dual_mov_b32 v58, 0 :: v_dual_lshlrev_b32 v23, 3, v22
	v_dual_mov_b32 v5, v1 :: v_dual_add_nc_u32 v4, s28, v24
	s_mov_b32 s21, s17
	s_delay_alu instid0(VALU_DEP_2) | instskip(NEXT) | instid1(VALU_DEP_1)
	v_add_co_u32 v10, s2, v23, s14
	v_add_co_ci_u32_e64 v11, null, 0, 0, s2
	s_delay_alu instid0(VALU_DEP_3) | instskip(NEXT) | instid1(VALU_DEP_3)
	v_cmp_gt_i64_e64 s2, s[6:7], v[4:5]
	v_mul_lo_u32 v6, s7, v10
	v_mad_co_u64_u32 v[2:3], null, s6, v10, 0
	s_delay_alu instid0(VALU_DEP_4)
	v_mul_lo_u32 v7, s6, v11
	v_lshlrev_b64_e32 v[18:19], 1, v[4:5]
	v_mov_b32_e32 v25, v1
	s_add_nc_u64 s[18:19], s[0:1], 64
	s_mov_b64 s[24:25], 7
	s_wait_kmcnt 0x0
	s_lshl_b32 s20, s3, 3
	s_mov_b64 s[26:27], s[14:15]
	s_mul_u64 s[22:23], s[6:7], s[20:21]
	v_add3_u32 v3, v3, v7, v6
	v_add_co_u32 v6, vcc_lo, v10, 7
	s_delay_alu instid0(VALU_DEP_1)
	v_add_co_ci_u32_e64 v7, null, 0, v11, vcc_lo
	v_add_co_u32 v8, vcc_lo, v10, 6
	s_wait_alu 0xfffd
	v_add_co_ci_u32_e64 v9, null, 0, v11, vcc_lo
	v_lshlrev_b64_e32 v[4:5], 1, v[2:3]
	v_mul_lo_u32 v12, s7, v6
	v_mul_lo_u32 v13, s6, v7
	v_mad_co_u64_u32 v[6:7], null, s6, v6, 0
	v_mul_lo_u32 v14, s7, v8
	v_mul_lo_u32 v15, s6, v9
	v_mad_co_u64_u32 v[8:9], null, s6, v8, 0
	v_add_co_u32 v26, vcc_lo, s8, v4
	s_wait_alu 0xfffd
	v_add_co_ci_u32_e64 v27, null, s9, v5, vcc_lo
	v_add_co_u32 v28, vcc_lo, s10, v4
	v_add3_u32 v7, v7, v13, v12
	s_wait_alu 0xfffd
	v_add_co_ci_u32_e64 v29, null, s11, v5, vcc_lo
	v_add_co_u32 v12, vcc_lo, v10, 5
	v_add3_u32 v9, v9, v15, v14
	s_wait_alu 0xfffd
	v_add_co_ci_u32_e64 v13, null, 0, v11, vcc_lo
	v_lshlrev_b64_e32 v[4:5], 1, v[6:7]
	v_mul_lo_u32 v14, s7, v12
	v_lshlrev_b64_e32 v[6:7], 1, v[8:9]
	s_delay_alu instid0(VALU_DEP_4)
	v_mul_lo_u32 v13, s6, v13
	v_mad_co_u64_u32 v[8:9], null, s6, v12, 0
	v_add_co_u32 v30, vcc_lo, s8, v4
	s_wait_alu 0xfffd
	v_add_co_ci_u32_e64 v31, null, s9, v5, vcc_lo
	v_add_co_u32 v32, vcc_lo, s10, v4
	s_wait_alu 0xfffd
	v_add_co_ci_u32_e64 v33, null, s11, v5, vcc_lo
	v_add_co_u32 v34, vcc_lo, s8, v6
	v_add3_u32 v9, v9, v13, v14
	s_wait_alu 0xfffd
	v_add_co_ci_u32_e64 v35, null, s9, v7, vcc_lo
	v_add_co_u32 v12, vcc_lo, v10, 4
	v_add_co_u32 v36, s3, s10, v6
	s_wait_alu 0xfffd
	v_add_co_ci_u32_e64 v6, null, 0, v11, vcc_lo
	v_lshlrev_b64_e32 v[4:5], 1, v[8:9]
	v_add_co_u32 v8, vcc_lo, v10, 3
	s_wait_alu 0xfffd
	v_add_co_ci_u32_e64 v9, null, 0, v11, vcc_lo
	s_wait_alu 0xf1ff
	v_add_co_ci_u32_e64 v37, null, s11, v7, s3
	v_mul_lo_u32 v13, s7, v12
	v_mul_lo_u32 v14, s6, v6
	v_mad_co_u64_u32 v[6:7], null, s6, v12, 0
	v_mul_lo_u32 v12, s7, v8
	v_mul_lo_u32 v15, s6, v9
	v_mad_co_u64_u32 v[8:9], null, s6, v8, 0
	v_add_co_u32 v38, vcc_lo, s8, v4
	s_wait_alu 0xfffd
	v_add_co_ci_u32_e64 v39, null, s9, v5, vcc_lo
	v_add3_u32 v7, v7, v14, v13
	v_add_co_u32 v40, vcc_lo, s10, v4
	s_wait_alu 0xfffd
	v_add_co_ci_u32_e64 v41, null, s11, v5, vcc_lo
	v_add_co_u32 v10, vcc_lo, v10, 2
	v_add3_u32 v9, v9, v15, v12
	s_wait_alu 0xfffd
	v_add_co_ci_u32_e64 v11, null, 0, v11, vcc_lo
	v_lshlrev_b64_e32 v[4:5], 1, v[6:7]
	v_mul_lo_u32 v12, s7, v10
	v_lshlrev_b64_e32 v[6:7], 1, v[8:9]
	s_delay_alu instid0(VALU_DEP_4)
	v_mul_lo_u32 v11, s6, v11
	v_mad_co_u64_u32 v[8:9], null, s6, v10, 0
	v_add_co_u32 v42, vcc_lo, s8, v4
	s_wait_alu 0xfffd
	v_add_co_ci_u32_e64 v43, null, s9, v5, vcc_lo
	v_add_co_u32 v44, vcc_lo, s10, v4
	s_wait_alu 0xfffd
	v_add_co_ci_u32_e64 v45, null, s11, v5, vcc_lo
	;; [unrolled: 3-line block ×3, first 2 shown]
	v_add3_u32 v9, v9, v11, v12
	v_add_co_u32 v48, vcc_lo, s10, v6
	s_wait_alu 0xfffd
	v_add_co_ci_u32_e64 v49, null, s11, v7, vcc_lo
	v_add_co_u32 v2, vcc_lo, v2, s6
	s_wait_alu 0xfffd
	v_add_co_ci_u32_e64 v3, null, s7, v3, vcc_lo
	v_lshlrev_b64_e32 v[4:5], 1, v[8:9]
	s_lshl_b64 s[22:23], s[22:23], 1
	s_delay_alu instid0(VALU_DEP_2) | instskip(NEXT) | instid1(VALU_DEP_2)
	v_lshlrev_b64_e32 v[2:3], 1, v[2:3]
	v_add_co_u32 v50, vcc_lo, s8, v4
	s_wait_alu 0xfffd
	s_delay_alu instid0(VALU_DEP_3)
	v_add_co_ci_u32_e64 v51, null, s9, v5, vcc_lo
	v_add_co_u32 v52, vcc_lo, s10, v4
	s_wait_alu 0xfffd
	v_add_co_ci_u32_e64 v53, null, s11, v5, vcc_lo
	v_add_co_u32 v54, vcc_lo, s8, v2
	s_wait_alu 0xfffd
	;; [unrolled: 3-line block ×3, first 2 shown]
	v_add_co_ci_u32_e64 v57, null, s11, v3, vcc_lo
.LBB178_3:                              ; =>This Inner Loop Header: Depth=1
	s_add_nc_u64 s[30:31], s[14:15], s[24:25]
	v_add_co_u32 v20, vcc_lo, s14, v23
	s_wait_alu 0xfffe
	v_cmp_ge_i64_e64 s3, s[30:31], s[4:5]
	s_wait_alu 0xfffd
	v_add_co_ci_u32_e64 v21, null, 0, v25, vcc_lo
                                        ; implicit-def: $vgpr2_vgpr3_vgpr4_vgpr5_vgpr6_vgpr7_vgpr8_vgpr9
                                        ; implicit-def: $vgpr87
                                        ; implicit-def: $vgpr10_vgpr11_vgpr12_vgpr13_vgpr14_vgpr15_vgpr16_vgpr17
                                        ; implicit-def: $vgpr2
	s_and_b32 vcc_lo, exec_lo, s3
	s_mov_b32 s3, -1
	s_wait_alu 0xfffe
	s_cbranch_vccz .LBB178_25
; %bb.4:                                ;   in Loop: Header=BB178_3 Depth=1
	s_load_b32 s3, s[18:19], 0xc
	v_mov_b32_e32 v59, 0
	s_wait_kmcnt 0x0
	s_and_b32 s3, s3, 0xffff
	s_wait_alu 0xfffe
	v_mad_u32_u24 v2, v22, s3, v24
	s_mov_b32 s3, exec_lo
	s_delay_alu instid0(VALU_DEP_1) | instskip(NEXT) | instid1(VALU_DEP_1)
	v_and_b32_e32 v2, 31, v2
	v_cmpx_gt_u32_e32 8, v2
	s_cbranch_execz .LBB178_8
; %bb.5:                                ;   in Loop: Header=BB178_3 Depth=1
	v_add_co_u32 v2, vcc_lo, v20, v2
	s_wait_alu 0xfffd
	v_add_co_ci_u32_e64 v3, null, 0, v21, vcc_lo
	v_mov_b32_e32 v59, 0
	s_mov_b32 s16, exec_lo
	s_delay_alu instid0(VALU_DEP_2)
	v_cmpx_gt_i64_e64 s[4:5], v[2:3]
	s_cbranch_execz .LBB178_7
; %bb.6:                                ;   in Loop: Header=BB178_3 Depth=1
	v_lshlrev_b64_e32 v[2:3], 2, v[2:3]
	s_delay_alu instid0(VALU_DEP_1) | instskip(SKIP_1) | instid1(VALU_DEP_2)
	v_add_co_u32 v2, vcc_lo, s12, v2
	s_wait_alu 0xfffd
	v_add_co_ci_u32_e64 v3, null, s13, v3, vcc_lo
	global_load_b32 v59, v[2:3], off
.LBB178_7:                              ;   in Loop: Header=BB178_3 Depth=1
	s_or_b32 exec_lo, exec_lo, s16
.LBB178_8:                              ;   in Loop: Header=BB178_3 Depth=1
	s_wait_alu 0xfffe
	s_or_b32 exec_lo, exec_lo, s3
	v_mov_b32_e32 v8, v1
	v_dual_mov_b32 v2, v1 :: v_dual_mov_b32 v3, v1
	v_dual_mov_b32 v4, v1 :: v_dual_mov_b32 v5, v1
	;; [unrolled: 1-line block ×3, first 2 shown]
	v_cmp_gt_i64_e32 vcc_lo, s[4:5], v[20:21]
	s_delay_alu instid0(VALU_DEP_3) | instskip(NEXT) | instid1(VALU_DEP_3)
	v_dual_mov_b32 v17, v8 :: v_dual_mov_b32 v14, v5
	v_dual_mov_b32 v15, v6 :: v_dual_mov_b32 v16, v7
	;; [unrolled: 1-line block ×4, first 2 shown]
	v_mov_b32_e32 v9, v8
	v_mov_b32_e32 v8, v7
	;; [unrolled: 1-line block ×8, first 2 shown]
	s_and_b32 s16, s2, vcc_lo
	s_delay_alu instid0(SALU_CYCLE_1)
	s_and_saveexec_b32 s3, s16
	s_cbranch_execz .LBB178_10
; %bb.9:                                ;   in Loop: Header=BB178_3 Depth=1
	v_add_co_u32 v2, vcc_lo, v26, v18
	s_wait_alu 0xfffd
	v_add_co_ci_u32_e64 v3, null, v27, v19, vcc_lo
	v_add_co_u32 v4, vcc_lo, v28, v18
	s_wait_alu 0xfffd
	v_add_co_ci_u32_e64 v5, null, v29, v19, vcc_lo
	global_load_u16 v2, v[2:3], off
	global_load_u16 v10, v[4:5], off
	v_dual_mov_b32 v3, v1 :: v_dual_mov_b32 v4, v1
	v_dual_mov_b32 v5, v1 :: v_dual_mov_b32 v6, v1
	;; [unrolled: 1-line block ×6, first 2 shown]
	v_mov_b32_e32 v15, v1
	v_mov_b32_e32 v17, v1
	s_wait_loadcnt 0x1
	v_cvt_f32_f16_e32 v2, v2
	s_wait_loadcnt 0x0
	v_cvt_f32_f16_e32 v10, v10
.LBB178_10:                             ;   in Loop: Header=BB178_3 Depth=1
	s_wait_alu 0xfffe
	s_or_b32 exec_lo, exec_lo, s3
	v_add_co_u32 v60, vcc_lo, v20, 1
	s_wait_alu 0xfffd
	v_add_co_ci_u32_e64 v61, null, 0, v21, vcc_lo
	s_delay_alu instid0(VALU_DEP_1) | instskip(SKIP_1) | instid1(SALU_CYCLE_1)
	v_cmp_gt_i64_e32 vcc_lo, s[4:5], v[60:61]
	s_and_b32 s16, s2, vcc_lo
	s_and_saveexec_b32 s3, s16
	s_cbranch_execz .LBB178_12
; %bb.11:                               ;   in Loop: Header=BB178_3 Depth=1
	v_add_co_u32 v60, vcc_lo, v54, v18
	s_wait_alu 0xfffd
	v_add_co_ci_u32_e64 v61, null, v55, v19, vcc_lo
	v_add_co_u32 v62, vcc_lo, v56, v18
	s_wait_alu 0xfffd
	v_add_co_ci_u32_e64 v63, null, v57, v19, vcc_lo
	global_load_u16 v3, v[60:61], off
	global_load_u16 v11, v[62:63], off
	s_wait_loadcnt 0x1
	v_cvt_f32_f16_e32 v3, v3
	s_wait_loadcnt 0x0
	v_cvt_f32_f16_e32 v11, v11
.LBB178_12:                             ;   in Loop: Header=BB178_3 Depth=1
	s_wait_alu 0xfffe
	s_or_b32 exec_lo, exec_lo, s3
	v_add_co_u32 v60, vcc_lo, v20, 2
	s_wait_alu 0xfffd
	v_add_co_ci_u32_e64 v61, null, 0, v21, vcc_lo
	s_delay_alu instid0(VALU_DEP_1) | instskip(SKIP_1) | instid1(SALU_CYCLE_1)
	v_cmp_gt_i64_e32 vcc_lo, s[4:5], v[60:61]
	s_and_b32 s16, s2, vcc_lo
	s_and_saveexec_b32 s3, s16
	s_cbranch_execz .LBB178_14
; %bb.13:                               ;   in Loop: Header=BB178_3 Depth=1
	v_add_co_u32 v60, vcc_lo, v50, v18
	s_wait_alu 0xfffd
	v_add_co_ci_u32_e64 v61, null, v51, v19, vcc_lo
	v_add_co_u32 v62, vcc_lo, v52, v18
	s_wait_alu 0xfffd
	v_add_co_ci_u32_e64 v63, null, v53, v19, vcc_lo
	global_load_u16 v4, v[60:61], off
	global_load_u16 v12, v[62:63], off
	s_wait_loadcnt 0x1
	v_cvt_f32_f16_e32 v4, v4
	s_wait_loadcnt 0x0
	v_cvt_f32_f16_e32 v12, v12
.LBB178_14:                             ;   in Loop: Header=BB178_3 Depth=1
	;; [unrolled: 24-line block ×7, first 2 shown]
	s_wait_alu 0xfffe
	s_or_b32 exec_lo, exec_lo, s3
	s_wait_loadcnt 0x0
	ds_bpermute_b32 v60, v1, v59
	ds_bpermute_b32 v61, v1, v59 offset:4
	ds_bpermute_b32 v62, v1, v59 offset:8
	v_dual_mul_f32 v2, v10, v2 :: v_dual_mul_f32 v3, v11, v3
	ds_bpermute_b32 v10, v1, v59 offset:12
	ds_bpermute_b32 v11, v1, v59 offset:16
	s_mov_b32 s3, 0
	v_mul_f32_e32 v6, v14, v6
	s_wait_dscnt 0x4
	v_fma_f32 v87, v2, v60, v58
	v_mul_f32_e32 v2, v12, v4
	ds_bpermute_b32 v4, v1, v59 offset:20
	s_wait_dscnt 0x4
	v_fmac_f32_e32 v87, v3, v61
	v_mul_f32_e32 v3, v13, v5
	ds_bpermute_b32 v5, v1, v59 offset:24
	s_wait_dscnt 0x4
	v_fmac_f32_e32 v87, v2, v62
	ds_bpermute_b32 v2, v1, v59 offset:28
	s_wait_dscnt 0x4
	v_fmac_f32_e32 v87, v3, v10
	v_mul_f32_e32 v3, v15, v7
	s_wait_dscnt 0x3
	s_delay_alu instid0(VALU_DEP_2) | instskip(SKIP_1) | instid1(VALU_DEP_1)
	v_fmac_f32_e32 v87, v6, v11
	s_wait_dscnt 0x2
	v_fmac_f32_e32 v87, v3, v4
	v_mul_f32_e32 v3, v16, v8
	s_wait_dscnt 0x1
	s_delay_alu instid0(VALU_DEP_1)
	v_fmac_f32_e32 v87, v3, v5
.LBB178_25:                             ;   in Loop: Header=BB178_3 Depth=1
	s_wait_alu 0xfffe
	s_and_b32 vcc_lo, exec_lo, s3
	s_wait_alu 0xfffe
	s_cbranch_vccz .LBB178_40
; %bb.26:                               ;   in Loop: Header=BB178_3 Depth=1
	s_load_b32 s3, s[18:19], 0x0
	v_mov_b32_e32 v59, 0
	s_wait_kmcnt 0x0
	s_cmp_lt_u32 ttmp9, s3
	s_cselect_b32 s16, 12, 18
	s_delay_alu instid0(SALU_CYCLE_1)
	s_add_nc_u64 s[30:31], s[18:19], s[16:17]
	s_load_u16 s3, s[30:31], 0x0
	s_wait_dscnt 0x0
	s_wait_kmcnt 0x0
	v_mad_u32_u24 v2, v22, s3, v24
	s_mov_b32 s3, exec_lo
	s_delay_alu instid0(VALU_DEP_1) | instskip(NEXT) | instid1(VALU_DEP_1)
	v_and_b32_e32 v2, 31, v2
	v_cmpx_gt_u32_e32 8, v2
	s_cbranch_execz .LBB178_30
; %bb.27:                               ;   in Loop: Header=BB178_3 Depth=1
	v_add_co_u32 v2, vcc_lo, v20, v2
	s_wait_alu 0xfffd
	v_add_co_ci_u32_e64 v3, null, 0, v21, vcc_lo
	v_mov_b32_e32 v59, 0
	s_mov_b32 s16, exec_lo
	s_delay_alu instid0(VALU_DEP_2)
	v_cmpx_gt_i64_e64 s[4:5], v[2:3]
	s_cbranch_execz .LBB178_29
; %bb.28:                               ;   in Loop: Header=BB178_3 Depth=1
	v_lshlrev_b64_e32 v[2:3], 2, v[2:3]
	s_delay_alu instid0(VALU_DEP_1) | instskip(SKIP_1) | instid1(VALU_DEP_2)
	v_add_co_u32 v2, vcc_lo, s12, v2
	s_wait_alu 0xfffd
	v_add_co_ci_u32_e64 v3, null, s13, v3, vcc_lo
	global_load_b32 v59, v[2:3], off
.LBB178_29:                             ;   in Loop: Header=BB178_3 Depth=1
	s_or_b32 exec_lo, exec_lo, s16
.LBB178_30:                             ;   in Loop: Header=BB178_3 Depth=1
	s_wait_alu 0xfffe
	s_or_b32 exec_lo, exec_lo, s3
	v_mov_b32_e32 v8, v1
	v_dual_mov_b32 v2, v1 :: v_dual_mov_b32 v3, v1
	v_dual_mov_b32 v4, v1 :: v_dual_mov_b32 v5, v1
	;; [unrolled: 1-line block ×3, first 2 shown]
	s_delay_alu instid0(VALU_DEP_4) | instskip(NEXT) | instid1(VALU_DEP_3)
	v_mov_b32_e32 v17, v8
	v_dual_mov_b32 v13, v4 :: v_dual_mov_b32 v12, v3
	s_delay_alu instid0(VALU_DEP_3) | instskip(NEXT) | instid1(VALU_DEP_4)
	v_dual_mov_b32 v15, v6 :: v_dual_mov_b32 v14, v5
	v_dual_mov_b32 v16, v7 :: v_dual_mov_b32 v11, v2
	;; [unrolled: 1-line block ×3, first 2 shown]
	v_mov_b32_e32 v8, v7
	v_mov_b32_e32 v7, v6
	;; [unrolled: 1-line block ×7, first 2 shown]
	s_and_saveexec_b32 s3, s2
	s_cbranch_execnz .LBB178_42
; %bb.31:                               ;   in Loop: Header=BB178_3 Depth=1
	s_wait_alu 0xfffe
	s_or_b32 exec_lo, exec_lo, s3
	s_and_saveexec_b32 s3, s2
	s_cbranch_execnz .LBB178_43
.LBB178_32:                             ;   in Loop: Header=BB178_3 Depth=1
	s_wait_alu 0xfffe
	s_or_b32 exec_lo, exec_lo, s3
	s_and_saveexec_b32 s3, s2
	s_cbranch_execnz .LBB178_44
.LBB178_33:                             ;   in Loop: Header=BB178_3 Depth=1
	s_wait_alu 0xfffe
	s_or_b32 exec_lo, exec_lo, s3
	s_and_saveexec_b32 s3, s2
	s_cbranch_execnz .LBB178_45
.LBB178_34:                             ;   in Loop: Header=BB178_3 Depth=1
	s_wait_alu 0xfffe
	s_or_b32 exec_lo, exec_lo, s3
	s_and_saveexec_b32 s3, s2
	s_cbranch_execnz .LBB178_46
.LBB178_35:                             ;   in Loop: Header=BB178_3 Depth=1
	s_wait_alu 0xfffe
	s_or_b32 exec_lo, exec_lo, s3
	s_and_saveexec_b32 s3, s2
	s_cbranch_execnz .LBB178_47
.LBB178_36:                             ;   in Loop: Header=BB178_3 Depth=1
	s_wait_alu 0xfffe
	s_or_b32 exec_lo, exec_lo, s3
	s_and_saveexec_b32 s3, s2
	s_cbranch_execnz .LBB178_48
.LBB178_37:                             ;   in Loop: Header=BB178_3 Depth=1
	s_wait_alu 0xfffe
	s_or_b32 exec_lo, exec_lo, s3
	s_and_saveexec_b32 s3, s2
	s_cbranch_execz .LBB178_39
.LBB178_38:                             ;   in Loop: Header=BB178_3 Depth=1
	v_add_co_u32 v20, vcc_lo, v30, v18
	s_wait_alu 0xfffd
	v_add_co_ci_u32_e64 v21, null, v31, v19, vcc_lo
	v_add_co_u32 v60, vcc_lo, v32, v18
	s_wait_alu 0xfffd
	v_add_co_ci_u32_e64 v61, null, v33, v19, vcc_lo
	global_load_u16 v9, v[20:21], off
	global_load_u16 v17, v[60:61], off
	s_wait_loadcnt 0x1
	v_cvt_f32_f16_e32 v9, v9
	s_wait_loadcnt 0x0
	v_cvt_f32_f16_e32 v17, v17
.LBB178_39:                             ;   in Loop: Header=BB178_3 Depth=1
	s_wait_alu 0xfffe
	s_or_b32 exec_lo, exec_lo, s3
	s_wait_loadcnt 0x0
	ds_bpermute_b32 v20, v1, v59
	ds_bpermute_b32 v21, v1, v59 offset:4
	ds_bpermute_b32 v60, v1, v59 offset:8
	v_dual_mul_f32 v2, v10, v2 :: v_dual_mul_f32 v3, v11, v3
	ds_bpermute_b32 v10, v1, v59 offset:12
	ds_bpermute_b32 v11, v1, v59 offset:16
	s_wait_dscnt 0x4
	v_fmac_f32_e32 v58, v2, v20
	v_mul_f32_e32 v2, v12, v4
	ds_bpermute_b32 v4, v1, v59 offset:20
	s_wait_dscnt 0x4
	v_fmac_f32_e32 v58, v3, v21
	v_mul_f32_e32 v3, v13, v5
	;; [unrolled: 4-line block ×3, first 2 shown]
	s_wait_dscnt 0x3
	s_delay_alu instid0(VALU_DEP_2) | instskip(SKIP_2) | instid1(VALU_DEP_2)
	v_fmac_f32_e32 v58, v3, v10
	v_mul_f32_e32 v3, v15, v7
	s_wait_dscnt 0x2
	v_fmac_f32_e32 v58, v2, v11
	ds_bpermute_b32 v2, v1, v59 offset:28
	s_wait_dscnt 0x2
	v_fmac_f32_e32 v58, v3, v4
	v_mul_f32_e32 v3, v16, v8
	s_wait_dscnt 0x1
	s_delay_alu instid0(VALU_DEP_1) | instskip(NEXT) | instid1(VALU_DEP_1)
	v_fmac_f32_e32 v58, v3, v5
	v_mov_b32_e32 v87, v58
.LBB178_40:                             ;   in Loop: Header=BB178_3 Depth=1
	v_add_co_u32 v26, vcc_lo, v26, s22
	s_wait_alu 0xfffd
	v_add_co_ci_u32_e64 v27, null, s23, v27, vcc_lo
	v_add_co_u32 v28, vcc_lo, v28, s22
	s_wait_alu 0xfffd
	v_add_co_ci_u32_e64 v29, null, s23, v29, vcc_lo
	;; [unrolled: 3-line block ×14, first 2 shown]
	v_add_co_u32 v54, vcc_lo, v54, s22
	v_mul_f32_e32 v3, v9, v17
	s_add_nc_u64 s[26:27], s[26:27], s[20:21]
	s_wait_alu 0xfffd
	v_add_co_ci_u32_e64 v55, null, s23, v55, vcc_lo
	v_add_co_u32 v56, vcc_lo, v56, s22
	s_wait_alu 0xfffe
	v_cmp_lt_i64_e64 s3, s[26:27], s[4:5]
	s_wait_alu 0xfffd
	v_add_co_ci_u32_e64 v57, null, s23, v57, vcc_lo
	v_add_co_u32 v23, vcc_lo, v23, s20
	s_wait_dscnt 0x0
	v_fmac_f32_e32 v87, v3, v2
	s_wait_alu 0xfffd
	v_add_co_ci_u32_e64 v25, null, 0, v25, vcc_lo
	s_and_b32 vcc_lo, exec_lo, s3
	s_add_nc_u64 s[24:25], s[24:25], s[20:21]
	s_wait_alu 0xfffe
	s_cbranch_vccz .LBB178_50
; %bb.41:                               ;   in Loop: Header=BB178_3 Depth=1
	v_mov_b32_e32 v58, v87
	s_branch .LBB178_3
.LBB178_42:                             ;   in Loop: Header=BB178_3 Depth=1
	v_add_co_u32 v2, vcc_lo, v26, v18
	s_wait_alu 0xfffd
	v_add_co_ci_u32_e64 v3, null, v27, v19, vcc_lo
	v_add_co_u32 v4, vcc_lo, v28, v18
	s_wait_alu 0xfffd
	v_add_co_ci_u32_e64 v5, null, v29, v19, vcc_lo
	global_load_u16 v2, v[2:3], off
	global_load_u16 v10, v[4:5], off
	v_dual_mov_b32 v3, v1 :: v_dual_mov_b32 v4, v1
	v_dual_mov_b32 v5, v1 :: v_dual_mov_b32 v6, v1
	;; [unrolled: 1-line block ×6, first 2 shown]
	v_mov_b32_e32 v15, v1
	v_mov_b32_e32 v17, v1
	s_wait_loadcnt 0x1
	v_cvt_f32_f16_e32 v2, v2
	s_wait_loadcnt 0x0
	v_cvt_f32_f16_e32 v10, v10
	s_wait_alu 0xfffe
	s_or_b32 exec_lo, exec_lo, s3
	s_and_saveexec_b32 s3, s2
	s_cbranch_execz .LBB178_32
.LBB178_43:                             ;   in Loop: Header=BB178_3 Depth=1
	v_add_co_u32 v20, vcc_lo, v54, v18
	s_wait_alu 0xfffd
	v_add_co_ci_u32_e64 v21, null, v55, v19, vcc_lo
	v_add_co_u32 v60, vcc_lo, v56, v18
	s_wait_alu 0xfffd
	v_add_co_ci_u32_e64 v61, null, v57, v19, vcc_lo
	global_load_u16 v3, v[20:21], off
	global_load_u16 v11, v[60:61], off
	s_wait_loadcnt 0x1
	v_cvt_f32_f16_e32 v3, v3
	s_wait_loadcnt 0x0
	v_cvt_f32_f16_e32 v11, v11
	s_wait_alu 0xfffe
	s_or_b32 exec_lo, exec_lo, s3
	s_and_saveexec_b32 s3, s2
	s_cbranch_execz .LBB178_33
.LBB178_44:                             ;   in Loop: Header=BB178_3 Depth=1
	v_add_co_u32 v20, vcc_lo, v50, v18
	s_wait_alu 0xfffd
	v_add_co_ci_u32_e64 v21, null, v51, v19, vcc_lo
	v_add_co_u32 v60, vcc_lo, v52, v18
	s_wait_alu 0xfffd
	v_add_co_ci_u32_e64 v61, null, v53, v19, vcc_lo
	global_load_u16 v4, v[20:21], off
	global_load_u16 v12, v[60:61], off
	s_wait_loadcnt 0x1
	v_cvt_f32_f16_e32 v4, v4
	s_wait_loadcnt 0x0
	v_cvt_f32_f16_e32 v12, v12
	s_wait_alu 0xfffe
	s_or_b32 exec_lo, exec_lo, s3
	s_and_saveexec_b32 s3, s2
	s_cbranch_execz .LBB178_34
.LBB178_45:                             ;   in Loop: Header=BB178_3 Depth=1
	v_add_co_u32 v20, vcc_lo, v46, v18
	s_wait_alu 0xfffd
	v_add_co_ci_u32_e64 v21, null, v47, v19, vcc_lo
	v_add_co_u32 v60, vcc_lo, v48, v18
	s_wait_alu 0xfffd
	v_add_co_ci_u32_e64 v61, null, v49, v19, vcc_lo
	global_load_u16 v5, v[20:21], off
	global_load_u16 v13, v[60:61], off
	s_wait_loadcnt 0x1
	v_cvt_f32_f16_e32 v5, v5
	s_wait_loadcnt 0x0
	v_cvt_f32_f16_e32 v13, v13
	s_wait_alu 0xfffe
	s_or_b32 exec_lo, exec_lo, s3
	s_and_saveexec_b32 s3, s2
	s_cbranch_execz .LBB178_35
.LBB178_46:                             ;   in Loop: Header=BB178_3 Depth=1
	v_add_co_u32 v20, vcc_lo, v42, v18
	s_wait_alu 0xfffd
	v_add_co_ci_u32_e64 v21, null, v43, v19, vcc_lo
	v_add_co_u32 v60, vcc_lo, v44, v18
	s_wait_alu 0xfffd
	v_add_co_ci_u32_e64 v61, null, v45, v19, vcc_lo
	global_load_u16 v6, v[20:21], off
	global_load_u16 v14, v[60:61], off
	s_wait_loadcnt 0x1
	v_cvt_f32_f16_e32 v6, v6
	s_wait_loadcnt 0x0
	v_cvt_f32_f16_e32 v14, v14
	s_wait_alu 0xfffe
	s_or_b32 exec_lo, exec_lo, s3
	s_and_saveexec_b32 s3, s2
	s_cbranch_execz .LBB178_36
.LBB178_47:                             ;   in Loop: Header=BB178_3 Depth=1
	v_add_co_u32 v20, vcc_lo, v38, v18
	s_wait_alu 0xfffd
	v_add_co_ci_u32_e64 v21, null, v39, v19, vcc_lo
	v_add_co_u32 v60, vcc_lo, v40, v18
	s_wait_alu 0xfffd
	v_add_co_ci_u32_e64 v61, null, v41, v19, vcc_lo
	global_load_u16 v7, v[20:21], off
	global_load_u16 v15, v[60:61], off
	s_wait_loadcnt 0x1
	v_cvt_f32_f16_e32 v7, v7
	s_wait_loadcnt 0x0
	v_cvt_f32_f16_e32 v15, v15
	s_wait_alu 0xfffe
	s_or_b32 exec_lo, exec_lo, s3
	s_and_saveexec_b32 s3, s2
	s_cbranch_execz .LBB178_37
.LBB178_48:                             ;   in Loop: Header=BB178_3 Depth=1
	v_add_co_u32 v20, vcc_lo, v34, v18
	s_wait_alu 0xfffd
	v_add_co_ci_u32_e64 v21, null, v35, v19, vcc_lo
	v_add_co_u32 v60, vcc_lo, v36, v18
	s_wait_alu 0xfffd
	v_add_co_ci_u32_e64 v61, null, v37, v19, vcc_lo
	global_load_u16 v8, v[20:21], off
	global_load_u16 v16, v[60:61], off
	s_wait_loadcnt 0x1
	v_cvt_f32_f16_e32 v8, v8
	s_wait_loadcnt 0x0
	v_cvt_f32_f16_e32 v16, v16
	s_wait_alu 0xfffe
	s_or_b32 exec_lo, exec_lo, s3
	s_and_saveexec_b32 s3, s2
	s_cbranch_execnz .LBB178_38
	s_branch .LBB178_39
.LBB178_49:
                                        ; implicit-def: $vgpr87
	s_load_b64 s[16:17], s[0:1], 0x30
	s_branch .LBB178_51
.LBB178_50:
	s_load_b64 s[16:17], s[0:1], 0x30
	s_cbranch_execnz .LBB178_83
.LBB178_51:
	v_mov_b32_e32 v87, 0
	s_and_not1_b32 vcc_lo, exec_lo, s29
	s_wait_alu 0xfffe
	s_cbranch_vccnz .LBB178_83
; %bb.52:
	v_bfe_u32 v50, v0, 10, 10
	v_dual_mov_b32 v1, 0 :: v_dual_and_b32 v52, 0x3ff, v0
	s_lshl_b64 s[22:23], s[14:15], 1
	s_mov_b32 s3, 0
	s_delay_alu instid0(VALU_DEP_2) | instskip(NEXT) | instid1(VALU_DEP_2)
	v_dual_mov_b32 v86, 0 :: v_dual_lshlrev_b32 v51, 3, v50
	v_dual_mov_b32 v53, v1 :: v_dual_lshlrev_b32 v8, 4, v50
	v_dual_mov_b32 v5, v1 :: v_dual_add_nc_u32 v4, s28, v52
	s_delay_alu instid0(VALU_DEP_3) | instskip(SKIP_2) | instid1(VALU_DEP_3)
	v_add_co_u32 v10, s2, v51, s14
	s_wait_alu 0xf1ff
	v_add_co_ci_u32_e64 v11, null, 0, 0, s2
	v_lshlrev_b64_e32 v[18:19], 1, v[4:5]
	s_delay_alu instid0(VALU_DEP_3) | instskip(SKIP_1) | instid1(VALU_DEP_4)
	v_mul_lo_u32 v6, s7, v10
	v_mad_co_u64_u32 v[2:3], null, s6, v10, 0
	v_mul_lo_u32 v7, s6, v11
	s_load_b32 s2, s[0:1], 0x44
	s_mov_b32 s21, s3
	s_add_nc_u64 s[18:19], s[0:1], 64
	s_delay_alu instid0(VALU_DEP_1) | instskip(SKIP_3) | instid1(VALU_DEP_3)
	v_add3_u32 v3, v3, v7, v6
	v_add_co_u32 v6, s20, v8, s22
	s_wait_alu 0xf1ff
	v_add_co_ci_u32_e64 v7, null, 0, s23, s20
	v_lshlrev_b64_e32 v[4:5], 1, v[2:3]
	s_delay_alu instid0(VALU_DEP_3) | instskip(SKIP_1) | instid1(VALU_DEP_3)
	v_add_co_u32 v8, vcc_lo, v6, 2
	s_wait_alu 0xfffd
	v_add_co_ci_u32_e64 v9, null, 0, v7, vcc_lo
	s_delay_alu instid0(VALU_DEP_3)
	v_add_co_u32 v54, vcc_lo, s8, v4
	s_wait_alu 0xfffd
	v_add_co_ci_u32_e64 v55, null, s9, v5, vcc_lo
	v_add_co_u32 v56, vcc_lo, s10, v4
	s_wait_alu 0xfffd
	v_add_co_ci_u32_e64 v57, null, s11, v5, vcc_lo
	;; [unrolled: 3-line block ×5, first 2 shown]
	v_add_co_u32 v42, vcc_lo, v6, 10
	v_mad_co_u64_u32 v[22:23], null, s6, v4, s[8:9]
	v_mul_lo_u32 v5, s6, v5
	v_mul_lo_u32 v15, s7, v4
	v_mad_co_u64_u32 v[36:37], null, s6, v4, s[10:11]
	s_wait_alu 0xfffd
	v_add_co_ci_u32_e64 v30, null, 0, v7, vcc_lo
	v_add_co_u32 v44, vcc_lo, v6, 12
	s_wait_alu 0xfffd
	v_add_co_ci_u32_e64 v32, null, 0, v7, vcc_lo
	v_add_co_u32 v6, vcc_lo, v6, 14
	v_mad_co_u64_u32 v[20:21], null, s6, v8, s[8:9]
	v_mul_lo_u32 v9, s6, v9
	v_mul_lo_u32 v12, s7, v8
	v_mad_co_u64_u32 v[34:35], null, s6, v8, s[10:11]
	s_wait_alu 0xfffd
	v_add_co_ci_u32_e64 v7, null, 0, v7, vcc_lo
	v_add_co_u32 v4, vcc_lo, v10, 7
	v_add3_u32 v23, v15, v23, v5
	v_add3_u32 v37, v15, v37, v5
	s_wait_alu 0xfffd
	v_add_co_ci_u32_e64 v5, null, 0, v11, vcc_lo
	v_mul_lo_u32 v62, s6, v7
	v_add_co_u32 v7, vcc_lo, v10, 6
	v_add3_u32 v21, v12, v21, v9
	v_add3_u32 v35, v12, v35, v9
	s_wait_alu 0xfffd
	v_add_co_ci_u32_e64 v12, null, 0, v11, vcc_lo
	v_mul_lo_u32 v8, s7, v4
	v_mul_lo_u32 v9, s6, v5
	v_mad_co_u64_u32 v[4:5], null, s6, v4, 0
	v_mad_co_u64_u32 v[24:25], null, s6, v13, s[8:9]
	v_mul_lo_u32 v17, s7, v13
	v_mul_lo_u32 v60, s6, v32
	v_mad_co_u64_u32 v[32:33], null, s6, v6, s[8:9]
	v_mul_lo_u32 v63, s7, v6
	v_mad_co_u64_u32 v[38:39], null, s6, v13, s[10:11]
	v_mad_co_u64_u32 v[46:47], null, s6, v6, s[10:11]
	v_mul_lo_u32 v13, s7, v7
	v_mul_lo_u32 v12, s6, v12
	v_mad_co_u64_u32 v[6:7], null, s6, v7, 0
	v_add3_u32 v5, v5, v9, v8
	v_add_co_u32 v8, vcc_lo, v10, 5
	v_mul_lo_u32 v48, s6, v28
	v_mad_co_u64_u32 v[28:29], null, s6, v42, s[8:9]
	v_mul_lo_u32 v58, s6, v30
	v_mul_lo_u32 v59, s7, v42
	v_mad_co_u64_u32 v[42:43], null, s6, v42, s[10:11]
	s_wait_alu 0xfffd
	v_add_co_ci_u32_e64 v9, null, 0, v11, vcc_lo
	v_add3_u32 v7, v7, v12, v13
	v_mad_co_u64_u32 v[30:31], null, s6, v44, s[8:9]
	v_mul_lo_u32 v61, s7, v44
	v_mad_co_u64_u32 v[44:45], null, s6, v44, s[10:11]
	v_lshlrev_b64_e32 v[4:5], 1, v[4:5]
	v_mul_lo_u32 v12, s7, v8
	v_mul_lo_u32 v13, s6, v9
	v_mad_co_u64_u32 v[8:9], null, s6, v8, 0
	v_lshlrev_b64_e32 v[6:7], 1, v[6:7]
	v_add3_u32 v29, v59, v29, v58
	v_add3_u32 v43, v59, v43, v58
	v_add_co_u32 v58, vcc_lo, s8, v4
	v_add3_u32 v31, v61, v31, v60
	v_add3_u32 v45, v61, v45, v60
	s_wait_alu 0xfffd
	v_add_co_ci_u32_e64 v59, null, s9, v5, vcc_lo
	v_add_co_u32 v60, vcc_lo, s10, v4
	v_add3_u32 v33, v63, v33, v62
	v_add3_u32 v47, v63, v47, v62
	s_wait_alu 0xfffd
	v_add_co_ci_u32_e64 v61, null, s11, v5, vcc_lo
	v_add_co_u32 v62, vcc_lo, s8, v6
	v_mul_lo_u32 v14, s6, v14
	v_add3_u32 v9, v9, v13, v12
	s_wait_alu 0xfffd
	v_add_co_ci_u32_e64 v63, null, s9, v7, vcc_lo
	v_add_co_u32 v12, vcc_lo, v10, 4
	s_wait_kmcnt 0x0
	s_lshl_b32 s20, s2, 3
	v_add_co_u32 v64, s2, s10, v6
	s_wait_alu 0xfffd
	v_add_co_ci_u32_e64 v6, null, 0, v11, vcc_lo
	v_lshlrev_b64_e32 v[4:5], 1, v[8:9]
	v_add_co_u32 v8, vcc_lo, v10, 3
	s_wait_alu 0xfffd
	v_add_co_ci_u32_e64 v9, null, 0, v11, vcc_lo
	v_add3_u32 v25, v17, v25, v14
	v_add3_u32 v39, v17, v39, v14
	s_wait_alu 0xf1ff
	v_add_co_ci_u32_e64 v65, null, s11, v7, s2
	v_mul_lo_u32 v13, s7, v12
	v_mul_lo_u32 v14, s6, v6
	v_mad_co_u64_u32 v[6:7], null, s6, v12, 0
	v_mul_lo_u32 v12, s7, v8
	v_mul_lo_u32 v15, s6, v9
	v_mad_co_u64_u32 v[8:9], null, s6, v8, 0
	v_add_co_u32 v66, vcc_lo, s8, v4
	s_wait_alu 0xfffd
	v_add_co_ci_u32_e64 v67, null, s9, v5, vcc_lo
	v_add3_u32 v7, v7, v14, v13
	v_add_co_u32 v68, vcc_lo, s10, v4
	s_wait_alu 0xfffd
	v_add_co_ci_u32_e64 v69, null, s11, v5, vcc_lo
	v_add_co_u32 v10, vcc_lo, v10, 2
	v_add3_u32 v9, v9, v15, v12
	s_wait_alu 0xfffd
	v_add_co_ci_u32_e64 v11, null, 0, v11, vcc_lo
	v_lshlrev_b64_e32 v[4:5], 1, v[6:7]
	v_mul_lo_u32 v12, s7, v10
	v_lshlrev_b64_e32 v[6:7], 1, v[8:9]
	s_delay_alu instid0(VALU_DEP_4)
	v_mul_lo_u32 v11, s6, v11
	v_mad_co_u64_u32 v[8:9], null, s6, v10, 0
	v_add_co_u32 v70, vcc_lo, s8, v4
	s_wait_alu 0xfffd
	v_add_co_ci_u32_e64 v71, null, s9, v5, vcc_lo
	v_add_co_u32 v72, vcc_lo, s10, v4
	s_wait_alu 0xfffd
	v_add_co_ci_u32_e64 v73, null, s11, v5, vcc_lo
	;; [unrolled: 3-line block ×3, first 2 shown]
	v_add3_u32 v9, v9, v11, v12
	v_add_co_u32 v76, vcc_lo, s10, v6
	s_wait_alu 0xfffd
	v_add_co_ci_u32_e64 v77, null, s11, v7, vcc_lo
	v_add_co_u32 v2, vcc_lo, v2, s6
	s_wait_alu 0xfffd
	v_add_co_ci_u32_e64 v3, null, s7, v3, vcc_lo
	v_lshlrev_b64_e32 v[4:5], 1, v[8:9]
	v_mad_co_u64_u32 v[26:27], null, s6, v16, s[8:9]
	s_delay_alu instid0(VALU_DEP_3)
	v_lshlrev_b64_e32 v[2:3], 1, v[2:3]
	v_mul_lo_u32 v49, s7, v16
	v_mad_co_u64_u32 v[40:41], null, s6, v16, s[10:11]
	v_add_co_u32 v78, vcc_lo, s8, v4
	s_wait_alu 0xfffd
	v_add_co_ci_u32_e64 v79, null, s9, v5, vcc_lo
	v_add_co_u32 v80, vcc_lo, s10, v4
	s_wait_alu 0xfffd
	v_add_co_ci_u32_e64 v81, null, s11, v5, vcc_lo
	;; [unrolled: 3-line block ×3, first 2 shown]
	v_add_co_u32 v84, vcc_lo, s10, v2
	v_add3_u32 v27, v49, v27, v48
	v_add3_u32 v41, v49, v41, v48
	s_wait_alu 0xfffd
	v_add_co_ci_u32_e64 v85, null, s11, v3, vcc_lo
	s_wait_alu 0xfffe
	s_mul_u64 s[22:23], s[6:7], s[20:21]
	s_mov_b64 s[10:11], 7
	s_wait_alu 0xfffe
	s_lshl_b64 s[8:9], s[22:23], 1
	s_mov_b64 s[22:23], s[14:15]
.LBB178_53:                             ; =>This Inner Loop Header: Depth=1
	s_add_nc_u64 s[24:25], s[14:15], s[10:11]
	v_add_co_u32 v48, vcc_lo, s14, v51
	s_wait_alu 0xfffe
	v_cmp_ge_i64_e64 s2, s[24:25], s[4:5]
	s_wait_alu 0xfffd
	v_add_co_ci_u32_e64 v49, null, 0, v53, vcc_lo
                                        ; implicit-def: $vgpr87
	s_and_b32 vcc_lo, exec_lo, s2
	s_mov_b32 s2, -1
	s_wait_alu 0xfffe
	s_cbranch_vccz .LBB178_75
; %bb.54:                               ;   in Loop: Header=BB178_53 Depth=1
	s_load_b32 s2, s[18:19], 0xc
	v_mov_b32_e32 v88, 0
	s_wait_kmcnt 0x0
	s_and_b32 s2, s2, 0xffff
	s_wait_alu 0xfffe
	v_mad_u32_u24 v2, v50, s2, v52
	s_mov_b32 s2, exec_lo
	s_delay_alu instid0(VALU_DEP_1) | instskip(NEXT) | instid1(VALU_DEP_1)
	v_and_b32_e32 v2, 31, v2
	v_cmpx_gt_u32_e32 8, v2
	s_cbranch_execz .LBB178_58
; %bb.55:                               ;   in Loop: Header=BB178_53 Depth=1
	v_add_co_u32 v2, vcc_lo, v48, v2
	s_wait_alu 0xfffd
	v_add_co_ci_u32_e64 v3, null, 0, v49, vcc_lo
	v_mov_b32_e32 v88, 0
	s_mov_b32 s24, exec_lo
	s_delay_alu instid0(VALU_DEP_2)
	v_cmpx_gt_i64_e64 s[4:5], v[2:3]
	s_cbranch_execz .LBB178_57
; %bb.56:                               ;   in Loop: Header=BB178_53 Depth=1
	v_lshlrev_b64_e32 v[2:3], 2, v[2:3]
	s_delay_alu instid0(VALU_DEP_1) | instskip(SKIP_1) | instid1(VALU_DEP_2)
	v_add_co_u32 v2, vcc_lo, s12, v2
	s_wait_alu 0xfffd
	v_add_co_ci_u32_e64 v3, null, s13, v3, vcc_lo
	global_load_b32 v88, v[2:3], off
.LBB178_57:                             ;   in Loop: Header=BB178_53 Depth=1
	s_wait_alu 0xfffe
	s_or_b32 exec_lo, exec_lo, s24
.LBB178_58:                             ;   in Loop: Header=BB178_53 Depth=1
	s_wait_alu 0xfffe
	s_or_b32 exec_lo, exec_lo, s2
	v_mov_b32_e32 v8, v1
	v_dual_mov_b32 v2, v1 :: v_dual_mov_b32 v3, v1
	v_dual_mov_b32 v4, v1 :: v_dual_mov_b32 v5, v1
	;; [unrolled: 1-line block ×3, first 2 shown]
	s_delay_alu instid0(VALU_DEP_4) | instskip(NEXT) | instid1(VALU_DEP_3)
	v_mov_b32_e32 v17, v8
	v_dual_mov_b32 v13, v4 :: v_dual_mov_b32 v12, v3
	s_delay_alu instid0(VALU_DEP_3) | instskip(NEXT) | instid1(VALU_DEP_4)
	v_dual_mov_b32 v15, v6 :: v_dual_mov_b32 v14, v5
	v_dual_mov_b32 v16, v7 :: v_dual_mov_b32 v11, v2
	;; [unrolled: 1-line block ×3, first 2 shown]
	v_mov_b32_e32 v8, v7
	v_mov_b32_e32 v7, v6
	;; [unrolled: 1-line block ×7, first 2 shown]
	s_mov_b32 s2, exec_lo
	v_cmpx_gt_i64_e64 s[4:5], v[48:49]
	s_cbranch_execz .LBB178_60
; %bb.59:                               ;   in Loop: Header=BB178_53 Depth=1
	v_add_co_u32 v2, vcc_lo, v54, v18
	s_wait_alu 0xfffd
	v_add_co_ci_u32_e64 v3, null, v55, v19, vcc_lo
	v_add_co_u32 v4, vcc_lo, v56, v18
	s_wait_alu 0xfffd
	v_add_co_ci_u32_e64 v5, null, v57, v19, vcc_lo
	global_load_u16 v2, v[2:3], off
	global_load_u16 v10, v[4:5], off
	v_dual_mov_b32 v3, v1 :: v_dual_mov_b32 v4, v1
	v_dual_mov_b32 v5, v1 :: v_dual_mov_b32 v6, v1
	;; [unrolled: 1-line block ×6, first 2 shown]
	v_mov_b32_e32 v15, v1
	v_mov_b32_e32 v17, v1
	s_wait_loadcnt 0x1
	v_cvt_f32_f16_e32 v2, v2
	s_wait_loadcnt 0x0
	v_cvt_f32_f16_e32 v10, v10
.LBB178_60:                             ;   in Loop: Header=BB178_53 Depth=1
	s_wait_alu 0xfffe
	s_or_b32 exec_lo, exec_lo, s2
	v_add_co_u32 v89, vcc_lo, v48, 1
	s_wait_alu 0xfffd
	v_add_co_ci_u32_e64 v90, null, 0, v49, vcc_lo
	s_mov_b32 s2, exec_lo
	v_cmpx_gt_i64_e64 s[4:5], v[89:90]
	s_cbranch_execz .LBB178_62
; %bb.61:                               ;   in Loop: Header=BB178_53 Depth=1
	v_add_co_u32 v89, vcc_lo, v82, v18
	s_wait_alu 0xfffd
	v_add_co_ci_u32_e64 v90, null, v83, v19, vcc_lo
	v_add_co_u32 v91, vcc_lo, v84, v18
	s_wait_alu 0xfffd
	v_add_co_ci_u32_e64 v92, null, v85, v19, vcc_lo
	global_load_u16 v3, v[89:90], off
	global_load_u16 v11, v[91:92], off
	s_wait_loadcnt 0x1
	v_cvt_f32_f16_e32 v3, v3
	s_wait_loadcnt 0x0
	v_cvt_f32_f16_e32 v11, v11
.LBB178_62:                             ;   in Loop: Header=BB178_53 Depth=1
	s_wait_alu 0xfffe
	s_or_b32 exec_lo, exec_lo, s2
	v_add_co_u32 v89, vcc_lo, v48, 2
	s_wait_alu 0xfffd
	v_add_co_ci_u32_e64 v90, null, 0, v49, vcc_lo
	s_mov_b32 s2, exec_lo
	v_cmpx_gt_i64_e64 s[4:5], v[89:90]
	s_cbranch_execz .LBB178_64
; %bb.63:                               ;   in Loop: Header=BB178_53 Depth=1
	v_add_co_u32 v89, vcc_lo, v78, v18
	s_wait_alu 0xfffd
	v_add_co_ci_u32_e64 v90, null, v79, v19, vcc_lo
	v_add_co_u32 v91, vcc_lo, v80, v18
	s_wait_alu 0xfffd
	v_add_co_ci_u32_e64 v92, null, v81, v19, vcc_lo
	global_load_u16 v4, v[89:90], off
	global_load_u16 v12, v[91:92], off
	s_wait_loadcnt 0x1
	v_cvt_f32_f16_e32 v4, v4
	s_wait_loadcnt 0x0
	v_cvt_f32_f16_e32 v12, v12
.LBB178_64:                             ;   in Loop: Header=BB178_53 Depth=1
	;; [unrolled: 22-line block ×7, first 2 shown]
	s_wait_alu 0xfffe
	s_or_b32 exec_lo, exec_lo, s2
	s_wait_loadcnt 0x0
	ds_bpermute_b32 v87, v1, v88
	ds_bpermute_b32 v89, v1, v88 offset:4
	ds_bpermute_b32 v90, v1, v88 offset:8
	v_dual_mul_f32 v2, v10, v2 :: v_dual_mul_f32 v3, v11, v3
	ds_bpermute_b32 v10, v1, v88 offset:12
	ds_bpermute_b32 v11, v1, v88 offset:16
	s_mov_b32 s2, 0
	s_wait_dscnt 0x4
	v_fma_f32 v87, v2, v87, v86
	v_mul_f32_e32 v2, v12, v4
	ds_bpermute_b32 v4, v1, v88 offset:20
	s_wait_dscnt 0x4
	v_fmac_f32_e32 v87, v3, v89
	v_mul_f32_e32 v3, v13, v5
	ds_bpermute_b32 v5, v1, v88 offset:24
	s_wait_dscnt 0x4
	v_fmac_f32_e32 v87, v2, v90
	v_mul_f32_e32 v2, v14, v6
	v_mul_f32_e32 v6, v15, v7
	s_wait_dscnt 0x3
	s_delay_alu instid0(VALU_DEP_3) | instskip(SKIP_4) | instid1(VALU_DEP_1)
	v_fmac_f32_e32 v87, v3, v10
	ds_bpermute_b32 v3, v1, v88 offset:28
	s_wait_dscnt 0x3
	v_dual_fmac_f32 v87, v2, v11 :: v_dual_mul_f32 v2, v16, v8
	s_wait_dscnt 0x2
	v_fmac_f32_e32 v87, v6, v4
	s_wait_dscnt 0x1
	s_delay_alu instid0(VALU_DEP_1) | instskip(SKIP_2) | instid1(VALU_DEP_1)
	v_fmac_f32_e32 v87, v2, v5
	v_mul_f32_e32 v2, v17, v9
	s_wait_dscnt 0x0
	v_fmac_f32_e32 v87, v2, v3
.LBB178_75:                             ;   in Loop: Header=BB178_53 Depth=1
	s_wait_alu 0xfffe
	s_and_b32 vcc_lo, exec_lo, s2
	s_wait_alu 0xfffe
	s_cbranch_vccz .LBB178_81
; %bb.76:                               ;   in Loop: Header=BB178_53 Depth=1
	s_load_b32 s2, s[18:19], 0x0
	v_mov_b32_e32 v4, 0
	s_wait_kmcnt 0x0
	s_cmp_lt_u32 ttmp9, s2
	s_cselect_b32 s2, 12, 18
	s_wait_alu 0xfffe
	s_add_nc_u64 s[24:25], s[18:19], s[2:3]
	s_load_u16 s2, s[24:25], 0x0
	s_wait_kmcnt 0x0
	v_mad_u32_u24 v2, v50, s2, v52
	s_mov_b32 s2, exec_lo
	s_delay_alu instid0(VALU_DEP_1) | instskip(NEXT) | instid1(VALU_DEP_1)
	v_and_b32_e32 v2, 31, v2
	v_cmpx_gt_u32_e32 8, v2
	s_cbranch_execz .LBB178_80
; %bb.77:                               ;   in Loop: Header=BB178_53 Depth=1
	v_add_co_u32 v2, vcc_lo, v48, v2
	s_wait_alu 0xfffd
	v_add_co_ci_u32_e64 v3, null, 0, v49, vcc_lo
	v_mov_b32_e32 v4, 0
	s_mov_b32 s24, exec_lo
	s_delay_alu instid0(VALU_DEP_2)
	v_cmpx_gt_i64_e64 s[4:5], v[2:3]
	s_cbranch_execz .LBB178_79
; %bb.78:                               ;   in Loop: Header=BB178_53 Depth=1
	v_lshlrev_b64_e32 v[2:3], 2, v[2:3]
	s_delay_alu instid0(VALU_DEP_1) | instskip(SKIP_1) | instid1(VALU_DEP_2)
	v_add_co_u32 v2, vcc_lo, s12, v2
	s_wait_alu 0xfffd
	v_add_co_ci_u32_e64 v3, null, s13, v3, vcc_lo
	global_load_b32 v4, v[2:3], off
.LBB178_79:                             ;   in Loop: Header=BB178_53 Depth=1
	s_wait_alu 0xfffe
	s_or_b32 exec_lo, exec_lo, s24
.LBB178_80:                             ;   in Loop: Header=BB178_53 Depth=1
	s_wait_alu 0xfffe
	s_or_b32 exec_lo, exec_lo, s2
	v_add_co_u32 v2, vcc_lo, v54, v18
	s_wait_alu 0xfffd
	v_add_co_ci_u32_e64 v3, null, v55, v19, vcc_lo
	v_add_co_u32 v5, vcc_lo, v56, v18
	s_wait_alu 0xfffd
	v_add_co_ci_u32_e64 v6, null, v57, v19, vcc_lo
	;; [unrolled: 3-line block ×5, first 2 shown]
	global_load_u16 v13, v[2:3], off
	global_load_u16 v14, v[5:6], off
	;; [unrolled: 1-line block ×5, first 2 shown]
	v_add_co_u32 v2, vcc_lo, v36, v18
	s_wait_alu 0xfffd
	v_add_co_ci_u32_e64 v3, null, v37, v19, vcc_lo
	v_add_co_u32 v5, vcc_lo, v24, v18
	s_wait_alu 0xfffd
	v_add_co_ci_u32_e64 v6, null, v25, v19, vcc_lo
	;; [unrolled: 3-line block ×5, first 2 shown]
	global_load_u16 v48, v[2:3], off
	global_load_u16 v49, v[5:6], off
	;; [unrolled: 1-line block ×5, first 2 shown]
	v_add_co_u32 v2, vcc_lo, v28, v18
	s_wait_alu 0xfffd
	v_add_co_ci_u32_e64 v3, null, v29, v19, vcc_lo
	v_add_co_u32 v5, vcc_lo, v42, v18
	s_wait_alu 0xfffd
	v_add_co_ci_u32_e64 v6, null, v43, v19, vcc_lo
	;; [unrolled: 3-line block ×4, first 2 shown]
	global_load_u16 v12, v[2:3], off
	global_load_u16 v89, v[5:6], off
	;; [unrolled: 1-line block ×4, first 2 shown]
	v_add_co_u32 v2, vcc_lo, v32, v18
	s_wait_alu 0xfffd
	v_add_co_ci_u32_e64 v3, null, v33, v19, vcc_lo
	v_add_co_u32 v5, vcc_lo, v46, v18
	s_wait_alu 0xfffd
	v_add_co_ci_u32_e64 v6, null, v47, v19, vcc_lo
	global_load_u16 v2, v[2:3], off
	global_load_u16 v3, v[5:6], off
	s_wait_loadcnt 0x10
	ds_bpermute_b32 v5, v1, v4
	ds_bpermute_b32 v6, v1, v4 offset:4
	ds_bpermute_b32 v9, v1, v4 offset:8
	s_wait_loadcnt 0xf
	v_cvt_f32_f16_e32 v10, v13
	s_wait_loadcnt 0xe
	v_cvt_f32_f16_e32 v13, v14
	ds_bpermute_b32 v14, v1, v4 offset:12
	s_wait_loadcnt 0xd
	v_cvt_f32_f16_e32 v15, v15
	s_wait_loadcnt 0xc
	v_cvt_f32_f16_e32 v16, v16
	;; [unrolled: 2-line block ×3, first 2 shown]
	v_mul_f32_e32 v10, v10, v13
	ds_bpermute_b32 v13, v1, v4 offset:16
	v_mul_f32_e32 v15, v15, v16
	s_wait_loadcnt 0xa
	v_cvt_f32_f16_e32 v48, v48
	s_wait_dscnt 0x4
	v_fmac_f32_e32 v86, v10, v5
	ds_bpermute_b32 v5, v1, v4 offset:20
	s_wait_loadcnt 0x9
	v_cvt_f32_f16_e32 v10, v49
	s_wait_loadcnt 0x8
	v_cvt_f32_f16_e32 v16, v87
	s_wait_dscnt 0x4
	v_dual_mul_f32 v17, v17, v48 :: v_dual_fmac_f32 v86, v15, v6
	ds_bpermute_b32 v6, v1, v4 offset:24
	s_wait_loadcnt 0x7
	v_cvt_f32_f16_e32 v15, v88
	s_wait_loadcnt 0x6
	v_cvt_f32_f16_e32 v11, v11
	v_mul_f32_e32 v10, v10, v16
	ds_bpermute_b32 v4, v1, v4 offset:28
	v_mul_f32_e32 v11, v15, v11
	s_wait_loadcnt 0x3
	v_cvt_f32_f16_e32 v7, v7
	s_wait_loadcnt 0x2
	v_cvt_f32_f16_e32 v8, v8
	s_wait_dscnt 0x5
	v_fmac_f32_e32 v86, v17, v9
	v_cvt_f32_f16_e32 v9, v12
	v_cvt_f32_f16_e32 v12, v89
	s_wait_dscnt 0x4
	s_delay_alu instid0(VALU_DEP_3) | instskip(NEXT) | instid1(VALU_DEP_2)
	v_dual_mul_f32 v7, v7, v8 :: v_dual_fmac_f32 v86, v10, v14
	v_mul_f32_e32 v9, v9, v12
	s_wait_loadcnt 0x1
	v_cvt_f32_f16_e32 v2, v2
	s_wait_dscnt 0x3
	v_fmac_f32_e32 v86, v11, v13
	s_wait_loadcnt 0x0
	v_cvt_f32_f16_e32 v3, v3
	s_wait_dscnt 0x2
	s_delay_alu instid0(VALU_DEP_2) | instskip(NEXT) | instid1(VALU_DEP_2)
	v_fmac_f32_e32 v86, v9, v5
	v_mul_f32_e32 v2, v2, v3
	s_wait_dscnt 0x1
	s_delay_alu instid0(VALU_DEP_2) | instskip(SKIP_1) | instid1(VALU_DEP_1)
	v_fmac_f32_e32 v86, v7, v6
	s_wait_dscnt 0x0
	v_fmac_f32_e32 v86, v2, v4
	s_delay_alu instid0(VALU_DEP_1)
	v_mov_b32_e32 v87, v86
.LBB178_81:                             ;   in Loop: Header=BB178_53 Depth=1
	v_add_co_u32 v54, vcc_lo, v54, s8
	s_wait_alu 0xfffd
	v_add_co_ci_u32_e64 v55, null, s9, v55, vcc_lo
	v_add_co_u32 v56, vcc_lo, v56, s8
	s_wait_alu 0xfffd
	v_add_co_ci_u32_e64 v57, null, s9, v57, vcc_lo
	;; [unrolled: 3-line block ×28, first 2 shown]
	v_add_co_u32 v80, vcc_lo, v80, s8
	s_add_nc_u64 s[22:23], s[22:23], s[20:21]
	s_wait_alu 0xfffd
	v_add_co_ci_u32_e64 v81, null, s9, v81, vcc_lo
	v_add_co_u32 v82, vcc_lo, v82, s8
	s_wait_alu 0xfffe
	v_cmp_ge_i64_e64 s2, s[22:23], s[4:5]
	s_wait_alu 0xfffd
	v_add_co_ci_u32_e64 v83, null, s9, v83, vcc_lo
	v_add_co_u32 v84, vcc_lo, v84, s8
	s_wait_alu 0xfffd
	v_add_co_ci_u32_e64 v85, null, s9, v85, vcc_lo
	s_and_b32 vcc_lo, exec_lo, s2
	s_add_nc_u64 s[10:11], s[10:11], s[20:21]
	s_wait_alu 0xfffe
	s_cbranch_vccnz .LBB178_83
; %bb.82:                               ;   in Loop: Header=BB178_53 Depth=1
	v_mov_b32_e32 v86, v87
	s_branch .LBB178_53
.LBB178_83:
	s_mov_b32 s2, ttmp9
	s_mov_b32 s3, 0
	s_wait_alu 0xfffe
	s_lshl_b64 s[2:3], s[2:3], 5
	s_wait_kmcnt 0x0
	s_cmp_lg_u64 s[16:17], 0
	s_wait_alu 0xfffe
	v_and_or_b32 v1, 0x3ff, v0, s2
	v_mov_b32_e32 v2, s3
	s_cselect_b32 s2, -1, 0
	s_delay_alu instid0(VALU_DEP_1)
	v_cmp_gt_i64_e32 vcc_lo, s[6:7], v[1:2]
	s_wait_alu 0xfffe
	s_and_b32 s2, vcc_lo, s2
	s_wait_alu 0xfffe
	s_and_saveexec_b32 s3, s2
	s_cbranch_execz .LBB178_85
; %bb.84:
	s_load_u16 s0, s[0:1], 0x4e
	v_bfe_u32 v3, v0, 10, 10
	v_mov_b32_e32 v4, 0
	s_wait_kmcnt 0x0
	s_delay_alu instid0(VALU_DEP_1) | instskip(NEXT) | instid1(VALU_DEP_1)
	v_mad_co_u64_u32 v[3:4], null, s0, ttmp7, v[3:4]
	v_mul_lo_u32 v0, v4, s6
	s_delay_alu instid0(VALU_DEP_2) | instskip(SKIP_1) | instid1(VALU_DEP_1)
	v_mul_lo_u32 v5, v3, s7
	v_mad_co_u64_u32 v[3:4], null, v3, s6, 0
	v_add3_u32 v4, v4, v5, v0
	v_lshlrev_b64_e32 v[0:1], 1, v[1:2]
	s_delay_alu instid0(VALU_DEP_2) | instskip(NEXT) | instid1(VALU_DEP_1)
	v_lshlrev_b64_e32 v[3:4], 1, v[3:4]
	v_add_co_u32 v2, vcc_lo, s16, v3
	s_wait_alu 0xfffd
	s_delay_alu instid0(VALU_DEP_2) | instskip(SKIP_1) | instid1(VALU_DEP_3)
	v_add_co_ci_u32_e64 v3, null, s17, v4, vcc_lo
	v_cvt_f16_f32_e32 v4, v87
	v_add_co_u32 v0, vcc_lo, v2, v0
	s_wait_alu 0xfffd
	s_delay_alu instid0(VALU_DEP_3)
	v_add_co_ci_u32_e64 v1, null, v3, v1, vcc_lo
	global_store_b16 v[0:1], v4, off
.LBB178_85:
	s_endpgm
	.section	.rodata,"a",@progbits
	.p2align	6, 0x0
	.amdhsa_kernel _ZN2at6native12_GLOBAL__N_135GammaBetaBackwardCUDAKernelTemplateIN3c104HalfEfLj32ELj1ELj8ELb1ELb0ELb1EEEvllPKT_S7_PKT0_SA_PS5_SB_
		.amdhsa_group_segment_fixed_size 0
		.amdhsa_private_segment_fixed_size 0
		.amdhsa_kernarg_size 320
		.amdhsa_user_sgpr_count 2
		.amdhsa_user_sgpr_dispatch_ptr 0
		.amdhsa_user_sgpr_queue_ptr 0
		.amdhsa_user_sgpr_kernarg_segment_ptr 1
		.amdhsa_user_sgpr_dispatch_id 0
		.amdhsa_user_sgpr_private_segment_size 0
		.amdhsa_wavefront_size32 1
		.amdhsa_uses_dynamic_stack 0
		.amdhsa_enable_private_segment 0
		.amdhsa_system_sgpr_workgroup_id_x 1
		.amdhsa_system_sgpr_workgroup_id_y 1
		.amdhsa_system_sgpr_workgroup_id_z 0
		.amdhsa_system_sgpr_workgroup_info 0
		.amdhsa_system_vgpr_workitem_id 1
		.amdhsa_next_free_vgpr 93
		.amdhsa_next_free_sgpr 32
		.amdhsa_reserve_vcc 1
		.amdhsa_float_round_mode_32 0
		.amdhsa_float_round_mode_16_64 0
		.amdhsa_float_denorm_mode_32 3
		.amdhsa_float_denorm_mode_16_64 3
		.amdhsa_fp16_overflow 0
		.amdhsa_workgroup_processor_mode 1
		.amdhsa_memory_ordered 1
		.amdhsa_forward_progress 1
		.amdhsa_inst_pref_size 71
		.amdhsa_round_robin_scheduling 0
		.amdhsa_exception_fp_ieee_invalid_op 0
		.amdhsa_exception_fp_denorm_src 0
		.amdhsa_exception_fp_ieee_div_zero 0
		.amdhsa_exception_fp_ieee_overflow 0
		.amdhsa_exception_fp_ieee_underflow 0
		.amdhsa_exception_fp_ieee_inexact 0
		.amdhsa_exception_int_div_zero 0
	.end_amdhsa_kernel
	.section	.text._ZN2at6native12_GLOBAL__N_135GammaBetaBackwardCUDAKernelTemplateIN3c104HalfEfLj32ELj1ELj8ELb1ELb0ELb1EEEvllPKT_S7_PKT0_SA_PS5_SB_,"axG",@progbits,_ZN2at6native12_GLOBAL__N_135GammaBetaBackwardCUDAKernelTemplateIN3c104HalfEfLj32ELj1ELj8ELb1ELb0ELb1EEEvllPKT_S7_PKT0_SA_PS5_SB_,comdat
.Lfunc_end178:
	.size	_ZN2at6native12_GLOBAL__N_135GammaBetaBackwardCUDAKernelTemplateIN3c104HalfEfLj32ELj1ELj8ELb1ELb0ELb1EEEvllPKT_S7_PKT0_SA_PS5_SB_, .Lfunc_end178-_ZN2at6native12_GLOBAL__N_135GammaBetaBackwardCUDAKernelTemplateIN3c104HalfEfLj32ELj1ELj8ELb1ELb0ELb1EEEvllPKT_S7_PKT0_SA_PS5_SB_
                                        ; -- End function
	.set _ZN2at6native12_GLOBAL__N_135GammaBetaBackwardCUDAKernelTemplateIN3c104HalfEfLj32ELj1ELj8ELb1ELb0ELb1EEEvllPKT_S7_PKT0_SA_PS5_SB_.num_vgpr, 93
	.set _ZN2at6native12_GLOBAL__N_135GammaBetaBackwardCUDAKernelTemplateIN3c104HalfEfLj32ELj1ELj8ELb1ELb0ELb1EEEvllPKT_S7_PKT0_SA_PS5_SB_.num_agpr, 0
	.set _ZN2at6native12_GLOBAL__N_135GammaBetaBackwardCUDAKernelTemplateIN3c104HalfEfLj32ELj1ELj8ELb1ELb0ELb1EEEvllPKT_S7_PKT0_SA_PS5_SB_.numbered_sgpr, 32
	.set _ZN2at6native12_GLOBAL__N_135GammaBetaBackwardCUDAKernelTemplateIN3c104HalfEfLj32ELj1ELj8ELb1ELb0ELb1EEEvllPKT_S7_PKT0_SA_PS5_SB_.num_named_barrier, 0
	.set _ZN2at6native12_GLOBAL__N_135GammaBetaBackwardCUDAKernelTemplateIN3c104HalfEfLj32ELj1ELj8ELb1ELb0ELb1EEEvllPKT_S7_PKT0_SA_PS5_SB_.private_seg_size, 0
	.set _ZN2at6native12_GLOBAL__N_135GammaBetaBackwardCUDAKernelTemplateIN3c104HalfEfLj32ELj1ELj8ELb1ELb0ELb1EEEvllPKT_S7_PKT0_SA_PS5_SB_.uses_vcc, 1
	.set _ZN2at6native12_GLOBAL__N_135GammaBetaBackwardCUDAKernelTemplateIN3c104HalfEfLj32ELj1ELj8ELb1ELb0ELb1EEEvllPKT_S7_PKT0_SA_PS5_SB_.uses_flat_scratch, 0
	.set _ZN2at6native12_GLOBAL__N_135GammaBetaBackwardCUDAKernelTemplateIN3c104HalfEfLj32ELj1ELj8ELb1ELb0ELb1EEEvllPKT_S7_PKT0_SA_PS5_SB_.has_dyn_sized_stack, 0
	.set _ZN2at6native12_GLOBAL__N_135GammaBetaBackwardCUDAKernelTemplateIN3c104HalfEfLj32ELj1ELj8ELb1ELb0ELb1EEEvllPKT_S7_PKT0_SA_PS5_SB_.has_recursion, 0
	.set _ZN2at6native12_GLOBAL__N_135GammaBetaBackwardCUDAKernelTemplateIN3c104HalfEfLj32ELj1ELj8ELb1ELb0ELb1EEEvllPKT_S7_PKT0_SA_PS5_SB_.has_indirect_call, 0
	.section	.AMDGPU.csdata,"",@progbits
; Kernel info:
; codeLenInByte = 9088
; TotalNumSgprs: 34
; NumVgprs: 93
; ScratchSize: 0
; MemoryBound: 0
; FloatMode: 240
; IeeeMode: 1
; LDSByteSize: 0 bytes/workgroup (compile time only)
; SGPRBlocks: 0
; VGPRBlocks: 11
; NumSGPRsForWavesPerEU: 34
; NumVGPRsForWavesPerEU: 93
; Occupancy: 16
; WaveLimiterHint : 0
; COMPUTE_PGM_RSRC2:SCRATCH_EN: 0
; COMPUTE_PGM_RSRC2:USER_SGPR: 2
; COMPUTE_PGM_RSRC2:TRAP_HANDLER: 0
; COMPUTE_PGM_RSRC2:TGID_X_EN: 1
; COMPUTE_PGM_RSRC2:TGID_Y_EN: 1
; COMPUTE_PGM_RSRC2:TGID_Z_EN: 0
; COMPUTE_PGM_RSRC2:TIDIG_COMP_CNT: 1
	.section	.text._ZN2at6native12_GLOBAL__N_135GammaBetaBackwardCUDAKernelTemplateIN3c104HalfEfLj32ELj8ELj64ELb0ELb1ELb1EEEvllPKT_S7_PKT0_SA_PS5_SB_,"axG",@progbits,_ZN2at6native12_GLOBAL__N_135GammaBetaBackwardCUDAKernelTemplateIN3c104HalfEfLj32ELj8ELj64ELb0ELb1ELb1EEEvllPKT_S7_PKT0_SA_PS5_SB_,comdat
	.globl	_ZN2at6native12_GLOBAL__N_135GammaBetaBackwardCUDAKernelTemplateIN3c104HalfEfLj32ELj8ELj64ELb0ELb1ELb1EEEvllPKT_S7_PKT0_SA_PS5_SB_ ; -- Begin function _ZN2at6native12_GLOBAL__N_135GammaBetaBackwardCUDAKernelTemplateIN3c104HalfEfLj32ELj8ELj64ELb0ELb1ELb1EEEvllPKT_S7_PKT0_SA_PS5_SB_
	.p2align	8
	.type	_ZN2at6native12_GLOBAL__N_135GammaBetaBackwardCUDAKernelTemplateIN3c104HalfEfLj32ELj8ELj64ELb0ELb1ELb1EEEvllPKT_S7_PKT0_SA_PS5_SB_,@function
_ZN2at6native12_GLOBAL__N_135GammaBetaBackwardCUDAKernelTemplateIN3c104HalfEfLj32ELj8ELj64ELb0ELb1ELb1EEEvllPKT_S7_PKT0_SA_PS5_SB_: ; @_ZN2at6native12_GLOBAL__N_135GammaBetaBackwardCUDAKernelTemplateIN3c104HalfEfLj32ELj8ELj64ELb0ELb1ELb1EEEvllPKT_S7_PKT0_SA_PS5_SB_
; %bb.0:
	s_load_b128 s[4:7], s[0:1], 0x0
	s_lshl_b32 s12, ttmp7, 6
	s_mov_b32 s13, 0
	v_bfe_u32 v7, v0, 10, 10
	s_wait_kmcnt 0x0
	v_cmp_gt_i64_e64 s2, s[4:5], s[12:13]
	s_and_b32 vcc_lo, exec_lo, s2
	s_cbranch_vccnz .LBB179_2
; %bb.1:
	v_bfe_u32 v1, v0, 10, 10
	s_mov_b32 s2, s13
	v_and_b32_e32 v6, 0x3ff, v0
	v_mov_b32_e32 v12, 0
	s_and_not1_b32 vcc_lo, exec_lo, s2
	s_cbranch_vccz .LBB179_3
	s_branch .LBB179_10
.LBB179_2:
                                        ; implicit-def: $vgpr1
	v_and_b32_e32 v6, 0x3ff, v0
	v_mov_b32_e32 v12, 0
.LBB179_3:
	s_load_b32 s2, s[0:1], 0x4c
	v_dual_mov_b32 v1, 0 :: v_dual_lshlrev_b32 v0, 3, v7
	s_clause 0x2
	s_load_b32 s3, s[0:1], 0x44
	s_load_b128 s[8:11], s[0:1], 0x10
	s_load_b64 s[16:17], s[0:1], 0x28
	s_mov_b32 s15, 0
	v_dual_mov_b32 v8, 8 :: v_dual_mov_b32 v9, 4
	v_add_co_u32 v2, s14, v0, s12
	s_delay_alu instid0(VALU_DEP_1) | instskip(SKIP_1) | instid1(VALU_DEP_3)
	v_add_co_ci_u32_e64 v3, null, 0, 0, s14
	v_lshl_add_u32 v0, ttmp9, 5, v6
	v_mul_lo_u32 v12, s7, v2
	v_mad_co_u64_u32 v[4:5], null, s6, v2, 0
	s_delay_alu instid0(VALU_DEP_4) | instskip(NEXT) | instid1(VALU_DEP_4)
	v_mul_lo_u32 v14, s6, v3
	v_lshlrev_b64_e32 v[15:16], 1, v[0:1]
	v_dual_mov_b32 v10, 12 :: v_dual_mov_b32 v11, 16
	v_mov_b32_e32 v0, 24
	s_wait_kmcnt 0x0
	s_and_b32 s2, s2, 0xffff
	s_lshl_b32 s14, s3, 6
	v_mad_u32_u24 v13, v7, s2, v6
	v_add3_u32 v5, v5, v14, v12
	v_mov_b32_e32 v14, 28
	v_mov_b32_e32 v12, 0
	s_wait_alu 0xfffe
	s_mul_u64 s[18:19], s[6:7], s[14:15]
	v_and_b32_e32 v19, 31, v13
	v_lshlrev_b64_e32 v[4:5], 1, v[4:5]
	v_mov_b32_e32 v13, 20
	s_lshl_b64 s[18:19], s[18:19], 1
	s_lshl_b64 s[6:7], s[6:7], 1
	v_add_co_u32 v2, vcc_lo, v2, v19
	s_delay_alu instid0(VALU_DEP_1) | instskip(SKIP_3) | instid1(VALU_DEP_3)
	v_add_co_ci_u32_e64 v3, null, 0, v3, vcc_lo
	v_add_co_u32 v15, vcc_lo, v4, v15
	s_wait_alu 0xfffd
	v_add_co_ci_u32_e64 v16, null, v5, v16, vcc_lo
	v_lshlrev_b64_e32 v[17:18], 2, v[2:3]
	v_cmp_gt_u32_e64 s2, 8, v19
	s_delay_alu instid0(VALU_DEP_2) | instskip(SKIP_1) | instid1(VALU_DEP_3)
	v_add_co_u32 v4, vcc_lo, s16, v17
	s_wait_alu 0xfffd
	v_add_co_ci_u32_e64 v5, null, s17, v18, vcc_lo
	s_lshl_b64 s[16:17], s[14:15], 2
	s_branch .LBB179_6
.LBB179_4:                              ;   in Loop: Header=BB179_6 Depth=1
	s_or_b32 exec_lo, exec_lo, s20
.LBB179_5:                              ;   in Loop: Header=BB179_6 Depth=1
	s_wait_alu 0xfffe
	s_or_b32 exec_lo, exec_lo, s3
	v_add_co_u32 v18, vcc_lo, s8, v15
	s_wait_alu 0xfffd
	v_add_co_ci_u32_e64 v19, null, s9, v16, vcc_lo
	v_add_co_u32 v20, vcc_lo, s10, v15
	s_wait_alu 0xfffd
	v_add_co_ci_u32_e64 v21, null, s11, v16, vcc_lo
	;; [unrolled: 3-line block ×4, first 2 shown]
	global_load_u16 v28, v[18:19], off
	global_load_u16 v29, v[20:21], off
	;; [unrolled: 1-line block ×4, first 2 shown]
	v_add_co_u32 v18, vcc_lo, v22, s6
	s_wait_alu 0xfffd
	v_add_co_ci_u32_e64 v19, null, s7, v23, vcc_lo
	v_add_co_u32 v20, vcc_lo, v24, s6
	s_wait_alu 0xfffd
	v_add_co_ci_u32_e64 v21, null, s7, v25, vcc_lo
	;; [unrolled: 3-line block ×5, first 2 shown]
	global_load_u16 v32, v[18:19], off
	global_load_u16 v33, v[20:21], off
	;; [unrolled: 1-line block ×5, first 2 shown]
	v_add_co_u32 v18, vcc_lo, v24, s6
	s_wait_alu 0xfffd
	v_add_co_ci_u32_e64 v19, null, s7, v25, vcc_lo
	v_add_co_u32 v20, vcc_lo, v26, s6
	s_wait_alu 0xfffd
	v_add_co_ci_u32_e64 v21, null, s7, v27, vcc_lo
	;; [unrolled: 3-line block ×5, first 2 shown]
	global_load_u16 v37, v[18:19], off
	global_load_u16 v38, v[20:21], off
	;; [unrolled: 1-line block ×5, first 2 shown]
	v_add_co_u32 v18, vcc_lo, v24, s6
	s_wait_alu 0xfffd
	v_add_co_ci_u32_e64 v19, null, s7, v25, vcc_lo
	v_add_co_u32 v20, vcc_lo, v26, s6
	s_wait_alu 0xfffd
	v_add_co_ci_u32_e64 v21, null, s7, v27, vcc_lo
	global_load_u16 v18, v[18:19], off
	global_load_u16 v19, v[20:21], off
	s_wait_loadcnt 0x10
	ds_bpermute_b32 v20, v1, v17
	ds_bpermute_b32 v21, v9, v17
	ds_bpermute_b32 v26, v8, v17
	v_add_co_u32 v4, vcc_lo, v4, s16
	s_add_nc_u64 s[12:13], s[12:13], s[14:15]
	s_wait_alu 0xfffd
	v_add_co_ci_u32_e64 v5, null, s17, v5, vcc_lo
	v_add_co_u32 v2, vcc_lo, v2, s14
	s_wait_alu 0xfffe
	v_cmp_lt_i64_e64 s3, s[12:13], s[4:5]
	s_wait_alu 0xfffd
	v_add_co_ci_u32_e64 v3, null, 0, v3, vcc_lo
	v_add_co_u32 v15, vcc_lo, v15, s18
	s_wait_alu 0xfffd
	v_add_co_ci_u32_e64 v16, null, s19, v16, vcc_lo
	s_and_b32 vcc_lo, exec_lo, s3
	s_wait_loadcnt 0xf
	v_cvt_f32_f16_e32 v24, v28
	s_wait_loadcnt 0xe
	v_cvt_f32_f16_e32 v25, v29
	;; [unrolled: 2-line block ×3, first 2 shown]
	ds_bpermute_b32 v28, v10, v17
	v_mul_f32_e32 v24, v24, v25
	s_wait_loadcnt 0xc
	v_cvt_f32_f16_e32 v25, v31
	s_wait_dscnt 0x3
	s_delay_alu instid0(VALU_DEP_2) | instskip(NEXT) | instid1(VALU_DEP_2)
	v_fmac_f32_e32 v12, v24, v20
	v_mul_f32_e32 v20, v27, v25
	ds_bpermute_b32 v25, v11, v17
	s_wait_dscnt 0x3
	v_fmac_f32_e32 v12, v20, v21
	s_wait_loadcnt 0xb
	v_cvt_f32_f16_e32 v29, v32
	s_wait_loadcnt 0xa
	v_cvt_f32_f16_e32 v24, v33
	;; [unrolled: 2-line block ×4, first 2 shown]
	v_mul_f32_e32 v20, v29, v24
	ds_bpermute_b32 v24, v13, v17
	s_wait_loadcnt 0x7
	v_cvt_f32_f16_e32 v29, v36
	s_wait_dscnt 0x3
	v_fmac_f32_e32 v12, v20, v26
	v_mul_f32_e32 v20, v27, v21
	ds_bpermute_b32 v26, v0, v17
	ds_bpermute_b32 v17, v14, v17
	s_wait_dscnt 0x4
	v_fmac_f32_e32 v12, v20, v28
	s_wait_loadcnt 0x6
	v_cvt_f32_f16_e32 v21, v37
	s_wait_loadcnt 0x5
	v_cvt_f32_f16_e32 v27, v38
	s_delay_alu instid0(VALU_DEP_2)
	v_mul_f32_e32 v20, v29, v21
	s_wait_loadcnt 0x4
	v_cvt_f32_f16_e32 v21, v22
	s_wait_loadcnt 0x3
	v_cvt_f32_f16_e32 v22, v23
	s_wait_loadcnt 0x2
	v_cvt_f32_f16_e32 v23, v39
	s_wait_dscnt 0x3
	v_fmac_f32_e32 v12, v20, v25
	v_mul_f32_e32 v20, v27, v21
	s_wait_loadcnt 0x1
	v_cvt_f32_f16_e32 v18, v18
	s_wait_loadcnt 0x0
	v_cvt_f32_f16_e32 v19, v19
	s_wait_dscnt 0x2
	v_fmac_f32_e32 v12, v20, v24
	v_mul_f32_e32 v20, v22, v23
	s_delay_alu instid0(VALU_DEP_3) | instskip(SKIP_1) | instid1(VALU_DEP_2)
	v_mul_f32_e32 v18, v18, v19
	s_wait_dscnt 0x1
	v_fmac_f32_e32 v12, v20, v26
	s_wait_dscnt 0x0
	s_delay_alu instid0(VALU_DEP_1)
	v_fmac_f32_e32 v12, v18, v17
	s_wait_alu 0xfffe
	s_cbranch_vccz .LBB179_9
.LBB179_6:                              ; =>This Inner Loop Header: Depth=1
	v_mov_b32_e32 v17, 0
	s_and_saveexec_b32 s3, s2
	s_cbranch_execz .LBB179_5
; %bb.7:                                ;   in Loop: Header=BB179_6 Depth=1
	v_mov_b32_e32 v17, 0
	s_mov_b32 s20, exec_lo
	v_cmpx_gt_i64_e64 s[4:5], v[2:3]
	s_cbranch_execz .LBB179_4
; %bb.8:                                ;   in Loop: Header=BB179_6 Depth=1
	global_load_b32 v17, v[4:5], off
	s_branch .LBB179_4
.LBB179_9:
	v_mov_b32_e32 v1, v7
.LBB179_10:
	s_load_b64 s[2:3], s[0:1], 0x30
	s_delay_alu instid0(VALU_DEP_1) | instskip(SKIP_3) | instid1(VALU_DEP_3)
	v_mad_u32_u24 v0, v1, 33, v6
	v_lshrrev_b32_e32 v2, 5, v6
	v_mov_b32_e32 v4, 0
	s_mov_b32 s0, exec_lo
	v_lshl_add_u32 v3, v0, 2, 0
	s_delay_alu instid0(VALU_DEP_3)
	v_add_nc_u32_e32 v0, v2, v1
	ds_store_b32 v3, v12
	ds_store_b32 v3, v4 offset:1056
	s_wait_dscnt 0x0
	s_barrier_signal -1
	s_barrier_wait -1
	global_inv scope:SCOPE_SE
	v_cmpx_gt_u32_e32 32, v0
	s_cbranch_execz .LBB179_30
; %bb.11:
	v_and_b32_e32 v1, 31, v6
	s_delay_alu instid0(VALU_DEP_1)
	v_cmp_gt_u32_e32 vcc_lo, 8, v1
	v_mul_u32_u24_e32 v2, 33, v1
                                        ; implicit-def: $vgpr1
	s_and_saveexec_b32 s0, vcc_lo
	s_cbranch_execz .LBB179_13
; %bb.12:
	v_lshlrev_b32_e32 v1, 2, v0
	s_delay_alu instid0(VALU_DEP_2) | instskip(NEXT) | instid1(VALU_DEP_1)
	v_lshlrev_b32_e32 v3, 2, v2
	v_add3_u32 v1, 0, v1, v3
	ds_load_b32 v1, v1
.LBB179_13:
	s_wait_alu 0xfffe
	s_or_b32 exec_lo, exec_lo, s0
	v_mbcnt_lo_u32_b32 v5, -1, 0
	s_mov_b32 s4, ttmp9
	s_wait_kmcnt 0x0
	s_cmp_lg_u64 s[2:3], 0
	s_mov_b32 s5, 0
	s_cselect_b32 s1, -1, 0
	v_xor_b32_e32 v3, 4, v5
	v_xor_b32_e32 v4, 2, v5
	;; [unrolled: 1-line block ×3, first 2 shown]
	s_wait_alu 0xfffe
	s_lshl_b64 s[4:5], s[4:5], 6
	s_wait_alu 0xfffe
	s_add_nc_u64 s[2:3], s[2:3], s[4:5]
	v_cmp_gt_i32_e64 s0, 32, v3
	s_wait_alu 0xf1ff
	s_delay_alu instid0(VALU_DEP_1) | instskip(SKIP_1) | instid1(VALU_DEP_2)
	v_cndmask_b32_e64 v3, v5, v3, s0
	v_cmp_gt_i32_e64 s0, 32, v4
	v_lshlrev_b32_e32 v3, 2, v3
	s_wait_alu 0xf1ff
	s_delay_alu instid0(VALU_DEP_2)
	v_cndmask_b32_e64 v4, v5, v4, s0
	v_cmp_gt_i32_e64 s0, 32, v8
	s_wait_dscnt 0x0
	ds_bpermute_b32 v7, v3, v1
	v_lshlrev_b32_e32 v4, 2, v4
	s_wait_alu 0xf1ff
	v_cndmask_b32_e64 v5, v5, v8, s0
	v_cmp_eq_u32_e64 s0, 0, v6
	s_and_b32 s1, s0, s1
	s_wait_dscnt 0x0
	v_add_f32_e32 v1, v1, v7
	ds_bpermute_b32 v7, v4, v1
	s_wait_dscnt 0x0
	v_add_f32_e32 v1, v1, v7
	v_lshlrev_b32_e32 v5, 2, v5
	ds_bpermute_b32 v7, v5, v1
	s_wait_dscnt 0x0
	v_add_f32_e32 v6, v1, v7
	s_wait_alu 0xfffe
	s_and_saveexec_b32 s4, s1
	s_cbranch_execz .LBB179_15
; %bb.14:
	v_mov_b32_e32 v1, 0
	s_delay_alu instid0(VALU_DEP_1) | instskip(SKIP_1) | instid1(VALU_DEP_2)
	v_lshlrev_b64_e32 v[7:8], 1, v[0:1]
	v_cvt_f16_f32_e32 v1, v6
	v_add_co_u32 v7, s0, s2, v7
	s_wait_alu 0xf1ff
	s_delay_alu instid0(VALU_DEP_3)
	v_add_co_ci_u32_e64 v8, null, s3, v8, s0
	global_store_b16 v[7:8], v1, off
.LBB179_15:
	s_wait_alu 0xfffe
	s_or_b32 exec_lo, exec_lo, s4
	v_cmp_gt_u32_e64 s0, 24, v0
	s_and_b32 exec_lo, exec_lo, s0
	s_cbranch_execz .LBB179_30
; %bb.16:
	s_and_saveexec_b32 s0, vcc_lo
	s_cbranch_execz .LBB179_18
; %bb.17:
	v_lshlrev_b32_e32 v1, 2, v0
	v_lshlrev_b32_e32 v6, 2, v2
	s_delay_alu instid0(VALU_DEP_1)
	v_add3_u32 v1, 0, v1, v6
	ds_load_b32 v6, v1 offset:32
.LBB179_18:
	s_wait_alu 0xfffe
	s_or_b32 exec_lo, exec_lo, s0
	s_wait_dscnt 0x0
	ds_bpermute_b32 v1, v3, v6
	s_wait_dscnt 0x0
	v_add_f32_e32 v1, v6, v1
	ds_bpermute_b32 v6, v4, v1
	s_wait_dscnt 0x0
	v_add_f32_e32 v1, v1, v6
	;; [unrolled: 3-line block ×3, first 2 shown]
	s_and_saveexec_b32 s4, s1
	s_cbranch_execz .LBB179_20
; %bb.19:
	v_mov_b32_e32 v1, 0
	s_delay_alu instid0(VALU_DEP_1) | instskip(SKIP_1) | instid1(VALU_DEP_2)
	v_lshlrev_b64_e32 v[7:8], 1, v[0:1]
	v_cvt_f16_f32_e32 v1, v6
	v_add_co_u32 v7, s0, s2, v7
	s_wait_alu 0xf1ff
	s_delay_alu instid0(VALU_DEP_3)
	v_add_co_ci_u32_e64 v8, null, s3, v8, s0
	global_store_b16 v[7:8], v1, off offset:16
.LBB179_20:
	s_wait_alu 0xfffe
	s_or_b32 exec_lo, exec_lo, s4
	v_cmp_gt_u32_e64 s0, 16, v0
	s_and_b32 exec_lo, exec_lo, s0
	s_cbranch_execz .LBB179_30
; %bb.21:
	s_and_saveexec_b32 s0, vcc_lo
	s_cbranch_execz .LBB179_23
; %bb.22:
	v_lshlrev_b32_e32 v1, 2, v0
	v_lshlrev_b32_e32 v6, 2, v2
	s_delay_alu instid0(VALU_DEP_1)
	v_add3_u32 v1, 0, v1, v6
	ds_load_b32 v6, v1 offset:64
.LBB179_23:
	s_wait_alu 0xfffe
	s_or_b32 exec_lo, exec_lo, s0
	s_wait_dscnt 0x0
	ds_bpermute_b32 v1, v3, v6
	s_wait_dscnt 0x0
	v_add_f32_e32 v1, v6, v1
	ds_bpermute_b32 v6, v4, v1
	s_wait_dscnt 0x0
	v_add_f32_e32 v1, v1, v6
	;; [unrolled: 3-line block ×3, first 2 shown]
	s_and_saveexec_b32 s4, s1
	s_cbranch_execz .LBB179_25
; %bb.24:
	v_mov_b32_e32 v1, 0
	s_delay_alu instid0(VALU_DEP_1) | instskip(SKIP_1) | instid1(VALU_DEP_2)
	v_lshlrev_b64_e32 v[7:8], 1, v[0:1]
	v_cvt_f16_f32_e32 v1, v6
	v_add_co_u32 v7, s0, s2, v7
	s_wait_alu 0xf1ff
	s_delay_alu instid0(VALU_DEP_3)
	v_add_co_ci_u32_e64 v8, null, s3, v8, s0
	global_store_b16 v[7:8], v1, off offset:32
.LBB179_25:
	s_wait_alu 0xfffe
	s_or_b32 exec_lo, exec_lo, s4
	v_cmp_gt_u32_e64 s0, 8, v0
	s_and_b32 exec_lo, exec_lo, s0
	s_cbranch_execz .LBB179_30
; %bb.26:
	s_and_saveexec_b32 s0, vcc_lo
	s_cbranch_execz .LBB179_28
; %bb.27:
	v_lshlrev_b32_e32 v1, 2, v0
	v_lshlrev_b32_e32 v2, 2, v2
	s_delay_alu instid0(VALU_DEP_1)
	v_add3_u32 v1, 0, v1, v2
	ds_load_b32 v6, v1 offset:96
.LBB179_28:
	s_wait_alu 0xfffe
	s_or_b32 exec_lo, exec_lo, s0
	s_wait_dscnt 0x0
	ds_bpermute_b32 v1, v3, v6
	s_wait_dscnt 0x0
	v_add_f32_e32 v1, v6, v1
	ds_bpermute_b32 v2, v4, v1
	s_wait_dscnt 0x0
	v_add_f32_e32 v2, v1, v2
	ds_bpermute_b32 v3, v5, v2
	s_and_saveexec_b32 s0, s1
	s_wait_alu 0xfffe
	s_xor_b32 s0, exec_lo, s0
	s_cbranch_execz .LBB179_30
; %bb.29:
	s_wait_dscnt 0x0
	v_dual_mov_b32 v1, 0 :: v_dual_add_f32 v2, v2, v3
	s_delay_alu instid0(VALU_DEP_1) | instskip(NEXT) | instid1(VALU_DEP_2)
	v_lshlrev_b64_e32 v[0:1], 1, v[0:1]
	v_cvt_f16_f32_e32 v2, v2
	s_delay_alu instid0(VALU_DEP_2) | instskip(SKIP_1) | instid1(VALU_DEP_3)
	v_add_co_u32 v0, vcc_lo, s2, v0
	s_wait_alu 0xfffd
	v_add_co_ci_u32_e64 v1, null, s3, v1, vcc_lo
	global_store_b16 v[0:1], v2, off offset:48
.LBB179_30:
	s_endpgm
	.section	.rodata,"a",@progbits
	.p2align	6, 0x0
	.amdhsa_kernel _ZN2at6native12_GLOBAL__N_135GammaBetaBackwardCUDAKernelTemplateIN3c104HalfEfLj32ELj8ELj64ELb0ELb1ELb1EEEvllPKT_S7_PKT0_SA_PS5_SB_
		.amdhsa_group_segment_fixed_size 0
		.amdhsa_private_segment_fixed_size 0
		.amdhsa_kernarg_size 320
		.amdhsa_user_sgpr_count 2
		.amdhsa_user_sgpr_dispatch_ptr 0
		.amdhsa_user_sgpr_queue_ptr 0
		.amdhsa_user_sgpr_kernarg_segment_ptr 1
		.amdhsa_user_sgpr_dispatch_id 0
		.amdhsa_user_sgpr_private_segment_size 0
		.amdhsa_wavefront_size32 1
		.amdhsa_uses_dynamic_stack 0
		.amdhsa_enable_private_segment 0
		.amdhsa_system_sgpr_workgroup_id_x 1
		.amdhsa_system_sgpr_workgroup_id_y 1
		.amdhsa_system_sgpr_workgroup_id_z 0
		.amdhsa_system_sgpr_workgroup_info 0
		.amdhsa_system_vgpr_workitem_id 1
		.amdhsa_next_free_vgpr 40
		.amdhsa_next_free_sgpr 21
		.amdhsa_reserve_vcc 1
		.amdhsa_float_round_mode_32 0
		.amdhsa_float_round_mode_16_64 0
		.amdhsa_float_denorm_mode_32 3
		.amdhsa_float_denorm_mode_16_64 3
		.amdhsa_fp16_overflow 0
		.amdhsa_workgroup_processor_mode 1
		.amdhsa_memory_ordered 1
		.amdhsa_forward_progress 1
		.amdhsa_inst_pref_size 19
		.amdhsa_round_robin_scheduling 0
		.amdhsa_exception_fp_ieee_invalid_op 0
		.amdhsa_exception_fp_denorm_src 0
		.amdhsa_exception_fp_ieee_div_zero 0
		.amdhsa_exception_fp_ieee_overflow 0
		.amdhsa_exception_fp_ieee_underflow 0
		.amdhsa_exception_fp_ieee_inexact 0
		.amdhsa_exception_int_div_zero 0
	.end_amdhsa_kernel
	.section	.text._ZN2at6native12_GLOBAL__N_135GammaBetaBackwardCUDAKernelTemplateIN3c104HalfEfLj32ELj8ELj64ELb0ELb1ELb1EEEvllPKT_S7_PKT0_SA_PS5_SB_,"axG",@progbits,_ZN2at6native12_GLOBAL__N_135GammaBetaBackwardCUDAKernelTemplateIN3c104HalfEfLj32ELj8ELj64ELb0ELb1ELb1EEEvllPKT_S7_PKT0_SA_PS5_SB_,comdat
.Lfunc_end179:
	.size	_ZN2at6native12_GLOBAL__N_135GammaBetaBackwardCUDAKernelTemplateIN3c104HalfEfLj32ELj8ELj64ELb0ELb1ELb1EEEvllPKT_S7_PKT0_SA_PS5_SB_, .Lfunc_end179-_ZN2at6native12_GLOBAL__N_135GammaBetaBackwardCUDAKernelTemplateIN3c104HalfEfLj32ELj8ELj64ELb0ELb1ELb1EEEvllPKT_S7_PKT0_SA_PS5_SB_
                                        ; -- End function
	.set _ZN2at6native12_GLOBAL__N_135GammaBetaBackwardCUDAKernelTemplateIN3c104HalfEfLj32ELj8ELj64ELb0ELb1ELb1EEEvllPKT_S7_PKT0_SA_PS5_SB_.num_vgpr, 40
	.set _ZN2at6native12_GLOBAL__N_135GammaBetaBackwardCUDAKernelTemplateIN3c104HalfEfLj32ELj8ELj64ELb0ELb1ELb1EEEvllPKT_S7_PKT0_SA_PS5_SB_.num_agpr, 0
	.set _ZN2at6native12_GLOBAL__N_135GammaBetaBackwardCUDAKernelTemplateIN3c104HalfEfLj32ELj8ELj64ELb0ELb1ELb1EEEvllPKT_S7_PKT0_SA_PS5_SB_.numbered_sgpr, 21
	.set _ZN2at6native12_GLOBAL__N_135GammaBetaBackwardCUDAKernelTemplateIN3c104HalfEfLj32ELj8ELj64ELb0ELb1ELb1EEEvllPKT_S7_PKT0_SA_PS5_SB_.num_named_barrier, 0
	.set _ZN2at6native12_GLOBAL__N_135GammaBetaBackwardCUDAKernelTemplateIN3c104HalfEfLj32ELj8ELj64ELb0ELb1ELb1EEEvllPKT_S7_PKT0_SA_PS5_SB_.private_seg_size, 0
	.set _ZN2at6native12_GLOBAL__N_135GammaBetaBackwardCUDAKernelTemplateIN3c104HalfEfLj32ELj8ELj64ELb0ELb1ELb1EEEvllPKT_S7_PKT0_SA_PS5_SB_.uses_vcc, 1
	.set _ZN2at6native12_GLOBAL__N_135GammaBetaBackwardCUDAKernelTemplateIN3c104HalfEfLj32ELj8ELj64ELb0ELb1ELb1EEEvllPKT_S7_PKT0_SA_PS5_SB_.uses_flat_scratch, 0
	.set _ZN2at6native12_GLOBAL__N_135GammaBetaBackwardCUDAKernelTemplateIN3c104HalfEfLj32ELj8ELj64ELb0ELb1ELb1EEEvllPKT_S7_PKT0_SA_PS5_SB_.has_dyn_sized_stack, 0
	.set _ZN2at6native12_GLOBAL__N_135GammaBetaBackwardCUDAKernelTemplateIN3c104HalfEfLj32ELj8ELj64ELb0ELb1ELb1EEEvllPKT_S7_PKT0_SA_PS5_SB_.has_recursion, 0
	.set _ZN2at6native12_GLOBAL__N_135GammaBetaBackwardCUDAKernelTemplateIN3c104HalfEfLj32ELj8ELj64ELb0ELb1ELb1EEEvllPKT_S7_PKT0_SA_PS5_SB_.has_indirect_call, 0
	.section	.AMDGPU.csdata,"",@progbits
; Kernel info:
; codeLenInByte = 2316
; TotalNumSgprs: 23
; NumVgprs: 40
; ScratchSize: 0
; MemoryBound: 0
; FloatMode: 240
; IeeeMode: 1
; LDSByteSize: 0 bytes/workgroup (compile time only)
; SGPRBlocks: 0
; VGPRBlocks: 4
; NumSGPRsForWavesPerEU: 23
; NumVGPRsForWavesPerEU: 40
; Occupancy: 16
; WaveLimiterHint : 0
; COMPUTE_PGM_RSRC2:SCRATCH_EN: 0
; COMPUTE_PGM_RSRC2:USER_SGPR: 2
; COMPUTE_PGM_RSRC2:TRAP_HANDLER: 0
; COMPUTE_PGM_RSRC2:TGID_X_EN: 1
; COMPUTE_PGM_RSRC2:TGID_Y_EN: 1
; COMPUTE_PGM_RSRC2:TGID_Z_EN: 0
; COMPUTE_PGM_RSRC2:TIDIG_COMP_CNT: 1
	.section	.text._ZN2at6native12_GLOBAL__N_135GammaBetaBackwardCUDAKernelTemplateIN3c104HalfEfLj32ELj8ELj64ELb0ELb0ELb1EEEvllPKT_S7_PKT0_SA_PS5_SB_,"axG",@progbits,_ZN2at6native12_GLOBAL__N_135GammaBetaBackwardCUDAKernelTemplateIN3c104HalfEfLj32ELj8ELj64ELb0ELb0ELb1EEEvllPKT_S7_PKT0_SA_PS5_SB_,comdat
	.globl	_ZN2at6native12_GLOBAL__N_135GammaBetaBackwardCUDAKernelTemplateIN3c104HalfEfLj32ELj8ELj64ELb0ELb0ELb1EEEvllPKT_S7_PKT0_SA_PS5_SB_ ; -- Begin function _ZN2at6native12_GLOBAL__N_135GammaBetaBackwardCUDAKernelTemplateIN3c104HalfEfLj32ELj8ELj64ELb0ELb0ELb1EEEvllPKT_S7_PKT0_SA_PS5_SB_
	.p2align	8
	.type	_ZN2at6native12_GLOBAL__N_135GammaBetaBackwardCUDAKernelTemplateIN3c104HalfEfLj32ELj8ELj64ELb0ELb0ELb1EEEvllPKT_S7_PKT0_SA_PS5_SB_,@function
_ZN2at6native12_GLOBAL__N_135GammaBetaBackwardCUDAKernelTemplateIN3c104HalfEfLj32ELj8ELj64ELb0ELb0ELb1EEEvllPKT_S7_PKT0_SA_PS5_SB_: ; @_ZN2at6native12_GLOBAL__N_135GammaBetaBackwardCUDAKernelTemplateIN3c104HalfEfLj32ELj8ELj64ELb0ELb0ELb1EEEvllPKT_S7_PKT0_SA_PS5_SB_
; %bb.0:
	s_clause 0x1
	s_load_b256 s[4:11], s[0:1], 0x0
	s_load_b64 s[12:13], s[0:1], 0x28
	s_lshl_b32 s28, ttmp9, 5
	s_mov_b32 s15, 0
	s_or_b32 s14, s28, 31
	s_wait_kmcnt 0x0
	v_cmp_le_i64_e64 s2, s[6:7], s[14:15]
	s_lshl_b32 s14, ttmp7, 6
	s_wait_alu 0xfffe
	v_cmp_gt_i64_e64 s29, s[4:5], s[14:15]
	s_and_b32 vcc_lo, exec_lo, s2
	v_cndmask_b32_e64 v1, 0, 1, s29
	s_delay_alu instid0(VALU_DEP_1)
	v_cmp_ne_u32_e64 s2, 1, v1
	s_cbranch_vccz .LBB180_49
; %bb.1:
	v_mov_b32_e32 v86, 0
	s_and_b32 vcc_lo, exec_lo, s2
	s_cbranch_vccnz .LBB180_50
; %bb.2:
	v_bfe_u32 v20, v0, 10, 10
	v_dual_mov_b32 v1, 0 :: v_dual_and_b32 v22, 0x3ff, v0
	s_load_b32 s3, s[0:1], 0x44
	s_mov_b32 s17, 0
	s_delay_alu instid0(VALU_DEP_2) | instskip(NEXT) | instid1(VALU_DEP_2)
	v_lshlrev_b32_e32 v21, 3, v20
	v_dual_mov_b32 v3, v1 :: v_dual_add_nc_u32 v2, s28, v22
	s_mov_b32 s21, s17
	v_mov_b32_e32 v55, 0
	s_delay_alu instid0(VALU_DEP_3) | instskip(NEXT) | instid1(VALU_DEP_1)
	v_add_co_u32 v10, s2, v21, s14
	v_add_co_ci_u32_e64 v11, null, 0, 0, s2
	v_cmp_gt_i64_e64 s2, s[6:7], v[2:3]
	s_delay_alu instid0(VALU_DEP_3) | instskip(SKIP_1) | instid1(VALU_DEP_4)
	v_mul_lo_u32 v6, s7, v10
	v_mad_co_u64_u32 v[4:5], null, s6, v10, 0
	v_mul_lo_u32 v7, s6, v11
	v_add_co_u32 v8, vcc_lo, v10, 7
	s_delay_alu instid0(VALU_DEP_1) | instskip(SKIP_1) | instid1(VALU_DEP_3)
	v_add_co_ci_u32_e64 v9, null, 0, v11, vcc_lo
	v_lshlrev_b64_e32 v[18:19], 1, v[2:3]
	v_mul_lo_u32 v12, s7, v8
	s_wait_kmcnt 0x0
	s_lshl_b32 s20, s3, 6
	v_add3_u32 v5, v5, v7, v6
	v_mad_co_u64_u32 v[6:7], null, s6, v8, 0
	v_add_co_u32 v8, vcc_lo, v10, 6
	v_mul_lo_u32 v13, s6, v9
	s_wait_alu 0xfffd
	v_add_co_ci_u32_e64 v9, null, 0, v11, vcc_lo
	v_lshlrev_b64_e32 v[2:3], 1, v[4:5]
	v_mul_lo_u32 v14, s7, v8
	s_mul_u64 s[22:23], s[6:7], s[20:21]
	s_delay_alu instid0(VALU_DEP_3) | instskip(SKIP_1) | instid1(VALU_DEP_4)
	v_mul_lo_u32 v15, s6, v9
	v_mad_co_u64_u32 v[8:9], null, s6, v8, 0
	v_add_co_u32 v23, vcc_lo, s8, v2
	s_wait_alu 0xfffd
	v_add_co_ci_u32_e64 v24, null, s9, v3, vcc_lo
	v_add_co_u32 v25, vcc_lo, s10, v2
	v_add3_u32 v7, v7, v13, v12
	s_wait_alu 0xfffd
	v_add_co_ci_u32_e64 v26, null, s11, v3, vcc_lo
	v_add_co_u32 v12, vcc_lo, v10, 5
	v_add3_u32 v9, v9, v15, v14
	s_wait_alu 0xfffd
	v_add_co_ci_u32_e64 v13, null, 0, v11, vcc_lo
	v_lshlrev_b64_e32 v[2:3], 1, v[6:7]
	v_mul_lo_u32 v14, s7, v12
	v_lshlrev_b64_e32 v[6:7], 1, v[8:9]
	s_delay_alu instid0(VALU_DEP_4)
	v_mul_lo_u32 v13, s6, v13
	v_mad_co_u64_u32 v[8:9], null, s6, v12, 0
	v_add_co_u32 v27, vcc_lo, s8, v2
	s_wait_alu 0xfffd
	v_add_co_ci_u32_e64 v28, null, s9, v3, vcc_lo
	v_add_co_u32 v29, vcc_lo, s10, v2
	s_wait_alu 0xfffd
	v_add_co_ci_u32_e64 v30, null, s11, v3, vcc_lo
	v_add_co_u32 v31, vcc_lo, s8, v6
	v_add3_u32 v9, v9, v13, v14
	s_wait_alu 0xfffd
	v_add_co_ci_u32_e64 v32, null, s9, v7, vcc_lo
	v_add_co_u32 v12, vcc_lo, v10, 4
	v_add_co_u32 v33, s3, s10, v6
	s_wait_alu 0xfffd
	v_add_co_ci_u32_e64 v6, null, 0, v11, vcc_lo
	v_lshlrev_b64_e32 v[2:3], 1, v[8:9]
	v_add_co_u32 v8, vcc_lo, v10, 3
	s_wait_alu 0xfffd
	v_add_co_ci_u32_e64 v9, null, 0, v11, vcc_lo
	s_wait_alu 0xf1ff
	v_add_co_ci_u32_e64 v34, null, s11, v7, s3
	v_mul_lo_u32 v13, s7, v12
	v_mul_lo_u32 v14, s6, v6
	v_mad_co_u64_u32 v[6:7], null, s6, v12, 0
	v_mul_lo_u32 v12, s7, v8
	v_mul_lo_u32 v15, s6, v9
	v_mad_co_u64_u32 v[8:9], null, s6, v8, 0
	v_add_co_u32 v35, vcc_lo, s8, v2
	s_wait_alu 0xfffd
	v_add_co_ci_u32_e64 v36, null, s9, v3, vcc_lo
	v_add3_u32 v7, v7, v14, v13
	v_add_co_u32 v37, vcc_lo, s10, v2
	s_wait_alu 0xfffd
	v_add_co_ci_u32_e64 v38, null, s11, v3, vcc_lo
	v_add_co_u32 v10, vcc_lo, v10, 2
	v_add3_u32 v9, v9, v15, v12
	s_wait_alu 0xfffd
	v_add_co_ci_u32_e64 v11, null, 0, v11, vcc_lo
	v_lshlrev_b64_e32 v[2:3], 1, v[6:7]
	v_mul_lo_u32 v12, s7, v10
	v_lshlrev_b64_e32 v[6:7], 1, v[8:9]
	s_delay_alu instid0(VALU_DEP_4)
	v_mul_lo_u32 v11, s6, v11
	v_mad_co_u64_u32 v[8:9], null, s6, v10, 0
	v_add_co_u32 v39, vcc_lo, s8, v2
	s_wait_alu 0xfffd
	v_add_co_ci_u32_e64 v40, null, s9, v3, vcc_lo
	v_add_co_u32 v41, vcc_lo, s10, v2
	s_wait_alu 0xfffd
	v_add_co_ci_u32_e64 v42, null, s11, v3, vcc_lo
	;; [unrolled: 3-line block ×3, first 2 shown]
	v_add3_u32 v9, v9, v11, v12
	v_add_co_u32 v45, vcc_lo, s10, v6
	s_wait_alu 0xfffd
	v_add_co_ci_u32_e64 v46, null, s11, v7, vcc_lo
	v_add_co_u32 v4, vcc_lo, v4, s6
	s_wait_alu 0xfffd
	v_add_co_ci_u32_e64 v5, null, s7, v5, vcc_lo
	v_lshlrev_b64_e32 v[2:3], 1, v[8:9]
	s_add_nc_u64 s[18:19], s[0:1], 64
	s_lshl_b64 s[22:23], s[22:23], 1
	s_delay_alu instid0(VALU_DEP_2)
	v_lshlrev_b64_e32 v[4:5], 1, v[4:5]
	s_add_nc_u64 s[24:25], s[14:15], 63
	s_mov_b64 s[26:27], s[14:15]
	v_add_co_u32 v47, vcc_lo, s8, v2
	s_wait_alu 0xfffd
	v_add_co_ci_u32_e64 v48, null, s9, v3, vcc_lo
	v_add_co_u32 v49, vcc_lo, s10, v2
	s_wait_alu 0xfffd
	v_add_co_ci_u32_e64 v50, null, s11, v3, vcc_lo
	;; [unrolled: 3-line block ×4, first 2 shown]
.LBB180_3:                              ; =>This Inner Loop Header: Depth=1
	v_cmp_ge_i64_e64 s3, s[24:25], s[4:5]
	v_add_co_u32 v56, s16, v21, s24
	s_wait_alu 0xf1ff
	v_add_co_ci_u32_e64 v57, null, 0, s25, s16
                                        ; implicit-def: $vgpr2_vgpr3_vgpr4_vgpr5_vgpr6_vgpr7_vgpr8_vgpr9
                                        ; implicit-def: $vgpr86
                                        ; implicit-def: $vgpr10_vgpr11_vgpr12_vgpr13_vgpr14_vgpr15_vgpr16_vgpr17
                                        ; implicit-def: $vgpr2
	s_and_b32 vcc_lo, exec_lo, s3
	s_mov_b32 s3, -1
	s_wait_alu 0xfffe
	s_cbranch_vccz .LBB180_25
; %bb.4:                                ;   in Loop: Header=BB180_3 Depth=1
	s_load_b32 s3, s[18:19], 0xc
	v_mov_b32_e32 v58, 0
	s_wait_kmcnt 0x0
	s_and_b32 s3, s3, 0xffff
	s_wait_alu 0xfffe
	v_mad_u32_u24 v2, v20, s3, v22
	s_mov_b32 s3, exec_lo
	s_delay_alu instid0(VALU_DEP_1) | instskip(NEXT) | instid1(VALU_DEP_1)
	v_and_b32_e32 v2, 31, v2
	v_cmpx_gt_u32_e32 8, v2
	s_cbranch_execz .LBB180_8
; %bb.5:                                ;   in Loop: Header=BB180_3 Depth=1
	v_add_co_u32 v2, vcc_lo, v56, v2
	s_wait_alu 0xfffd
	v_add_co_ci_u32_e64 v3, null, 0, v57, vcc_lo
	v_mov_b32_e32 v58, 0
	s_delay_alu instid0(VALU_DEP_3) | instskip(SKIP_1) | instid1(VALU_DEP_3)
	v_add_co_u32 v2, vcc_lo, 0xffffffc1, v2
	s_wait_alu 0xfffd
	v_add_co_ci_u32_e64 v3, null, -1, v3, vcc_lo
	s_mov_b32 s16, exec_lo
	v_cmpx_gt_i64_e64 s[4:5], v[2:3]
	s_cbranch_execz .LBB180_7
; %bb.6:                                ;   in Loop: Header=BB180_3 Depth=1
	v_lshlrev_b64_e32 v[2:3], 2, v[2:3]
	s_delay_alu instid0(VALU_DEP_1) | instskip(SKIP_1) | instid1(VALU_DEP_2)
	v_add_co_u32 v2, vcc_lo, s12, v2
	s_wait_alu 0xfffd
	v_add_co_ci_u32_e64 v3, null, s13, v3, vcc_lo
	global_load_b32 v58, v[2:3], off
.LBB180_7:                              ;   in Loop: Header=BB180_3 Depth=1
	s_wait_alu 0xfffe
	s_or_b32 exec_lo, exec_lo, s16
.LBB180_8:                              ;   in Loop: Header=BB180_3 Depth=1
	s_wait_alu 0xfffe
	s_or_b32 exec_lo, exec_lo, s3
	v_add_co_u32 v9, vcc_lo, 0xffffffc1, v56
	s_wait_alu 0xfffd
	v_add_co_ci_u32_e64 v10, null, -1, v57, vcc_lo
	v_mov_b32_e32 v8, v1
	v_dual_mov_b32 v2, v1 :: v_dual_mov_b32 v3, v1
	v_dual_mov_b32 v4, v1 :: v_dual_mov_b32 v5, v1
	;; [unrolled: 1-line block ×3, first 2 shown]
	v_cmp_gt_i64_e32 vcc_lo, s[4:5], v[9:10]
	s_delay_alu instid0(VALU_DEP_3) | instskip(NEXT) | instid1(VALU_DEP_3)
	v_dual_mov_b32 v17, v8 :: v_dual_mov_b32 v14, v5
	v_dual_mov_b32 v15, v6 :: v_dual_mov_b32 v16, v7
	;; [unrolled: 1-line block ×4, first 2 shown]
	v_mov_b32_e32 v9, v8
	v_mov_b32_e32 v8, v7
	;; [unrolled: 1-line block ×8, first 2 shown]
	s_and_b32 s16, s2, vcc_lo
	s_wait_alu 0xfffe
	s_and_saveexec_b32 s3, s16
	s_cbranch_execz .LBB180_10
; %bb.9:                                ;   in Loop: Header=BB180_3 Depth=1
	v_add_co_u32 v2, vcc_lo, v23, v18
	s_wait_alu 0xfffd
	v_add_co_ci_u32_e64 v3, null, v24, v19, vcc_lo
	v_add_co_u32 v4, vcc_lo, v25, v18
	s_wait_alu 0xfffd
	v_add_co_ci_u32_e64 v5, null, v26, v19, vcc_lo
	global_load_u16 v2, v[2:3], off
	global_load_u16 v10, v[4:5], off
	v_dual_mov_b32 v3, v1 :: v_dual_mov_b32 v4, v1
	v_dual_mov_b32 v5, v1 :: v_dual_mov_b32 v6, v1
	v_dual_mov_b32 v7, v1 :: v_dual_mov_b32 v8, v1
	v_dual_mov_b32 v9, v1 :: v_dual_mov_b32 v12, v1
	v_dual_mov_b32 v11, v1 :: v_dual_mov_b32 v14, v1
	v_dual_mov_b32 v13, v1 :: v_dual_mov_b32 v16, v1
	v_mov_b32_e32 v15, v1
	v_mov_b32_e32 v17, v1
	s_wait_loadcnt 0x1
	v_cvt_f32_f16_e32 v2, v2
	s_wait_loadcnt 0x0
	v_cvt_f32_f16_e32 v10, v10
.LBB180_10:                             ;   in Loop: Header=BB180_3 Depth=1
	s_wait_alu 0xfffe
	s_or_b32 exec_lo, exec_lo, s3
	v_add_co_u32 v59, vcc_lo, 0xffffffc2, v56
	s_wait_alu 0xfffd
	v_add_co_ci_u32_e64 v60, null, -1, v57, vcc_lo
	s_delay_alu instid0(VALU_DEP_1)
	v_cmp_gt_i64_e32 vcc_lo, s[4:5], v[59:60]
	s_and_b32 s16, s2, vcc_lo
	s_wait_alu 0xfffe
	s_and_saveexec_b32 s3, s16
	s_cbranch_execz .LBB180_12
; %bb.11:                               ;   in Loop: Header=BB180_3 Depth=1
	v_add_co_u32 v59, vcc_lo, v51, v18
	s_wait_alu 0xfffd
	v_add_co_ci_u32_e64 v60, null, v52, v19, vcc_lo
	v_add_co_u32 v61, vcc_lo, v53, v18
	s_wait_alu 0xfffd
	v_add_co_ci_u32_e64 v62, null, v54, v19, vcc_lo
	global_load_u16 v3, v[59:60], off
	global_load_u16 v11, v[61:62], off
	s_wait_loadcnt 0x1
	v_cvt_f32_f16_e32 v3, v3
	s_wait_loadcnt 0x0
	v_cvt_f32_f16_e32 v11, v11
.LBB180_12:                             ;   in Loop: Header=BB180_3 Depth=1
	s_wait_alu 0xfffe
	s_or_b32 exec_lo, exec_lo, s3
	v_add_co_u32 v59, vcc_lo, 0xffffffc3, v56
	s_wait_alu 0xfffd
	v_add_co_ci_u32_e64 v60, null, -1, v57, vcc_lo
	s_delay_alu instid0(VALU_DEP_1)
	v_cmp_gt_i64_e32 vcc_lo, s[4:5], v[59:60]
	s_and_b32 s16, s2, vcc_lo
	s_wait_alu 0xfffe
	s_and_saveexec_b32 s3, s16
	s_cbranch_execz .LBB180_14
; %bb.13:                               ;   in Loop: Header=BB180_3 Depth=1
	v_add_co_u32 v59, vcc_lo, v47, v18
	s_wait_alu 0xfffd
	v_add_co_ci_u32_e64 v60, null, v48, v19, vcc_lo
	v_add_co_u32 v61, vcc_lo, v49, v18
	s_wait_alu 0xfffd
	v_add_co_ci_u32_e64 v62, null, v50, v19, vcc_lo
	global_load_u16 v4, v[59:60], off
	global_load_u16 v12, v[61:62], off
	s_wait_loadcnt 0x1
	v_cvt_f32_f16_e32 v4, v4
	s_wait_loadcnt 0x0
	v_cvt_f32_f16_e32 v12, v12
.LBB180_14:                             ;   in Loop: Header=BB180_3 Depth=1
	;; [unrolled: 25-line block ×7, first 2 shown]
	s_wait_alu 0xfffe
	s_or_b32 exec_lo, exec_lo, s3
	s_wait_loadcnt 0x0
	ds_bpermute_b32 v59, v1, v58
	ds_bpermute_b32 v60, v1, v58 offset:4
	ds_bpermute_b32 v61, v1, v58 offset:8
	v_dual_mul_f32 v2, v10, v2 :: v_dual_mul_f32 v3, v11, v3
	ds_bpermute_b32 v10, v1, v58 offset:12
	ds_bpermute_b32 v11, v1, v58 offset:16
	v_mul_f32_e32 v6, v14, v6
	s_mov_b32 s3, 0
	s_wait_dscnt 0x4
	v_fma_f32 v86, v2, v59, v55
	v_mul_f32_e32 v2, v12, v4
	ds_bpermute_b32 v4, v1, v58 offset:20
	s_wait_dscnt 0x4
	v_dual_fmac_f32 v86, v3, v60 :: v_dual_mul_f32 v3, v13, v5
	ds_bpermute_b32 v5, v1, v58 offset:24
	s_wait_dscnt 0x4
	v_fmac_f32_e32 v86, v2, v61
	ds_bpermute_b32 v2, v1, v58 offset:28
	s_wait_dscnt 0x4
	v_fmac_f32_e32 v86, v3, v10
	v_mul_f32_e32 v3, v15, v7
	s_wait_dscnt 0x3
	s_delay_alu instid0(VALU_DEP_2) | instskip(SKIP_1) | instid1(VALU_DEP_1)
	v_fmac_f32_e32 v86, v6, v11
	s_wait_dscnt 0x2
	v_fmac_f32_e32 v86, v3, v4
	v_mul_f32_e32 v3, v16, v8
	s_wait_dscnt 0x1
	s_delay_alu instid0(VALU_DEP_1)
	v_fmac_f32_e32 v86, v3, v5
.LBB180_25:                             ;   in Loop: Header=BB180_3 Depth=1
	s_wait_alu 0xfffe
	s_and_b32 vcc_lo, exec_lo, s3
	s_wait_alu 0xfffe
	s_cbranch_vccz .LBB180_40
; %bb.26:                               ;   in Loop: Header=BB180_3 Depth=1
	s_load_b32 s3, s[18:19], 0x0
	v_mov_b32_e32 v58, 0
	s_wait_kmcnt 0x0
	s_cmp_lt_u32 ttmp9, s3
	s_cselect_b32 s16, 12, 18
	s_wait_alu 0xfffe
	s_add_nc_u64 s[30:31], s[18:19], s[16:17]
	s_load_u16 s3, s[30:31], 0x0
	s_wait_dscnt 0x0
	s_wait_kmcnt 0x0
	v_mad_u32_u24 v2, v20, s3, v22
	s_mov_b32 s3, exec_lo
	s_delay_alu instid0(VALU_DEP_1) | instskip(NEXT) | instid1(VALU_DEP_1)
	v_and_b32_e32 v2, 31, v2
	v_cmpx_gt_u32_e32 8, v2
	s_cbranch_execz .LBB180_30
; %bb.27:                               ;   in Loop: Header=BB180_3 Depth=1
	v_add_co_u32 v2, vcc_lo, v56, v2
	s_wait_alu 0xfffd
	v_add_co_ci_u32_e64 v3, null, 0, v57, vcc_lo
	v_mov_b32_e32 v58, 0
	s_delay_alu instid0(VALU_DEP_3) | instskip(SKIP_1) | instid1(VALU_DEP_3)
	v_add_co_u32 v2, vcc_lo, 0xffffffc1, v2
	s_wait_alu 0xfffd
	v_add_co_ci_u32_e64 v3, null, -1, v3, vcc_lo
	s_mov_b32 s16, exec_lo
	v_cmpx_gt_i64_e64 s[4:5], v[2:3]
	s_cbranch_execz .LBB180_29
; %bb.28:                               ;   in Loop: Header=BB180_3 Depth=1
	v_lshlrev_b64_e32 v[2:3], 2, v[2:3]
	s_delay_alu instid0(VALU_DEP_1) | instskip(SKIP_1) | instid1(VALU_DEP_2)
	v_add_co_u32 v2, vcc_lo, s12, v2
	s_wait_alu 0xfffd
	v_add_co_ci_u32_e64 v3, null, s13, v3, vcc_lo
	global_load_b32 v58, v[2:3], off
.LBB180_29:                             ;   in Loop: Header=BB180_3 Depth=1
	s_wait_alu 0xfffe
	s_or_b32 exec_lo, exec_lo, s16
.LBB180_30:                             ;   in Loop: Header=BB180_3 Depth=1
	s_wait_alu 0xfffe
	s_or_b32 exec_lo, exec_lo, s3
	v_mov_b32_e32 v8, v1
	v_dual_mov_b32 v2, v1 :: v_dual_mov_b32 v3, v1
	v_dual_mov_b32 v4, v1 :: v_dual_mov_b32 v5, v1
	;; [unrolled: 1-line block ×3, first 2 shown]
	s_delay_alu instid0(VALU_DEP_4) | instskip(NEXT) | instid1(VALU_DEP_3)
	v_mov_b32_e32 v17, v8
	v_dual_mov_b32 v13, v4 :: v_dual_mov_b32 v12, v3
	s_delay_alu instid0(VALU_DEP_3) | instskip(NEXT) | instid1(VALU_DEP_4)
	v_dual_mov_b32 v15, v6 :: v_dual_mov_b32 v14, v5
	v_dual_mov_b32 v16, v7 :: v_dual_mov_b32 v11, v2
	;; [unrolled: 1-line block ×3, first 2 shown]
	v_mov_b32_e32 v8, v7
	v_mov_b32_e32 v7, v6
	;; [unrolled: 1-line block ×7, first 2 shown]
	s_and_saveexec_b32 s3, s2
	s_cbranch_execnz .LBB180_42
; %bb.31:                               ;   in Loop: Header=BB180_3 Depth=1
	s_wait_alu 0xfffe
	s_or_b32 exec_lo, exec_lo, s3
	s_and_saveexec_b32 s3, s2
	s_cbranch_execnz .LBB180_43
.LBB180_32:                             ;   in Loop: Header=BB180_3 Depth=1
	s_wait_alu 0xfffe
	s_or_b32 exec_lo, exec_lo, s3
	s_and_saveexec_b32 s3, s2
	s_cbranch_execnz .LBB180_44
.LBB180_33:                             ;   in Loop: Header=BB180_3 Depth=1
	s_wait_alu 0xfffe
	s_or_b32 exec_lo, exec_lo, s3
	s_and_saveexec_b32 s3, s2
	s_cbranch_execnz .LBB180_45
.LBB180_34:                             ;   in Loop: Header=BB180_3 Depth=1
	s_wait_alu 0xfffe
	s_or_b32 exec_lo, exec_lo, s3
	s_and_saveexec_b32 s3, s2
	s_cbranch_execnz .LBB180_46
.LBB180_35:                             ;   in Loop: Header=BB180_3 Depth=1
	s_wait_alu 0xfffe
	s_or_b32 exec_lo, exec_lo, s3
	s_and_saveexec_b32 s3, s2
	s_cbranch_execnz .LBB180_47
.LBB180_36:                             ;   in Loop: Header=BB180_3 Depth=1
	s_wait_alu 0xfffe
	s_or_b32 exec_lo, exec_lo, s3
	s_and_saveexec_b32 s3, s2
	s_cbranch_execnz .LBB180_48
.LBB180_37:                             ;   in Loop: Header=BB180_3 Depth=1
	s_wait_alu 0xfffe
	s_or_b32 exec_lo, exec_lo, s3
	s_and_saveexec_b32 s3, s2
	s_cbranch_execz .LBB180_39
.LBB180_38:                             ;   in Loop: Header=BB180_3 Depth=1
	v_add_co_u32 v56, vcc_lo, v27, v18
	s_wait_alu 0xfffd
	v_add_co_ci_u32_e64 v57, null, v28, v19, vcc_lo
	v_add_co_u32 v59, vcc_lo, v29, v18
	s_wait_alu 0xfffd
	v_add_co_ci_u32_e64 v60, null, v30, v19, vcc_lo
	global_load_u16 v9, v[56:57], off
	global_load_u16 v17, v[59:60], off
	s_wait_loadcnt 0x1
	v_cvt_f32_f16_e32 v9, v9
	s_wait_loadcnt 0x0
	v_cvt_f32_f16_e32 v17, v17
.LBB180_39:                             ;   in Loop: Header=BB180_3 Depth=1
	s_wait_alu 0xfffe
	s_or_b32 exec_lo, exec_lo, s3
	s_wait_loadcnt 0x0
	ds_bpermute_b32 v56, v1, v58
	ds_bpermute_b32 v57, v1, v58 offset:4
	ds_bpermute_b32 v59, v1, v58 offset:8
	v_dual_mul_f32 v2, v10, v2 :: v_dual_mul_f32 v3, v11, v3
	ds_bpermute_b32 v10, v1, v58 offset:12
	ds_bpermute_b32 v11, v1, v58 offset:16
	s_wait_dscnt 0x4
	v_fmac_f32_e32 v55, v2, v56
	v_mul_f32_e32 v2, v12, v4
	ds_bpermute_b32 v4, v1, v58 offset:20
	s_wait_dscnt 0x4
	v_fmac_f32_e32 v55, v3, v57
	v_mul_f32_e32 v3, v13, v5
	;; [unrolled: 4-line block ×3, first 2 shown]
	s_wait_dscnt 0x3
	s_delay_alu instid0(VALU_DEP_2) | instskip(SKIP_2) | instid1(VALU_DEP_2)
	v_fmac_f32_e32 v55, v3, v10
	v_mul_f32_e32 v3, v15, v7
	s_wait_dscnt 0x2
	v_fmac_f32_e32 v55, v2, v11
	ds_bpermute_b32 v2, v1, v58 offset:28
	s_wait_dscnt 0x2
	v_fmac_f32_e32 v55, v3, v4
	v_mul_f32_e32 v3, v16, v8
	s_wait_dscnt 0x1
	s_delay_alu instid0(VALU_DEP_1) | instskip(NEXT) | instid1(VALU_DEP_1)
	v_fmac_f32_e32 v55, v3, v5
	v_mov_b32_e32 v86, v55
.LBB180_40:                             ;   in Loop: Header=BB180_3 Depth=1
	v_add_co_u32 v23, vcc_lo, v23, s22
	s_wait_alu 0xfffd
	v_add_co_ci_u32_e64 v24, null, s23, v24, vcc_lo
	v_add_co_u32 v25, vcc_lo, v25, s22
	s_wait_alu 0xfffd
	v_add_co_ci_u32_e64 v26, null, s23, v26, vcc_lo
	;; [unrolled: 3-line block ×13, first 2 shown]
	v_add_co_u32 v49, vcc_lo, v49, s22
	v_mul_f32_e32 v3, v9, v17
	s_add_nc_u64 s[26:27], s[26:27], s[20:21]
	s_wait_alu 0xfffd
	v_add_co_ci_u32_e64 v50, null, s23, v50, vcc_lo
	v_add_co_u32 v51, vcc_lo, v51, s22
	s_wait_alu 0xfffe
	v_cmp_lt_i64_e64 s3, s[26:27], s[4:5]
	s_wait_alu 0xfffd
	v_add_co_ci_u32_e64 v52, null, s23, v52, vcc_lo
	v_add_co_u32 v53, vcc_lo, v53, s22
	s_wait_dscnt 0x0
	v_fmac_f32_e32 v86, v3, v2
	s_wait_alu 0xfffd
	v_add_co_ci_u32_e64 v54, null, s23, v54, vcc_lo
	s_and_b32 vcc_lo, exec_lo, s3
	s_add_nc_u64 s[24:25], s[24:25], s[20:21]
	s_wait_alu 0xfffe
	s_cbranch_vccz .LBB180_50
; %bb.41:                               ;   in Loop: Header=BB180_3 Depth=1
	v_mov_b32_e32 v55, v86
	s_branch .LBB180_3
.LBB180_42:                             ;   in Loop: Header=BB180_3 Depth=1
	v_add_co_u32 v2, vcc_lo, v23, v18
	s_wait_alu 0xfffd
	v_add_co_ci_u32_e64 v3, null, v24, v19, vcc_lo
	v_add_co_u32 v4, vcc_lo, v25, v18
	s_wait_alu 0xfffd
	v_add_co_ci_u32_e64 v5, null, v26, v19, vcc_lo
	global_load_u16 v2, v[2:3], off
	global_load_u16 v10, v[4:5], off
	v_dual_mov_b32 v3, v1 :: v_dual_mov_b32 v4, v1
	v_dual_mov_b32 v5, v1 :: v_dual_mov_b32 v6, v1
	;; [unrolled: 1-line block ×6, first 2 shown]
	v_mov_b32_e32 v15, v1
	v_mov_b32_e32 v17, v1
	s_wait_loadcnt 0x1
	v_cvt_f32_f16_e32 v2, v2
	s_wait_loadcnt 0x0
	v_cvt_f32_f16_e32 v10, v10
	s_wait_alu 0xfffe
	s_or_b32 exec_lo, exec_lo, s3
	s_and_saveexec_b32 s3, s2
	s_cbranch_execz .LBB180_32
.LBB180_43:                             ;   in Loop: Header=BB180_3 Depth=1
	v_add_co_u32 v56, vcc_lo, v51, v18
	s_wait_alu 0xfffd
	v_add_co_ci_u32_e64 v57, null, v52, v19, vcc_lo
	v_add_co_u32 v59, vcc_lo, v53, v18
	s_wait_alu 0xfffd
	v_add_co_ci_u32_e64 v60, null, v54, v19, vcc_lo
	global_load_u16 v3, v[56:57], off
	global_load_u16 v11, v[59:60], off
	s_wait_loadcnt 0x1
	v_cvt_f32_f16_e32 v3, v3
	s_wait_loadcnt 0x0
	v_cvt_f32_f16_e32 v11, v11
	s_wait_alu 0xfffe
	s_or_b32 exec_lo, exec_lo, s3
	s_and_saveexec_b32 s3, s2
	s_cbranch_execz .LBB180_33
.LBB180_44:                             ;   in Loop: Header=BB180_3 Depth=1
	v_add_co_u32 v56, vcc_lo, v47, v18
	s_wait_alu 0xfffd
	v_add_co_ci_u32_e64 v57, null, v48, v19, vcc_lo
	v_add_co_u32 v59, vcc_lo, v49, v18
	s_wait_alu 0xfffd
	v_add_co_ci_u32_e64 v60, null, v50, v19, vcc_lo
	global_load_u16 v4, v[56:57], off
	global_load_u16 v12, v[59:60], off
	s_wait_loadcnt 0x1
	v_cvt_f32_f16_e32 v4, v4
	s_wait_loadcnt 0x0
	v_cvt_f32_f16_e32 v12, v12
	s_wait_alu 0xfffe
	s_or_b32 exec_lo, exec_lo, s3
	s_and_saveexec_b32 s3, s2
	s_cbranch_execz .LBB180_34
.LBB180_45:                             ;   in Loop: Header=BB180_3 Depth=1
	v_add_co_u32 v56, vcc_lo, v43, v18
	s_wait_alu 0xfffd
	v_add_co_ci_u32_e64 v57, null, v44, v19, vcc_lo
	v_add_co_u32 v59, vcc_lo, v45, v18
	s_wait_alu 0xfffd
	v_add_co_ci_u32_e64 v60, null, v46, v19, vcc_lo
	global_load_u16 v5, v[56:57], off
	global_load_u16 v13, v[59:60], off
	s_wait_loadcnt 0x1
	v_cvt_f32_f16_e32 v5, v5
	s_wait_loadcnt 0x0
	v_cvt_f32_f16_e32 v13, v13
	s_wait_alu 0xfffe
	s_or_b32 exec_lo, exec_lo, s3
	s_and_saveexec_b32 s3, s2
	s_cbranch_execz .LBB180_35
.LBB180_46:                             ;   in Loop: Header=BB180_3 Depth=1
	v_add_co_u32 v56, vcc_lo, v39, v18
	s_wait_alu 0xfffd
	v_add_co_ci_u32_e64 v57, null, v40, v19, vcc_lo
	v_add_co_u32 v59, vcc_lo, v41, v18
	s_wait_alu 0xfffd
	v_add_co_ci_u32_e64 v60, null, v42, v19, vcc_lo
	global_load_u16 v6, v[56:57], off
	global_load_u16 v14, v[59:60], off
	s_wait_loadcnt 0x1
	v_cvt_f32_f16_e32 v6, v6
	s_wait_loadcnt 0x0
	v_cvt_f32_f16_e32 v14, v14
	s_wait_alu 0xfffe
	s_or_b32 exec_lo, exec_lo, s3
	s_and_saveexec_b32 s3, s2
	s_cbranch_execz .LBB180_36
.LBB180_47:                             ;   in Loop: Header=BB180_3 Depth=1
	v_add_co_u32 v56, vcc_lo, v35, v18
	s_wait_alu 0xfffd
	v_add_co_ci_u32_e64 v57, null, v36, v19, vcc_lo
	v_add_co_u32 v59, vcc_lo, v37, v18
	s_wait_alu 0xfffd
	v_add_co_ci_u32_e64 v60, null, v38, v19, vcc_lo
	global_load_u16 v7, v[56:57], off
	global_load_u16 v15, v[59:60], off
	s_wait_loadcnt 0x1
	v_cvt_f32_f16_e32 v7, v7
	s_wait_loadcnt 0x0
	v_cvt_f32_f16_e32 v15, v15
	s_wait_alu 0xfffe
	s_or_b32 exec_lo, exec_lo, s3
	s_and_saveexec_b32 s3, s2
	s_cbranch_execz .LBB180_37
.LBB180_48:                             ;   in Loop: Header=BB180_3 Depth=1
	v_add_co_u32 v56, vcc_lo, v31, v18
	s_wait_alu 0xfffd
	v_add_co_ci_u32_e64 v57, null, v32, v19, vcc_lo
	v_add_co_u32 v59, vcc_lo, v33, v18
	s_wait_alu 0xfffd
	v_add_co_ci_u32_e64 v60, null, v34, v19, vcc_lo
	global_load_u16 v8, v[56:57], off
	global_load_u16 v16, v[59:60], off
	s_wait_loadcnt 0x1
	v_cvt_f32_f16_e32 v8, v8
	s_wait_loadcnt 0x0
	v_cvt_f32_f16_e32 v16, v16
	s_wait_alu 0xfffe
	s_or_b32 exec_lo, exec_lo, s3
	s_and_saveexec_b32 s3, s2
	s_cbranch_execnz .LBB180_38
	s_branch .LBB180_39
.LBB180_49:
                                        ; implicit-def: $vgpr86
	s_branch .LBB180_51
.LBB180_50:
	s_cbranch_execnz .LBB180_83
.LBB180_51:
	v_mov_b32_e32 v86, 0
	s_and_not1_b32 vcc_lo, exec_lo, s29
	s_wait_alu 0xfffe
	s_cbranch_vccnz .LBB180_83
; %bb.52:
	v_bfe_u32 v48, v0, 10, 10
	v_dual_mov_b32 v1, 0 :: v_dual_and_b32 v50, 0x3ff, v0
	s_lshl_b64 s[18:19], s[14:15], 1
	s_mov_b32 s3, 0
	s_delay_alu instid0(VALU_DEP_2) | instskip(SKIP_2) | instid1(VALU_DEP_3)
	v_lshlrev_b32_e32 v49, 3, v48
	v_dual_mov_b32 v83, 0 :: v_dual_lshlrev_b32 v8, 4, v48
	v_dual_mov_b32 v5, v1 :: v_dual_add_nc_u32 v4, s28, v50
	v_add_co_u32 v10, s2, v49, s14
	s_wait_alu 0xf1ff
	v_add_co_ci_u32_e64 v11, null, 0, 0, s2
	s_delay_alu instid0(VALU_DEP_3) | instskip(NEXT) | instid1(VALU_DEP_3)
	v_lshlrev_b64_e32 v[18:19], 1, v[4:5]
	v_mul_lo_u32 v6, s7, v10
	v_mad_co_u64_u32 v[2:3], null, s6, v10, 0
	s_delay_alu instid0(VALU_DEP_4) | instskip(SKIP_2) | instid1(VALU_DEP_1)
	v_mul_lo_u32 v7, s6, v11
	s_load_b32 s2, s[0:1], 0x44
	s_mov_b32 s17, s3
	v_add3_u32 v3, v3, v7, v6
	v_add_co_u32 v6, s16, v8, s18
	s_wait_alu 0xf1ff
	v_add_co_ci_u32_e64 v7, null, 0, s19, s16
	s_delay_alu instid0(VALU_DEP_3) | instskip(NEXT) | instid1(VALU_DEP_3)
	v_lshlrev_b64_e32 v[4:5], 1, v[2:3]
	v_add_co_u32 v8, vcc_lo, v6, 2
	s_wait_alu 0xfffd
	s_delay_alu instid0(VALU_DEP_3) | instskip(NEXT) | instid1(VALU_DEP_3)
	v_add_co_ci_u32_e64 v9, null, 0, v7, vcc_lo
	v_add_co_u32 v51, vcc_lo, s8, v4
	s_wait_alu 0xfffd
	v_add_co_ci_u32_e64 v52, null, s9, v5, vcc_lo
	v_add_co_u32 v53, vcc_lo, s10, v4
	s_wait_alu 0xfffd
	;; [unrolled: 3-line block ×5, first 2 shown]
	v_add_co_ci_u32_e64 v28, null, 0, v7, vcc_lo
	v_add_co_u32 v42, vcc_lo, v6, 10
	v_mad_co_u64_u32 v[22:23], null, s6, v4, s[8:9]
	v_mul_lo_u32 v5, s6, v5
	v_mul_lo_u32 v15, s7, v4
	v_mad_co_u64_u32 v[36:37], null, s6, v4, s[10:11]
	s_wait_alu 0xfffd
	v_add_co_ci_u32_e64 v30, null, 0, v7, vcc_lo
	v_add_co_u32 v44, vcc_lo, v6, 12
	s_wait_alu 0xfffd
	v_add_co_ci_u32_e64 v32, null, 0, v7, vcc_lo
	v_add_co_u32 v6, vcc_lo, v6, 14
	v_mad_co_u64_u32 v[20:21], null, s6, v8, s[8:9]
	v_mul_lo_u32 v9, s6, v9
	v_mul_lo_u32 v12, s7, v8
	v_mad_co_u64_u32 v[34:35], null, s6, v8, s[10:11]
	s_wait_alu 0xfffd
	v_add_co_ci_u32_e64 v7, null, 0, v7, vcc_lo
	v_add_co_u32 v4, vcc_lo, v10, 7
	v_add3_u32 v23, v15, v23, v5
	v_add3_u32 v37, v15, v37, v5
	s_wait_alu 0xfffd
	v_add_co_ci_u32_e64 v5, null, 0, v11, vcc_lo
	v_mul_lo_u32 v61, s6, v7
	v_add_co_u32 v7, vcc_lo, v10, 6
	v_add3_u32 v21, v12, v21, v9
	v_add3_u32 v35, v12, v35, v9
	s_wait_alu 0xfffd
	v_add_co_ci_u32_e64 v12, null, 0, v11, vcc_lo
	v_mul_lo_u32 v8, s7, v4
	v_mul_lo_u32 v9, s6, v5
	v_mad_co_u64_u32 v[4:5], null, s6, v4, 0
	v_mad_co_u64_u32 v[24:25], null, s6, v13, s[8:9]
	v_mul_lo_u32 v17, s7, v13
	v_mul_lo_u32 v59, s6, v32
	v_mad_co_u64_u32 v[32:33], null, s6, v6, s[8:9]
	v_mul_lo_u32 v62, s7, v6
	v_mad_co_u64_u32 v[38:39], null, s6, v13, s[10:11]
	v_mad_co_u64_u32 v[46:47], null, s6, v6, s[10:11]
	v_mul_lo_u32 v13, s7, v7
	v_mul_lo_u32 v12, s6, v12
	v_mad_co_u64_u32 v[6:7], null, s6, v7, 0
	v_add3_u32 v5, v5, v9, v8
	v_add_co_u32 v8, vcc_lo, v10, 5
	v_mad_co_u64_u32 v[26:27], null, s6, v16, s[8:9]
	v_mul_lo_u32 v55, s6, v28
	v_mul_lo_u32 v56, s7, v16
	v_mad_co_u64_u32 v[40:41], null, s6, v16, s[10:11]
	s_wait_alu 0xfffd
	v_add_co_ci_u32_e64 v9, null, 0, v11, vcc_lo
	v_add3_u32 v7, v7, v12, v13
	v_mad_co_u64_u32 v[28:29], null, s6, v42, s[8:9]
	v_mul_lo_u32 v57, s6, v30
	v_mul_lo_u32 v58, s7, v42
	v_mad_co_u64_u32 v[42:43], null, s6, v42, s[10:11]
	v_lshlrev_b64_e32 v[4:5], 1, v[4:5]
	v_mad_co_u64_u32 v[30:31], null, s6, v44, s[8:9]
	v_mul_lo_u32 v60, s7, v44
	v_mad_co_u64_u32 v[44:45], null, s6, v44, s[10:11]
	v_mul_lo_u32 v12, s7, v8
	v_mul_lo_u32 v13, s6, v9
	v_mad_co_u64_u32 v[8:9], null, s6, v8, 0
	v_lshlrev_b64_e32 v[6:7], 1, v[6:7]
	v_add3_u32 v27, v56, v27, v55
	v_add3_u32 v41, v56, v41, v55
	v_add_co_u32 v55, vcc_lo, s8, v4
	v_add3_u32 v29, v58, v29, v57
	v_add3_u32 v43, v58, v43, v57
	s_wait_alu 0xfffd
	v_add_co_ci_u32_e64 v56, null, s9, v5, vcc_lo
	v_add_co_u32 v57, vcc_lo, s10, v4
	v_add3_u32 v31, v60, v31, v59
	v_add3_u32 v45, v60, v45, v59
	s_wait_alu 0xfffd
	v_add_co_ci_u32_e64 v58, null, s11, v5, vcc_lo
	v_add_co_u32 v59, vcc_lo, s8, v6
	v_mul_lo_u32 v14, s6, v14
	v_add3_u32 v9, v9, v13, v12
	s_wait_alu 0xfffd
	v_add_co_ci_u32_e64 v60, null, s9, v7, vcc_lo
	v_add_co_u32 v12, vcc_lo, v10, 4
	s_wait_kmcnt 0x0
	s_lshl_b32 s16, s2, 6
	v_add3_u32 v33, v62, v33, v61
	v_add3_u32 v47, v62, v47, v61
	v_add_co_u32 v61, s2, s10, v6
	s_wait_alu 0xfffd
	v_add_co_ci_u32_e64 v6, null, 0, v11, vcc_lo
	v_lshlrev_b64_e32 v[4:5], 1, v[8:9]
	v_add_co_u32 v8, vcc_lo, v10, 3
	s_wait_alu 0xfffd
	v_add_co_ci_u32_e64 v9, null, 0, v11, vcc_lo
	v_add3_u32 v25, v17, v25, v14
	v_add3_u32 v39, v17, v39, v14
	s_wait_alu 0xf1ff
	v_add_co_ci_u32_e64 v62, null, s11, v7, s2
	v_mul_lo_u32 v13, s7, v12
	v_mul_lo_u32 v14, s6, v6
	v_mad_co_u64_u32 v[6:7], null, s6, v12, 0
	v_mul_lo_u32 v12, s7, v8
	v_mul_lo_u32 v15, s6, v9
	v_mad_co_u64_u32 v[8:9], null, s6, v8, 0
	v_add_co_u32 v63, vcc_lo, s8, v4
	s_wait_alu 0xfffd
	v_add_co_ci_u32_e64 v64, null, s9, v5, vcc_lo
	v_add3_u32 v7, v7, v14, v13
	v_add_co_u32 v65, vcc_lo, s10, v4
	s_wait_alu 0xfffd
	v_add_co_ci_u32_e64 v66, null, s11, v5, vcc_lo
	v_add_co_u32 v10, vcc_lo, v10, 2
	v_add3_u32 v9, v9, v15, v12
	s_wait_alu 0xfffd
	v_add_co_ci_u32_e64 v11, null, 0, v11, vcc_lo
	v_lshlrev_b64_e32 v[4:5], 1, v[6:7]
	v_mul_lo_u32 v12, s7, v10
	v_lshlrev_b64_e32 v[6:7], 1, v[8:9]
	s_delay_alu instid0(VALU_DEP_4)
	v_mul_lo_u32 v11, s6, v11
	v_mad_co_u64_u32 v[8:9], null, s6, v10, 0
	v_add_co_u32 v67, vcc_lo, s8, v4
	s_wait_alu 0xfffd
	v_add_co_ci_u32_e64 v68, null, s9, v5, vcc_lo
	v_add_co_u32 v69, vcc_lo, s10, v4
	s_wait_alu 0xfffd
	v_add_co_ci_u32_e64 v70, null, s11, v5, vcc_lo
	;; [unrolled: 3-line block ×3, first 2 shown]
	v_add3_u32 v9, v9, v11, v12
	v_add_co_u32 v73, vcc_lo, s10, v6
	s_wait_alu 0xfffd
	v_add_co_ci_u32_e64 v74, null, s11, v7, vcc_lo
	v_add_co_u32 v2, vcc_lo, v2, s6
	s_wait_alu 0xfffd
	v_add_co_ci_u32_e64 v3, null, s7, v3, vcc_lo
	v_lshlrev_b64_e32 v[4:5], 1, v[8:9]
	s_wait_alu 0xfffe
	s_mul_u64 s[18:19], s[6:7], s[16:17]
	s_delay_alu instid0(VALU_DEP_2) | instskip(NEXT) | instid1(VALU_DEP_2)
	v_lshlrev_b64_e32 v[2:3], 1, v[2:3]
	v_add_co_u32 v75, vcc_lo, s8, v4
	s_wait_alu 0xfffd
	v_add_co_ci_u32_e64 v76, null, s9, v5, vcc_lo
	v_add_co_u32 v77, vcc_lo, s10, v4
	s_wait_alu 0xfffd
	v_add_co_ci_u32_e64 v78, null, s11, v5, vcc_lo
	;; [unrolled: 3-line block ×4, first 2 shown]
	s_add_nc_u64 s[8:9], s[0:1], 64
	s_wait_alu 0xfffe
	s_lshl_b64 s[10:11], s[18:19], 1
	s_add_nc_u64 s[18:19], s[14:15], 63
.LBB180_53:                             ; =>This Inner Loop Header: Depth=1
	s_wait_alu 0xfffe
	v_cmp_ge_i64_e64 s2, s[18:19], s[4:5]
	v_add_co_u32 v84, s20, v49, s18
	s_wait_alu 0xf1ff
	v_add_co_ci_u32_e64 v85, null, 0, s19, s20
                                        ; implicit-def: $vgpr86
	s_and_b32 vcc_lo, exec_lo, s2
	s_mov_b32 s2, -1
	s_wait_alu 0xfffe
	s_cbranch_vccz .LBB180_75
; %bb.54:                               ;   in Loop: Header=BB180_53 Depth=1
	s_load_b32 s2, s[8:9], 0xc
	v_mov_b32_e32 v87, 0
	s_wait_kmcnt 0x0
	s_and_b32 s2, s2, 0xffff
	s_wait_alu 0xfffe
	v_mad_u32_u24 v2, v48, s2, v50
	s_mov_b32 s2, exec_lo
	s_delay_alu instid0(VALU_DEP_1) | instskip(NEXT) | instid1(VALU_DEP_1)
	v_and_b32_e32 v2, 31, v2
	v_cmpx_gt_u32_e32 8, v2
	s_cbranch_execz .LBB180_58
; %bb.55:                               ;   in Loop: Header=BB180_53 Depth=1
	v_add_co_u32 v2, vcc_lo, v84, v2
	s_wait_alu 0xfffd
	v_add_co_ci_u32_e64 v3, null, 0, v85, vcc_lo
	v_mov_b32_e32 v87, 0
	s_delay_alu instid0(VALU_DEP_3) | instskip(SKIP_1) | instid1(VALU_DEP_3)
	v_add_co_u32 v2, vcc_lo, 0xffffffc1, v2
	s_wait_alu 0xfffd
	v_add_co_ci_u32_e64 v3, null, -1, v3, vcc_lo
	s_mov_b32 s20, exec_lo
	v_cmpx_gt_i64_e64 s[4:5], v[2:3]
	s_cbranch_execz .LBB180_57
; %bb.56:                               ;   in Loop: Header=BB180_53 Depth=1
	v_lshlrev_b64_e32 v[2:3], 2, v[2:3]
	s_delay_alu instid0(VALU_DEP_1) | instskip(SKIP_1) | instid1(VALU_DEP_2)
	v_add_co_u32 v2, vcc_lo, s12, v2
	s_wait_alu 0xfffd
	v_add_co_ci_u32_e64 v3, null, s13, v3, vcc_lo
	global_load_b32 v87, v[2:3], off
.LBB180_57:                             ;   in Loop: Header=BB180_53 Depth=1
	s_wait_alu 0xfffe
	s_or_b32 exec_lo, exec_lo, s20
.LBB180_58:                             ;   in Loop: Header=BB180_53 Depth=1
	s_wait_alu 0xfffe
	s_or_b32 exec_lo, exec_lo, s2
	v_add_co_u32 v9, vcc_lo, 0xffffffc1, v84
	s_wait_alu 0xfffd
	v_add_co_ci_u32_e64 v10, null, -1, v85, vcc_lo
	v_mov_b32_e32 v8, v1
	v_dual_mov_b32 v2, v1 :: v_dual_mov_b32 v3, v1
	v_dual_mov_b32 v4, v1 :: v_dual_mov_b32 v5, v1
	;; [unrolled: 1-line block ×3, first 2 shown]
	v_cmp_gt_i64_e32 vcc_lo, s[4:5], v[9:10]
	s_delay_alu instid0(VALU_DEP_3) | instskip(NEXT) | instid1(VALU_DEP_3)
	v_dual_mov_b32 v17, v8 :: v_dual_mov_b32 v14, v5
	v_dual_mov_b32 v15, v6 :: v_dual_mov_b32 v16, v7
	;; [unrolled: 1-line block ×4, first 2 shown]
	v_mov_b32_e32 v9, v8
	v_mov_b32_e32 v8, v7
	;; [unrolled: 1-line block ×8, first 2 shown]
	s_and_saveexec_b32 s2, vcc_lo
	s_cbranch_execz .LBB180_60
; %bb.59:                               ;   in Loop: Header=BB180_53 Depth=1
	v_add_co_u32 v2, vcc_lo, v51, v18
	s_wait_alu 0xfffd
	v_add_co_ci_u32_e64 v3, null, v52, v19, vcc_lo
	v_add_co_u32 v4, vcc_lo, v53, v18
	s_wait_alu 0xfffd
	v_add_co_ci_u32_e64 v5, null, v54, v19, vcc_lo
	global_load_u16 v2, v[2:3], off
	global_load_u16 v10, v[4:5], off
	v_dual_mov_b32 v3, v1 :: v_dual_mov_b32 v4, v1
	v_dual_mov_b32 v5, v1 :: v_dual_mov_b32 v6, v1
	v_dual_mov_b32 v7, v1 :: v_dual_mov_b32 v8, v1
	v_dual_mov_b32 v9, v1 :: v_dual_mov_b32 v12, v1
	v_dual_mov_b32 v11, v1 :: v_dual_mov_b32 v14, v1
	v_dual_mov_b32 v13, v1 :: v_dual_mov_b32 v16, v1
	v_mov_b32_e32 v15, v1
	v_mov_b32_e32 v17, v1
	s_wait_loadcnt 0x1
	v_cvt_f32_f16_e32 v2, v2
	s_wait_loadcnt 0x0
	v_cvt_f32_f16_e32 v10, v10
.LBB180_60:                             ;   in Loop: Header=BB180_53 Depth=1
	s_wait_alu 0xfffe
	s_or_b32 exec_lo, exec_lo, s2
	v_add_co_u32 v88, vcc_lo, 0xffffffc2, v84
	s_wait_alu 0xfffd
	v_add_co_ci_u32_e64 v89, null, -1, v85, vcc_lo
	s_mov_b32 s2, exec_lo
	v_cmpx_gt_i64_e64 s[4:5], v[88:89]
	s_cbranch_execz .LBB180_62
; %bb.61:                               ;   in Loop: Header=BB180_53 Depth=1
	v_add_co_u32 v88, vcc_lo, v79, v18
	s_wait_alu 0xfffd
	v_add_co_ci_u32_e64 v89, null, v80, v19, vcc_lo
	v_add_co_u32 v90, vcc_lo, v81, v18
	s_wait_alu 0xfffd
	v_add_co_ci_u32_e64 v91, null, v82, v19, vcc_lo
	global_load_u16 v3, v[88:89], off
	global_load_u16 v11, v[90:91], off
	s_wait_loadcnt 0x1
	v_cvt_f32_f16_e32 v3, v3
	s_wait_loadcnt 0x0
	v_cvt_f32_f16_e32 v11, v11
.LBB180_62:                             ;   in Loop: Header=BB180_53 Depth=1
	s_wait_alu 0xfffe
	s_or_b32 exec_lo, exec_lo, s2
	v_add_co_u32 v88, vcc_lo, 0xffffffc3, v84
	s_wait_alu 0xfffd
	v_add_co_ci_u32_e64 v89, null, -1, v85, vcc_lo
	s_mov_b32 s2, exec_lo
	v_cmpx_gt_i64_e64 s[4:5], v[88:89]
	s_cbranch_execz .LBB180_64
; %bb.63:                               ;   in Loop: Header=BB180_53 Depth=1
	v_add_co_u32 v88, vcc_lo, v75, v18
	s_wait_alu 0xfffd
	v_add_co_ci_u32_e64 v89, null, v76, v19, vcc_lo
	v_add_co_u32 v90, vcc_lo, v77, v18
	s_wait_alu 0xfffd
	v_add_co_ci_u32_e64 v91, null, v78, v19, vcc_lo
	global_load_u16 v4, v[88:89], off
	global_load_u16 v12, v[90:91], off
	s_wait_loadcnt 0x1
	v_cvt_f32_f16_e32 v4, v4
	s_wait_loadcnt 0x0
	v_cvt_f32_f16_e32 v12, v12
.LBB180_64:                             ;   in Loop: Header=BB180_53 Depth=1
	;; [unrolled: 22-line block ×7, first 2 shown]
	s_wait_alu 0xfffe
	s_or_b32 exec_lo, exec_lo, s2
	s_wait_loadcnt 0x0
	ds_bpermute_b32 v86, v1, v87
	ds_bpermute_b32 v88, v1, v87 offset:4
	ds_bpermute_b32 v89, v1, v87 offset:8
	v_dual_mul_f32 v2, v10, v2 :: v_dual_mul_f32 v3, v11, v3
	ds_bpermute_b32 v10, v1, v87 offset:12
	ds_bpermute_b32 v11, v1, v87 offset:16
	s_mov_b32 s2, 0
	s_wait_dscnt 0x4
	v_fma_f32 v86, v2, v86, v83
	v_mul_f32_e32 v2, v12, v4
	ds_bpermute_b32 v4, v1, v87 offset:20
	s_wait_dscnt 0x4
	v_dual_fmac_f32 v86, v3, v88 :: v_dual_mul_f32 v3, v13, v5
	ds_bpermute_b32 v5, v1, v87 offset:24
	s_wait_dscnt 0x4
	v_fmac_f32_e32 v86, v2, v89
	v_mul_f32_e32 v2, v14, v6
	v_mul_f32_e32 v6, v15, v7
	s_wait_dscnt 0x3
	s_delay_alu instid0(VALU_DEP_3)
	v_fmac_f32_e32 v86, v3, v10
	ds_bpermute_b32 v3, v1, v87 offset:28
	s_wait_dscnt 0x3
	v_fmac_f32_e32 v86, v2, v11
	v_mul_f32_e32 v2, v16, v8
	s_wait_dscnt 0x2
	s_delay_alu instid0(VALU_DEP_2) | instskip(SKIP_1) | instid1(VALU_DEP_1)
	v_fmac_f32_e32 v86, v6, v4
	s_wait_dscnt 0x1
	v_fmac_f32_e32 v86, v2, v5
	v_mul_f32_e32 v2, v17, v9
	s_wait_dscnt 0x0
	s_delay_alu instid0(VALU_DEP_1)
	v_fmac_f32_e32 v86, v2, v3
.LBB180_75:                             ;   in Loop: Header=BB180_53 Depth=1
	s_wait_alu 0xfffe
	s_and_b32 vcc_lo, exec_lo, s2
	s_wait_alu 0xfffe
	s_cbranch_vccz .LBB180_81
; %bb.76:                               ;   in Loop: Header=BB180_53 Depth=1
	s_load_b32 s2, s[8:9], 0x0
	v_mov_b32_e32 v4, 0
	s_wait_kmcnt 0x0
	s_cmp_lt_u32 ttmp9, s2
	s_cselect_b32 s2, 12, 18
	s_wait_alu 0xfffe
	s_add_nc_u64 s[20:21], s[8:9], s[2:3]
	s_load_u16 s2, s[20:21], 0x0
	s_wait_kmcnt 0x0
	v_mad_u32_u24 v2, v48, s2, v50
	s_mov_b32 s2, exec_lo
	s_delay_alu instid0(VALU_DEP_1) | instskip(NEXT) | instid1(VALU_DEP_1)
	v_and_b32_e32 v2, 31, v2
	v_cmpx_gt_u32_e32 8, v2
	s_cbranch_execz .LBB180_80
; %bb.77:                               ;   in Loop: Header=BB180_53 Depth=1
	v_add_co_u32 v2, vcc_lo, v84, v2
	s_wait_alu 0xfffd
	v_add_co_ci_u32_e64 v3, null, 0, v85, vcc_lo
	v_mov_b32_e32 v4, 0
	s_delay_alu instid0(VALU_DEP_3) | instskip(SKIP_1) | instid1(VALU_DEP_3)
	v_add_co_u32 v2, vcc_lo, 0xffffffc1, v2
	s_wait_alu 0xfffd
	v_add_co_ci_u32_e64 v3, null, -1, v3, vcc_lo
	s_mov_b32 s20, exec_lo
	v_cmpx_gt_i64_e64 s[4:5], v[2:3]
	s_cbranch_execz .LBB180_79
; %bb.78:                               ;   in Loop: Header=BB180_53 Depth=1
	v_lshlrev_b64_e32 v[2:3], 2, v[2:3]
	s_delay_alu instid0(VALU_DEP_1) | instskip(SKIP_1) | instid1(VALU_DEP_2)
	v_add_co_u32 v2, vcc_lo, s12, v2
	s_wait_alu 0xfffd
	v_add_co_ci_u32_e64 v3, null, s13, v3, vcc_lo
	global_load_b32 v4, v[2:3], off
.LBB180_79:                             ;   in Loop: Header=BB180_53 Depth=1
	s_wait_alu 0xfffe
	s_or_b32 exec_lo, exec_lo, s20
.LBB180_80:                             ;   in Loop: Header=BB180_53 Depth=1
	s_wait_alu 0xfffe
	s_or_b32 exec_lo, exec_lo, s2
	v_add_co_u32 v2, vcc_lo, v51, v18
	s_wait_alu 0xfffd
	v_add_co_ci_u32_e64 v3, null, v52, v19, vcc_lo
	v_add_co_u32 v5, vcc_lo, v53, v18
	s_wait_alu 0xfffd
	v_add_co_ci_u32_e64 v6, null, v54, v19, vcc_lo
	;; [unrolled: 3-line block ×5, first 2 shown]
	global_load_u16 v13, v[2:3], off
	global_load_u16 v14, v[5:6], off
	;; [unrolled: 1-line block ×5, first 2 shown]
	v_add_co_u32 v2, vcc_lo, v36, v18
	s_wait_alu 0xfffd
	v_add_co_ci_u32_e64 v3, null, v37, v19, vcc_lo
	v_add_co_u32 v5, vcc_lo, v24, v18
	s_wait_alu 0xfffd
	v_add_co_ci_u32_e64 v6, null, v25, v19, vcc_lo
	;; [unrolled: 3-line block ×5, first 2 shown]
	global_load_u16 v84, v[2:3], off
	global_load_u16 v85, v[5:6], off
	;; [unrolled: 1-line block ×5, first 2 shown]
	v_add_co_u32 v2, vcc_lo, v28, v18
	s_wait_alu 0xfffd
	v_add_co_ci_u32_e64 v3, null, v29, v19, vcc_lo
	v_add_co_u32 v5, vcc_lo, v42, v18
	s_wait_alu 0xfffd
	v_add_co_ci_u32_e64 v6, null, v43, v19, vcc_lo
	;; [unrolled: 3-line block ×4, first 2 shown]
	global_load_u16 v12, v[2:3], off
	global_load_u16 v88, v[5:6], off
	;; [unrolled: 1-line block ×4, first 2 shown]
	v_add_co_u32 v2, vcc_lo, v32, v18
	s_wait_alu 0xfffd
	v_add_co_ci_u32_e64 v3, null, v33, v19, vcc_lo
	v_add_co_u32 v5, vcc_lo, v46, v18
	s_wait_alu 0xfffd
	v_add_co_ci_u32_e64 v6, null, v47, v19, vcc_lo
	global_load_u16 v2, v[2:3], off
	global_load_u16 v3, v[5:6], off
	s_wait_loadcnt 0x10
	ds_bpermute_b32 v5, v1, v4
	ds_bpermute_b32 v6, v1, v4 offset:4
	ds_bpermute_b32 v9, v1, v4 offset:8
	s_wait_loadcnt 0xf
	v_cvt_f32_f16_e32 v10, v13
	s_wait_loadcnt 0xe
	v_cvt_f32_f16_e32 v13, v14
	ds_bpermute_b32 v14, v1, v4 offset:12
	s_wait_loadcnt 0xd
	v_cvt_f32_f16_e32 v15, v15
	s_wait_loadcnt 0xc
	v_cvt_f32_f16_e32 v16, v16
	;; [unrolled: 2-line block ×3, first 2 shown]
	v_mul_f32_e32 v10, v10, v13
	ds_bpermute_b32 v13, v1, v4 offset:16
	v_mul_f32_e32 v15, v15, v16
	s_wait_dscnt 0x4
	v_fmac_f32_e32 v83, v10, v5
	ds_bpermute_b32 v5, v1, v4 offset:20
	s_wait_loadcnt 0xa
	v_cvt_f32_f16_e32 v84, v84
	s_wait_loadcnt 0x9
	v_cvt_f32_f16_e32 v10, v85
	;; [unrolled: 2-line block ×3, first 2 shown]
	s_wait_dscnt 0x4
	v_fmac_f32_e32 v83, v15, v6
	ds_bpermute_b32 v6, v1, v4 offset:24
	s_wait_loadcnt 0x7
	v_cvt_f32_f16_e32 v15, v87
	s_wait_loadcnt 0x6
	v_cvt_f32_f16_e32 v11, v11
	v_mul_f32_e32 v10, v10, v16
	ds_bpermute_b32 v4, v1, v4 offset:28
	v_mul_f32_e32 v11, v15, v11
	s_wait_loadcnt 0x3
	v_cvt_f32_f16_e32 v7, v7
	s_wait_loadcnt 0x2
	v_cvt_f32_f16_e32 v8, v8
	s_delay_alu instid0(VALU_DEP_1) | instskip(SKIP_4) | instid1(VALU_DEP_1)
	v_mul_f32_e32 v7, v7, v8
	s_wait_loadcnt 0x1
	v_cvt_f32_f16_e32 v2, v2
	s_wait_loadcnt 0x0
	v_cvt_f32_f16_e32 v3, v3
	v_dual_mul_f32 v17, v17, v84 :: v_dual_mul_f32 v2, v2, v3
	s_wait_dscnt 0x5
	s_delay_alu instid0(VALU_DEP_1) | instskip(SKIP_3) | instid1(VALU_DEP_3)
	v_fmac_f32_e32 v83, v17, v9
	v_cvt_f32_f16_e32 v9, v12
	v_cvt_f32_f16_e32 v12, v88
	s_wait_dscnt 0x4
	v_fmac_f32_e32 v83, v10, v14
	s_delay_alu instid0(VALU_DEP_2) | instskip(SKIP_1) | instid1(VALU_DEP_2)
	v_mul_f32_e32 v9, v9, v12
	s_wait_dscnt 0x3
	v_fmac_f32_e32 v83, v11, v13
	s_wait_dscnt 0x2
	s_delay_alu instid0(VALU_DEP_1) | instskip(SKIP_1) | instid1(VALU_DEP_1)
	v_fmac_f32_e32 v83, v9, v5
	s_wait_dscnt 0x1
	v_fmac_f32_e32 v83, v7, v6
	s_wait_dscnt 0x0
	s_delay_alu instid0(VALU_DEP_1) | instskip(NEXT) | instid1(VALU_DEP_1)
	v_fmac_f32_e32 v83, v2, v4
	v_mov_b32_e32 v86, v83
.LBB180_81:                             ;   in Loop: Header=BB180_53 Depth=1
	v_add_co_u32 v51, vcc_lo, v51, s10
	s_wait_alu 0xfffd
	v_add_co_ci_u32_e64 v52, null, s11, v52, vcc_lo
	v_add_co_u32 v53, vcc_lo, v53, s10
	s_wait_alu 0xfffd
	v_add_co_ci_u32_e64 v54, null, s11, v54, vcc_lo
	;; [unrolled: 3-line block ×27, first 2 shown]
	v_add_co_u32 v77, vcc_lo, v77, s10
	s_add_nc_u64 s[14:15], s[14:15], s[16:17]
	s_wait_alu 0xfffd
	v_add_co_ci_u32_e64 v78, null, s11, v78, vcc_lo
	v_add_co_u32 v79, vcc_lo, v79, s10
	s_wait_alu 0xfffe
	v_cmp_ge_i64_e64 s2, s[14:15], s[4:5]
	s_wait_alu 0xfffd
	v_add_co_ci_u32_e64 v80, null, s11, v80, vcc_lo
	v_add_co_u32 v81, vcc_lo, v81, s10
	s_wait_alu 0xfffd
	v_add_co_ci_u32_e64 v82, null, s11, v82, vcc_lo
	s_and_b32 vcc_lo, exec_lo, s2
	s_add_nc_u64 s[18:19], s[18:19], s[16:17]
	s_wait_alu 0xfffe
	s_cbranch_vccnz .LBB180_83
; %bb.82:                               ;   in Loop: Header=BB180_53 Depth=1
	v_mov_b32_e32 v83, v86
	s_branch .LBB180_53
.LBB180_83:
	v_and_b32_e32 v7, 0x3ff, v0
	v_bfe_u32 v1, v0, 10, 10
	v_bfe_u32 v0, v0, 5, 5
	s_mov_b32 s2, exec_lo
	s_delay_alu instid0(VALU_DEP_2) | instskip(NEXT) | instid1(VALU_DEP_2)
	v_mad_u32_u24 v3, v1, 33, v7
	v_dual_mov_b32 v1, 0 :: v_dual_add_nc_u32 v2, v0, v1
	s_delay_alu instid0(VALU_DEP_2)
	v_lshl_add_u32 v0, v3, 2, 0
	ds_store_b32 v0, v86
	ds_store_b32 v0, v1 offset:1056
	s_wait_dscnt 0x0
	s_barrier_signal -1
	s_barrier_wait -1
	global_inv scope:SCOPE_SE
	v_cmpx_gt_u32_e32 32, v2
	s_cbranch_execz .LBB180_103
; %bb.84:
	s_load_b64 s[2:3], s[0:1], 0x30
	v_and_b32_e32 v0, 31, v7
	s_delay_alu instid0(VALU_DEP_1)
	v_cmp_gt_u32_e32 vcc_lo, 8, v0
	v_mul_u32_u24_e32 v3, 33, v0
                                        ; implicit-def: $vgpr0
	s_and_saveexec_b32 s0, vcc_lo
	s_cbranch_execz .LBB180_86
; %bb.85:
	v_lshlrev_b32_e32 v0, 2, v2
	s_delay_alu instid0(VALU_DEP_2) | instskip(NEXT) | instid1(VALU_DEP_1)
	v_lshlrev_b32_e32 v1, 2, v3
	v_add3_u32 v0, 0, v0, v1
	ds_load_b32 v0, v0
.LBB180_86:
	s_or_b32 exec_lo, exec_lo, s0
	v_mbcnt_lo_u32_b32 v1, -1, 0
	s_mov_b32 s4, ttmp9
	s_mov_b32 s5, 0
	s_wait_alu 0xfffe
	s_lshl_b64 s[4:5], s[4:5], 5
	v_xor_b32_e32 v4, 4, v1
	v_xor_b32_e32 v5, 2, v1
	;; [unrolled: 1-line block ×3, first 2 shown]
	s_wait_kmcnt 0x0
	s_cmp_eq_u64 s[2:3], 0
	s_cselect_b32 s8, -1, 0
	v_cmp_gt_i32_e64 s0, 32, v4
	s_delay_alu instid0(VALU_DEP_1) | instskip(SKIP_1) | instid1(VALU_DEP_2)
	v_cndmask_b32_e64 v4, v1, v4, s0
	v_cmp_gt_i32_e64 s0, 32, v5
	v_lshlrev_b32_e32 v4, 2, v4
	s_wait_alu 0xf1ff
	s_delay_alu instid0(VALU_DEP_2)
	v_cndmask_b32_e64 v5, v1, v5, s0
	v_cmp_gt_i32_e64 s0, 32, v8
	s_wait_dscnt 0x0
	ds_bpermute_b32 v6, v4, v0
	v_lshlrev_b32_e32 v5, 2, v5
	s_wait_alu 0xf1ff
	v_cndmask_b32_e64 v1, v1, v8, s0
	v_cmp_ne_u32_e64 s0, 0, v7
	s_wait_dscnt 0x0
	v_add_f32_e32 v0, v0, v6
	ds_bpermute_b32 v6, v5, v0
	s_wait_dscnt 0x0
	v_add_f32_e32 v8, v0, v6
	v_lshlrev_b32_e32 v6, 2, v1
	s_wait_alu 0xfffe
	v_or_b32_e32 v0, s4, v2
	v_mov_b32_e32 v1, s5
	ds_bpermute_b32 v9, v6, v8
	v_cmp_le_i64_e64 s1, s[6:7], v[0:1]
	s_or_b32 s1, s0, s1
	s_wait_alu 0xfffe
	s_nor_b32 s1, s8, s1
	s_wait_dscnt 0x0
	v_add_f32_e32 v7, v8, v9
	s_wait_alu 0xfffe
	s_and_saveexec_b32 s9, s1
	s_cbranch_execz .LBB180_88
; %bb.87:
	v_lshlrev_b64_e32 v[0:1], 1, v[0:1]
	v_cvt_f16_f32_e32 v8, v7
	s_delay_alu instid0(VALU_DEP_2) | instskip(SKIP_1) | instid1(VALU_DEP_3)
	v_add_co_u32 v0, s1, s2, v0
	s_wait_alu 0xf1ff
	v_add_co_ci_u32_e64 v1, null, s3, v1, s1
	global_store_b16 v[0:1], v8, off
.LBB180_88:
	s_wait_alu 0xfffe
	s_or_b32 exec_lo, exec_lo, s9
	v_cmp_gt_u32_e64 s1, 24, v2
	s_and_b32 exec_lo, exec_lo, s1
	s_cbranch_execz .LBB180_103
; %bb.89:
	s_and_saveexec_b32 s1, vcc_lo
	s_cbranch_execz .LBB180_91
; %bb.90:
	v_lshlrev_b32_e32 v0, 2, v2
	v_lshlrev_b32_e32 v1, 2, v3
	s_delay_alu instid0(VALU_DEP_1)
	v_add3_u32 v0, 0, v0, v1
	ds_load_b32 v7, v0 offset:32
.LBB180_91:
	s_wait_alu 0xfffe
	s_or_b32 exec_lo, exec_lo, s1
	s_wait_dscnt 0x0
	ds_bpermute_b32 v0, v4, v7
	s_wait_dscnt 0x0
	v_add_f32_e32 v0, v7, v0
	ds_bpermute_b32 v1, v5, v0
	s_wait_dscnt 0x0
	v_dual_add_f32 v7, v0, v1 :: v_dual_add_nc_u32 v0, 8, v2
	ds_bpermute_b32 v8, v6, v7
	v_add_co_u32 v0, s1, s4, v0
	s_wait_alu 0xf1ff
	v_add_co_ci_u32_e64 v1, null, s5, 0, s1
	s_delay_alu instid0(VALU_DEP_1)
	v_cmp_le_i64_e64 s1, s[6:7], v[0:1]
	s_or_b32 s1, s0, s1
	s_wait_alu 0xfffe
	s_nor_b32 s1, s8, s1
	s_wait_dscnt 0x0
	v_add_f32_e32 v0, v7, v8
	s_wait_alu 0xfffe
	s_and_saveexec_b32 s9, s1
	s_cbranch_execz .LBB180_93
; %bb.92:
	v_add_co_u32 v7, s1, s4, v2
	s_wait_alu 0xf1ff
	v_add_co_ci_u32_e64 v8, null, s5, 0, s1
	v_cvt_f16_f32_e32 v1, v0
	s_delay_alu instid0(VALU_DEP_2) | instskip(NEXT) | instid1(VALU_DEP_1)
	v_lshlrev_b64_e32 v[7:8], 1, v[7:8]
	v_add_co_u32 v7, s1, s2, v7
	s_wait_alu 0xf1ff
	s_delay_alu instid0(VALU_DEP_2)
	v_add_co_ci_u32_e64 v8, null, s3, v8, s1
	global_store_b16 v[7:8], v1, off offset:16
.LBB180_93:
	s_wait_alu 0xfffe
	s_or_b32 exec_lo, exec_lo, s9
	v_cmp_gt_u32_e64 s1, 16, v2
	s_and_b32 exec_lo, exec_lo, s1
	s_cbranch_execz .LBB180_103
; %bb.94:
	s_and_saveexec_b32 s1, vcc_lo
	s_cbranch_execz .LBB180_96
; %bb.95:
	v_lshlrev_b32_e32 v0, 2, v2
	v_lshlrev_b32_e32 v1, 2, v3
	s_delay_alu instid0(VALU_DEP_1)
	v_add3_u32 v0, 0, v0, v1
	ds_load_b32 v0, v0 offset:64
.LBB180_96:
	s_wait_alu 0xfffe
	s_or_b32 exec_lo, exec_lo, s1
	s_wait_dscnt 0x0
	ds_bpermute_b32 v1, v4, v0
	s_wait_dscnt 0x0
	v_add_f32_e32 v0, v0, v1
	ds_bpermute_b32 v1, v5, v0
	s_wait_dscnt 0x0
	v_dual_add_f32 v7, v0, v1 :: v_dual_add_nc_u32 v0, 16, v2
	v_mov_b32_e32 v1, s5
	ds_bpermute_b32 v8, v6, v7
	v_or_b32_e32 v0, s4, v0
	s_delay_alu instid0(VALU_DEP_1)
	v_cmp_le_i64_e64 s1, s[6:7], v[0:1]
	s_or_b32 s1, s0, s1
	s_wait_alu 0xfffe
	s_nor_b32 s1, s8, s1
	s_wait_dscnt 0x0
	v_add_f32_e32 v0, v7, v8
	s_wait_alu 0xfffe
	s_and_saveexec_b32 s9, s1
	s_cbranch_execz .LBB180_98
; %bb.97:
	v_add_co_u32 v7, s1, s4, v2
	s_wait_alu 0xf1ff
	v_add_co_ci_u32_e64 v8, null, s5, 0, s1
	v_cvt_f16_f32_e32 v1, v0
	s_delay_alu instid0(VALU_DEP_2) | instskip(NEXT) | instid1(VALU_DEP_1)
	v_lshlrev_b64_e32 v[7:8], 1, v[7:8]
	v_add_co_u32 v7, s1, s2, v7
	s_wait_alu 0xf1ff
	s_delay_alu instid0(VALU_DEP_2)
	v_add_co_ci_u32_e64 v8, null, s3, v8, s1
	global_store_b16 v[7:8], v1, off offset:32
.LBB180_98:
	s_wait_alu 0xfffe
	s_or_b32 exec_lo, exec_lo, s9
	v_cmp_gt_u32_e64 s1, 8, v2
	s_and_b32 exec_lo, exec_lo, s1
	s_cbranch_execz .LBB180_103
; %bb.99:
	s_and_saveexec_b32 s1, vcc_lo
	s_cbranch_execz .LBB180_101
; %bb.100:
	v_lshlrev_b32_e32 v0, 2, v2
	v_lshlrev_b32_e32 v1, 2, v3
	s_delay_alu instid0(VALU_DEP_1)
	v_add3_u32 v0, 0, v0, v1
	ds_load_b32 v0, v0 offset:96
.LBB180_101:
	s_wait_alu 0xfffe
	s_or_b32 exec_lo, exec_lo, s1
	s_wait_dscnt 0x0
	ds_bpermute_b32 v1, v4, v0
	v_dual_mov_b32 v4, s5 :: v_dual_add_nc_u32 v3, 24, v2
	s_delay_alu instid0(VALU_DEP_1) | instskip(NEXT) | instid1(VALU_DEP_1)
	v_or_b32_e32 v3, s4, v3
	v_cmp_le_i64_e32 vcc_lo, s[6:7], v[3:4]
	s_or_b32 s0, s0, vcc_lo
	s_wait_dscnt 0x0
	v_add_f32_e32 v0, v0, v1
	s_wait_alu 0xfffe
	s_nor_b32 s0, s8, s0
	ds_bpermute_b32 v1, v5, v0
	s_wait_dscnt 0x0
	v_add_f32_e32 v0, v0, v1
	ds_bpermute_b32 v1, v6, v0
	s_wait_alu 0xfffe
	s_and_saveexec_b32 s1, s0
	s_wait_alu 0xfffe
	s_xor_b32 s1, exec_lo, s1
	s_cbranch_execz .LBB180_103
; %bb.102:
	v_add_co_u32 v2, s0, s4, v2
	s_wait_alu 0xf1ff
	v_add_co_ci_u32_e64 v3, null, s5, 0, s0
	s_wait_dscnt 0x0
	v_add_f32_e32 v4, v0, v1
	s_delay_alu instid0(VALU_DEP_2) | instskip(NEXT) | instid1(VALU_DEP_1)
	v_lshlrev_b64_e32 v[2:3], 1, v[2:3]
	v_add_co_u32 v0, vcc_lo, s2, v2
	s_wait_alu 0xfffd
	s_delay_alu instid0(VALU_DEP_2)
	v_add_co_ci_u32_e64 v1, null, s3, v3, vcc_lo
	v_cvt_f16_f32_e32 v2, v4
	global_store_b16 v[0:1], v2, off offset:48
.LBB180_103:
	s_endpgm
	.section	.rodata,"a",@progbits
	.p2align	6, 0x0
	.amdhsa_kernel _ZN2at6native12_GLOBAL__N_135GammaBetaBackwardCUDAKernelTemplateIN3c104HalfEfLj32ELj8ELj64ELb0ELb0ELb1EEEvllPKT_S7_PKT0_SA_PS5_SB_
		.amdhsa_group_segment_fixed_size 0
		.amdhsa_private_segment_fixed_size 0
		.amdhsa_kernarg_size 320
		.amdhsa_user_sgpr_count 2
		.amdhsa_user_sgpr_dispatch_ptr 0
		.amdhsa_user_sgpr_queue_ptr 0
		.amdhsa_user_sgpr_kernarg_segment_ptr 1
		.amdhsa_user_sgpr_dispatch_id 0
		.amdhsa_user_sgpr_private_segment_size 0
		.amdhsa_wavefront_size32 1
		.amdhsa_uses_dynamic_stack 0
		.amdhsa_enable_private_segment 0
		.amdhsa_system_sgpr_workgroup_id_x 1
		.amdhsa_system_sgpr_workgroup_id_y 1
		.amdhsa_system_sgpr_workgroup_id_z 0
		.amdhsa_system_sgpr_workgroup_info 0
		.amdhsa_system_vgpr_workitem_id 1
		.amdhsa_next_free_vgpr 92
		.amdhsa_next_free_sgpr 32
		.amdhsa_reserve_vcc 1
		.amdhsa_float_round_mode_32 0
		.amdhsa_float_round_mode_16_64 0
		.amdhsa_float_denorm_mode_32 3
		.amdhsa_float_denorm_mode_16_64 3
		.amdhsa_fp16_overflow 0
		.amdhsa_workgroup_processor_mode 1
		.amdhsa_memory_ordered 1
		.amdhsa_forward_progress 1
		.amdhsa_inst_pref_size 80
		.amdhsa_round_robin_scheduling 0
		.amdhsa_exception_fp_ieee_invalid_op 0
		.amdhsa_exception_fp_denorm_src 0
		.amdhsa_exception_fp_ieee_div_zero 0
		.amdhsa_exception_fp_ieee_overflow 0
		.amdhsa_exception_fp_ieee_underflow 0
		.amdhsa_exception_fp_ieee_inexact 0
		.amdhsa_exception_int_div_zero 0
	.end_amdhsa_kernel
	.section	.text._ZN2at6native12_GLOBAL__N_135GammaBetaBackwardCUDAKernelTemplateIN3c104HalfEfLj32ELj8ELj64ELb0ELb0ELb1EEEvllPKT_S7_PKT0_SA_PS5_SB_,"axG",@progbits,_ZN2at6native12_GLOBAL__N_135GammaBetaBackwardCUDAKernelTemplateIN3c104HalfEfLj32ELj8ELj64ELb0ELb0ELb1EEEvllPKT_S7_PKT0_SA_PS5_SB_,comdat
.Lfunc_end180:
	.size	_ZN2at6native12_GLOBAL__N_135GammaBetaBackwardCUDAKernelTemplateIN3c104HalfEfLj32ELj8ELj64ELb0ELb0ELb1EEEvllPKT_S7_PKT0_SA_PS5_SB_, .Lfunc_end180-_ZN2at6native12_GLOBAL__N_135GammaBetaBackwardCUDAKernelTemplateIN3c104HalfEfLj32ELj8ELj64ELb0ELb0ELb1EEEvllPKT_S7_PKT0_SA_PS5_SB_
                                        ; -- End function
	.set _ZN2at6native12_GLOBAL__N_135GammaBetaBackwardCUDAKernelTemplateIN3c104HalfEfLj32ELj8ELj64ELb0ELb0ELb1EEEvllPKT_S7_PKT0_SA_PS5_SB_.num_vgpr, 92
	.set _ZN2at6native12_GLOBAL__N_135GammaBetaBackwardCUDAKernelTemplateIN3c104HalfEfLj32ELj8ELj64ELb0ELb0ELb1EEEvllPKT_S7_PKT0_SA_PS5_SB_.num_agpr, 0
	.set _ZN2at6native12_GLOBAL__N_135GammaBetaBackwardCUDAKernelTemplateIN3c104HalfEfLj32ELj8ELj64ELb0ELb0ELb1EEEvllPKT_S7_PKT0_SA_PS5_SB_.numbered_sgpr, 32
	.set _ZN2at6native12_GLOBAL__N_135GammaBetaBackwardCUDAKernelTemplateIN3c104HalfEfLj32ELj8ELj64ELb0ELb0ELb1EEEvllPKT_S7_PKT0_SA_PS5_SB_.num_named_barrier, 0
	.set _ZN2at6native12_GLOBAL__N_135GammaBetaBackwardCUDAKernelTemplateIN3c104HalfEfLj32ELj8ELj64ELb0ELb0ELb1EEEvllPKT_S7_PKT0_SA_PS5_SB_.private_seg_size, 0
	.set _ZN2at6native12_GLOBAL__N_135GammaBetaBackwardCUDAKernelTemplateIN3c104HalfEfLj32ELj8ELj64ELb0ELb0ELb1EEEvllPKT_S7_PKT0_SA_PS5_SB_.uses_vcc, 1
	.set _ZN2at6native12_GLOBAL__N_135GammaBetaBackwardCUDAKernelTemplateIN3c104HalfEfLj32ELj8ELj64ELb0ELb0ELb1EEEvllPKT_S7_PKT0_SA_PS5_SB_.uses_flat_scratch, 0
	.set _ZN2at6native12_GLOBAL__N_135GammaBetaBackwardCUDAKernelTemplateIN3c104HalfEfLj32ELj8ELj64ELb0ELb0ELb1EEEvllPKT_S7_PKT0_SA_PS5_SB_.has_dyn_sized_stack, 0
	.set _ZN2at6native12_GLOBAL__N_135GammaBetaBackwardCUDAKernelTemplateIN3c104HalfEfLj32ELj8ELj64ELb0ELb0ELb1EEEvllPKT_S7_PKT0_SA_PS5_SB_.has_recursion, 0
	.set _ZN2at6native12_GLOBAL__N_135GammaBetaBackwardCUDAKernelTemplateIN3c104HalfEfLj32ELj8ELj64ELb0ELb0ELb1EEEvllPKT_S7_PKT0_SA_PS5_SB_.has_indirect_call, 0
	.section	.AMDGPU.csdata,"",@progbits
; Kernel info:
; codeLenInByte = 10180
; TotalNumSgprs: 34
; NumVgprs: 92
; ScratchSize: 0
; MemoryBound: 0
; FloatMode: 240
; IeeeMode: 1
; LDSByteSize: 0 bytes/workgroup (compile time only)
; SGPRBlocks: 0
; VGPRBlocks: 11
; NumSGPRsForWavesPerEU: 34
; NumVGPRsForWavesPerEU: 92
; Occupancy: 16
; WaveLimiterHint : 0
; COMPUTE_PGM_RSRC2:SCRATCH_EN: 0
; COMPUTE_PGM_RSRC2:USER_SGPR: 2
; COMPUTE_PGM_RSRC2:TRAP_HANDLER: 0
; COMPUTE_PGM_RSRC2:TGID_X_EN: 1
; COMPUTE_PGM_RSRC2:TGID_Y_EN: 1
; COMPUTE_PGM_RSRC2:TGID_Z_EN: 0
; COMPUTE_PGM_RSRC2:TIDIG_COMP_CNT: 1
	.section	.text._ZN2at6native12_GLOBAL__N_135GammaBetaBackwardCUDAKernelTemplateIN3c104HalfEfLj32ELj16ELj128ELb0ELb1ELb1EEEvllPKT_S7_PKT0_SA_PS5_SB_,"axG",@progbits,_ZN2at6native12_GLOBAL__N_135GammaBetaBackwardCUDAKernelTemplateIN3c104HalfEfLj32ELj16ELj128ELb0ELb1ELb1EEEvllPKT_S7_PKT0_SA_PS5_SB_,comdat
	.globl	_ZN2at6native12_GLOBAL__N_135GammaBetaBackwardCUDAKernelTemplateIN3c104HalfEfLj32ELj16ELj128ELb0ELb1ELb1EEEvllPKT_S7_PKT0_SA_PS5_SB_ ; -- Begin function _ZN2at6native12_GLOBAL__N_135GammaBetaBackwardCUDAKernelTemplateIN3c104HalfEfLj32ELj16ELj128ELb0ELb1ELb1EEEvllPKT_S7_PKT0_SA_PS5_SB_
	.p2align	8
	.type	_ZN2at6native12_GLOBAL__N_135GammaBetaBackwardCUDAKernelTemplateIN3c104HalfEfLj32ELj16ELj128ELb0ELb1ELb1EEEvllPKT_S7_PKT0_SA_PS5_SB_,@function
_ZN2at6native12_GLOBAL__N_135GammaBetaBackwardCUDAKernelTemplateIN3c104HalfEfLj32ELj16ELj128ELb0ELb1ELb1EEEvllPKT_S7_PKT0_SA_PS5_SB_: ; @_ZN2at6native12_GLOBAL__N_135GammaBetaBackwardCUDAKernelTemplateIN3c104HalfEfLj32ELj16ELj128ELb0ELb1ELb1EEEvllPKT_S7_PKT0_SA_PS5_SB_
; %bb.0:
	s_load_b128 s[4:7], s[0:1], 0x0
	s_lshl_b32 s12, ttmp7, 7
	s_mov_b32 s13, 0
	v_bfe_u32 v7, v0, 10, 10
	s_wait_kmcnt 0x0
	v_cmp_gt_i64_e64 s2, s[4:5], s[12:13]
	s_and_b32 vcc_lo, exec_lo, s2
	s_cbranch_vccnz .LBB181_2
; %bb.1:
	v_bfe_u32 v1, v0, 10, 10
	s_mov_b32 s2, s13
	v_and_b32_e32 v6, 0x3ff, v0
	v_mov_b32_e32 v12, 0
	s_and_not1_b32 vcc_lo, exec_lo, s2
	s_cbranch_vccz .LBB181_3
	s_branch .LBB181_10
.LBB181_2:
                                        ; implicit-def: $vgpr1
	v_and_b32_e32 v6, 0x3ff, v0
	v_mov_b32_e32 v12, 0
.LBB181_3:
	s_load_b32 s2, s[0:1], 0x4c
	v_dual_mov_b32 v1, 0 :: v_dual_lshlrev_b32 v0, 3, v7
	s_clause 0x2
	s_load_b32 s3, s[0:1], 0x44
	s_load_b128 s[8:11], s[0:1], 0x10
	s_load_b64 s[16:17], s[0:1], 0x28
	s_mov_b32 s15, 0
	v_dual_mov_b32 v8, 8 :: v_dual_mov_b32 v9, 4
	v_add_co_u32 v2, s14, v0, s12
	s_delay_alu instid0(VALU_DEP_1) | instskip(SKIP_1) | instid1(VALU_DEP_3)
	v_add_co_ci_u32_e64 v3, null, 0, 0, s14
	v_lshl_add_u32 v0, ttmp9, 5, v6
	v_mul_lo_u32 v12, s7, v2
	v_mad_co_u64_u32 v[4:5], null, s6, v2, 0
	s_delay_alu instid0(VALU_DEP_4) | instskip(NEXT) | instid1(VALU_DEP_4)
	v_mul_lo_u32 v14, s6, v3
	v_lshlrev_b64_e32 v[15:16], 1, v[0:1]
	v_dual_mov_b32 v10, 12 :: v_dual_mov_b32 v11, 16
	v_mov_b32_e32 v0, 24
	s_wait_kmcnt 0x0
	s_and_b32 s2, s2, 0xffff
	s_lshl_b32 s14, s3, 7
	v_mad_u32_u24 v13, v7, s2, v6
	v_add3_u32 v5, v5, v14, v12
	v_mov_b32_e32 v14, 28
	v_mov_b32_e32 v12, 0
	s_wait_alu 0xfffe
	s_mul_u64 s[18:19], s[6:7], s[14:15]
	v_and_b32_e32 v19, 31, v13
	v_lshlrev_b64_e32 v[4:5], 1, v[4:5]
	v_mov_b32_e32 v13, 20
	s_lshl_b64 s[18:19], s[18:19], 1
	s_lshl_b64 s[6:7], s[6:7], 1
	v_add_co_u32 v2, vcc_lo, v2, v19
	s_delay_alu instid0(VALU_DEP_1) | instskip(SKIP_3) | instid1(VALU_DEP_3)
	v_add_co_ci_u32_e64 v3, null, 0, v3, vcc_lo
	v_add_co_u32 v15, vcc_lo, v4, v15
	s_wait_alu 0xfffd
	v_add_co_ci_u32_e64 v16, null, v5, v16, vcc_lo
	v_lshlrev_b64_e32 v[17:18], 2, v[2:3]
	v_cmp_gt_u32_e64 s2, 8, v19
	s_delay_alu instid0(VALU_DEP_2) | instskip(SKIP_1) | instid1(VALU_DEP_3)
	v_add_co_u32 v4, vcc_lo, s16, v17
	s_wait_alu 0xfffd
	v_add_co_ci_u32_e64 v5, null, s17, v18, vcc_lo
	s_lshl_b64 s[16:17], s[14:15], 2
	s_branch .LBB181_6
.LBB181_4:                              ;   in Loop: Header=BB181_6 Depth=1
	s_or_b32 exec_lo, exec_lo, s20
.LBB181_5:                              ;   in Loop: Header=BB181_6 Depth=1
	s_wait_alu 0xfffe
	s_or_b32 exec_lo, exec_lo, s3
	v_add_co_u32 v18, vcc_lo, s8, v15
	s_wait_alu 0xfffd
	v_add_co_ci_u32_e64 v19, null, s9, v16, vcc_lo
	v_add_co_u32 v20, vcc_lo, s10, v15
	s_wait_alu 0xfffd
	v_add_co_ci_u32_e64 v21, null, s11, v16, vcc_lo
	;; [unrolled: 3-line block ×4, first 2 shown]
	global_load_u16 v28, v[18:19], off
	global_load_u16 v29, v[20:21], off
	;; [unrolled: 1-line block ×4, first 2 shown]
	v_add_co_u32 v18, vcc_lo, v22, s6
	s_wait_alu 0xfffd
	v_add_co_ci_u32_e64 v19, null, s7, v23, vcc_lo
	v_add_co_u32 v20, vcc_lo, v24, s6
	s_wait_alu 0xfffd
	v_add_co_ci_u32_e64 v21, null, s7, v25, vcc_lo
	;; [unrolled: 3-line block ×5, first 2 shown]
	global_load_u16 v32, v[18:19], off
	global_load_u16 v33, v[20:21], off
	;; [unrolled: 1-line block ×5, first 2 shown]
	v_add_co_u32 v18, vcc_lo, v24, s6
	s_wait_alu 0xfffd
	v_add_co_ci_u32_e64 v19, null, s7, v25, vcc_lo
	v_add_co_u32 v20, vcc_lo, v26, s6
	s_wait_alu 0xfffd
	v_add_co_ci_u32_e64 v21, null, s7, v27, vcc_lo
	;; [unrolled: 3-line block ×5, first 2 shown]
	global_load_u16 v37, v[18:19], off
	global_load_u16 v38, v[20:21], off
	;; [unrolled: 1-line block ×5, first 2 shown]
	v_add_co_u32 v18, vcc_lo, v24, s6
	s_wait_alu 0xfffd
	v_add_co_ci_u32_e64 v19, null, s7, v25, vcc_lo
	v_add_co_u32 v20, vcc_lo, v26, s6
	s_wait_alu 0xfffd
	v_add_co_ci_u32_e64 v21, null, s7, v27, vcc_lo
	global_load_u16 v18, v[18:19], off
	global_load_u16 v19, v[20:21], off
	s_wait_loadcnt 0x10
	ds_bpermute_b32 v20, v1, v17
	ds_bpermute_b32 v21, v9, v17
	;; [unrolled: 1-line block ×3, first 2 shown]
	v_add_co_u32 v4, vcc_lo, v4, s16
	s_add_nc_u64 s[12:13], s[12:13], s[14:15]
	s_wait_alu 0xfffd
	v_add_co_ci_u32_e64 v5, null, s17, v5, vcc_lo
	v_add_co_u32 v2, vcc_lo, v2, s14
	s_wait_alu 0xfffe
	v_cmp_lt_i64_e64 s3, s[12:13], s[4:5]
	s_wait_alu 0xfffd
	v_add_co_ci_u32_e64 v3, null, 0, v3, vcc_lo
	v_add_co_u32 v15, vcc_lo, v15, s18
	s_wait_alu 0xfffd
	v_add_co_ci_u32_e64 v16, null, s19, v16, vcc_lo
	s_and_b32 vcc_lo, exec_lo, s3
	s_wait_loadcnt 0xf
	v_cvt_f32_f16_e32 v24, v28
	s_wait_loadcnt 0xe
	v_cvt_f32_f16_e32 v25, v29
	;; [unrolled: 2-line block ×3, first 2 shown]
	ds_bpermute_b32 v28, v10, v17
	v_mul_f32_e32 v24, v24, v25
	s_wait_loadcnt 0xc
	v_cvt_f32_f16_e32 v25, v31
	s_wait_dscnt 0x3
	s_delay_alu instid0(VALU_DEP_2) | instskip(NEXT) | instid1(VALU_DEP_2)
	v_fmac_f32_e32 v12, v24, v20
	v_mul_f32_e32 v20, v27, v25
	ds_bpermute_b32 v25, v11, v17
	s_wait_dscnt 0x3
	v_fmac_f32_e32 v12, v20, v21
	s_wait_loadcnt 0xb
	v_cvt_f32_f16_e32 v29, v32
	s_wait_loadcnt 0xa
	v_cvt_f32_f16_e32 v24, v33
	;; [unrolled: 2-line block ×4, first 2 shown]
	v_mul_f32_e32 v20, v29, v24
	ds_bpermute_b32 v24, v13, v17
	s_wait_loadcnt 0x7
	v_cvt_f32_f16_e32 v29, v36
	s_wait_dscnt 0x3
	v_fmac_f32_e32 v12, v20, v26
	v_mul_f32_e32 v20, v27, v21
	ds_bpermute_b32 v26, v0, v17
	ds_bpermute_b32 v17, v14, v17
	s_wait_dscnt 0x4
	v_fmac_f32_e32 v12, v20, v28
	s_wait_loadcnt 0x6
	v_cvt_f32_f16_e32 v21, v37
	s_wait_loadcnt 0x5
	v_cvt_f32_f16_e32 v27, v38
	s_delay_alu instid0(VALU_DEP_2)
	v_mul_f32_e32 v20, v29, v21
	s_wait_loadcnt 0x4
	v_cvt_f32_f16_e32 v21, v22
	s_wait_loadcnt 0x3
	v_cvt_f32_f16_e32 v22, v23
	;; [unrolled: 2-line block ×3, first 2 shown]
	s_wait_dscnt 0x3
	v_fmac_f32_e32 v12, v20, v25
	v_mul_f32_e32 v20, v27, v21
	s_wait_loadcnt 0x1
	v_cvt_f32_f16_e32 v18, v18
	s_wait_loadcnt 0x0
	v_cvt_f32_f16_e32 v19, v19
	s_wait_dscnt 0x2
	v_fmac_f32_e32 v12, v20, v24
	v_mul_f32_e32 v20, v22, v23
	s_delay_alu instid0(VALU_DEP_3) | instskip(SKIP_1) | instid1(VALU_DEP_2)
	v_mul_f32_e32 v18, v18, v19
	s_wait_dscnt 0x1
	v_fmac_f32_e32 v12, v20, v26
	s_wait_dscnt 0x0
	s_delay_alu instid0(VALU_DEP_1)
	v_fmac_f32_e32 v12, v18, v17
	s_wait_alu 0xfffe
	s_cbranch_vccz .LBB181_9
.LBB181_6:                              ; =>This Inner Loop Header: Depth=1
	v_mov_b32_e32 v17, 0
	s_and_saveexec_b32 s3, s2
	s_cbranch_execz .LBB181_5
; %bb.7:                                ;   in Loop: Header=BB181_6 Depth=1
	v_mov_b32_e32 v17, 0
	s_mov_b32 s20, exec_lo
	v_cmpx_gt_i64_e64 s[4:5], v[2:3]
	s_cbranch_execz .LBB181_4
; %bb.8:                                ;   in Loop: Header=BB181_6 Depth=1
	global_load_b32 v17, v[4:5], off
	s_branch .LBB181_4
.LBB181_9:
	v_mov_b32_e32 v1, v7
.LBB181_10:
	s_load_b64 s[2:3], s[0:1], 0x30
	s_delay_alu instid0(VALU_DEP_1) | instskip(SKIP_3) | instid1(VALU_DEP_3)
	v_mad_u32_u24 v0, v1, 33, v6
	v_lshrrev_b32_e32 v2, 5, v6
	v_mov_b32_e32 v4, 0
	s_mov_b32 s0, exec_lo
	v_lshl_add_u32 v3, v0, 2, 0
	s_delay_alu instid0(VALU_DEP_3)
	v_add_nc_u32_e32 v0, v2, v1
	ds_store_b32 v3, v12
	ds_store_b32 v3, v4 offset:2112
	s_wait_dscnt 0x0
	s_barrier_signal -1
	s_barrier_wait -1
	global_inv scope:SCOPE_SE
	v_cmpx_gt_u32_e32 32, v0
	s_cbranch_execz .LBB181_20
; %bb.11:
	v_and_b32_e32 v1, 31, v6
	s_delay_alu instid0(VALU_DEP_1)
	v_cmp_gt_u32_e32 vcc_lo, 16, v1
	v_mul_u32_u24_e32 v2, 33, v1
                                        ; implicit-def: $vgpr1
	s_and_saveexec_b32 s0, vcc_lo
	s_cbranch_execz .LBB181_13
; %bb.12:
	v_lshlrev_b32_e32 v1, 2, v0
	s_delay_alu instid0(VALU_DEP_2) | instskip(NEXT) | instid1(VALU_DEP_1)
	v_lshlrev_b32_e32 v3, 2, v2
	v_add3_u32 v1, 0, v1, v3
	ds_load_b32 v1, v1
.LBB181_13:
	s_wait_alu 0xfffe
	s_or_b32 exec_lo, exec_lo, s0
	v_mbcnt_lo_u32_b32 v7, -1, 0
	s_mov_b32 s4, ttmp9
	s_wait_kmcnt 0x0
	s_cmp_lg_u64 s[2:3], 0
	s_mov_b32 s5, 0
	s_cselect_b32 s1, -1, 0
	v_xor_b32_e32 v3, 8, v7
	v_xor_b32_e32 v4, 4, v7
	;; [unrolled: 1-line block ×3, first 2 shown]
	s_wait_alu 0xfffe
	s_lshl_b64 s[4:5], s[4:5], 6
	s_wait_alu 0xfffe
	s_add_nc_u64 s[2:3], s[2:3], s[4:5]
	v_cmp_gt_i32_e64 s0, 32, v3
	s_wait_alu 0xf1ff
	s_delay_alu instid0(VALU_DEP_1) | instskip(SKIP_1) | instid1(VALU_DEP_2)
	v_cndmask_b32_e64 v3, v7, v3, s0
	v_cmp_gt_i32_e64 s0, 32, v4
	v_lshlrev_b32_e32 v3, 2, v3
	s_wait_alu 0xf1ff
	s_delay_alu instid0(VALU_DEP_2)
	v_cndmask_b32_e64 v4, v7, v4, s0
	s_wait_dscnt 0x0
	ds_bpermute_b32 v5, v3, v1
	s_wait_dscnt 0x0
	v_dual_add_f32 v1, v1, v5 :: v_dual_lshlrev_b32 v4, 2, v4
	v_xor_b32_e32 v5, 2, v7
	ds_bpermute_b32 v8, v4, v1
	v_cmp_gt_i32_e64 s0, 32, v5
	s_wait_alu 0xf1ff
	s_delay_alu instid0(VALU_DEP_1) | instskip(SKIP_1) | instid1(VALU_DEP_2)
	v_cndmask_b32_e64 v5, v7, v5, s0
	v_cmp_gt_i32_e64 s0, 32, v9
	v_lshlrev_b32_e32 v5, 2, v5
	s_wait_alu 0xf1ff
	s_delay_alu instid0(VALU_DEP_2) | instskip(SKIP_1) | instid1(VALU_DEP_2)
	v_cndmask_b32_e64 v7, v7, v9, s0
	v_cmp_eq_u32_e64 s0, 0, v6
	v_lshlrev_b32_e32 v7, 2, v7
	s_and_b32 s1, s0, s1
	s_wait_dscnt 0x0
	v_add_f32_e32 v1, v1, v8
	ds_bpermute_b32 v8, v5, v1
	s_wait_dscnt 0x0
	v_add_f32_e32 v1, v1, v8
	ds_bpermute_b32 v8, v7, v1
	s_wait_dscnt 0x0
	v_add_f32_e32 v6, v1, v8
	s_wait_alu 0xfffe
	s_and_saveexec_b32 s4, s1
	s_cbranch_execz .LBB181_15
; %bb.14:
	v_mov_b32_e32 v1, 0
	s_delay_alu instid0(VALU_DEP_1) | instskip(SKIP_1) | instid1(VALU_DEP_2)
	v_lshlrev_b64_e32 v[8:9], 1, v[0:1]
	v_cvt_f16_f32_e32 v1, v6
	v_add_co_u32 v8, s0, s2, v8
	s_wait_alu 0xf1ff
	s_delay_alu instid0(VALU_DEP_3)
	v_add_co_ci_u32_e64 v9, null, s3, v9, s0
	global_store_b16 v[8:9], v1, off
.LBB181_15:
	s_wait_alu 0xfffe
	s_or_b32 exec_lo, exec_lo, s4
	v_cmp_gt_u32_e64 s0, 16, v0
	s_and_b32 exec_lo, exec_lo, s0
	s_cbranch_execz .LBB181_20
; %bb.16:
	s_and_saveexec_b32 s0, vcc_lo
	s_cbranch_execz .LBB181_18
; %bb.17:
	v_lshlrev_b32_e32 v1, 2, v0
	v_lshlrev_b32_e32 v2, 2, v2
	s_delay_alu instid0(VALU_DEP_1)
	v_add3_u32 v1, 0, v1, v2
	ds_load_b32 v6, v1 offset:64
.LBB181_18:
	s_wait_alu 0xfffe
	s_or_b32 exec_lo, exec_lo, s0
	s_wait_dscnt 0x0
	ds_bpermute_b32 v1, v3, v6
	s_wait_dscnt 0x0
	v_add_f32_e32 v1, v6, v1
	ds_bpermute_b32 v2, v4, v1
	s_wait_dscnt 0x0
	v_add_f32_e32 v1, v1, v2
	;; [unrolled: 3-line block ×3, first 2 shown]
	ds_bpermute_b32 v3, v7, v2
	s_and_saveexec_b32 s0, s1
	s_wait_alu 0xfffe
	s_xor_b32 s0, exec_lo, s0
	s_cbranch_execz .LBB181_20
; %bb.19:
	s_wait_dscnt 0x0
	v_dual_mov_b32 v1, 0 :: v_dual_add_f32 v2, v2, v3
	s_delay_alu instid0(VALU_DEP_1) | instskip(NEXT) | instid1(VALU_DEP_2)
	v_lshlrev_b64_e32 v[0:1], 1, v[0:1]
	v_cvt_f16_f32_e32 v2, v2
	s_delay_alu instid0(VALU_DEP_2) | instskip(SKIP_1) | instid1(VALU_DEP_3)
	v_add_co_u32 v0, vcc_lo, s2, v0
	s_wait_alu 0xfffd
	v_add_co_ci_u32_e64 v1, null, s3, v1, vcc_lo
	global_store_b16 v[0:1], v2, off offset:32
.LBB181_20:
	s_endpgm
	.section	.rodata,"a",@progbits
	.p2align	6, 0x0
	.amdhsa_kernel _ZN2at6native12_GLOBAL__N_135GammaBetaBackwardCUDAKernelTemplateIN3c104HalfEfLj32ELj16ELj128ELb0ELb1ELb1EEEvllPKT_S7_PKT0_SA_PS5_SB_
		.amdhsa_group_segment_fixed_size 0
		.amdhsa_private_segment_fixed_size 0
		.amdhsa_kernarg_size 320
		.amdhsa_user_sgpr_count 2
		.amdhsa_user_sgpr_dispatch_ptr 0
		.amdhsa_user_sgpr_queue_ptr 0
		.amdhsa_user_sgpr_kernarg_segment_ptr 1
		.amdhsa_user_sgpr_dispatch_id 0
		.amdhsa_user_sgpr_private_segment_size 0
		.amdhsa_wavefront_size32 1
		.amdhsa_uses_dynamic_stack 0
		.amdhsa_enable_private_segment 0
		.amdhsa_system_sgpr_workgroup_id_x 1
		.amdhsa_system_sgpr_workgroup_id_y 1
		.amdhsa_system_sgpr_workgroup_id_z 0
		.amdhsa_system_sgpr_workgroup_info 0
		.amdhsa_system_vgpr_workitem_id 1
		.amdhsa_next_free_vgpr 40
		.amdhsa_next_free_sgpr 21
		.amdhsa_reserve_vcc 1
		.amdhsa_float_round_mode_32 0
		.amdhsa_float_round_mode_16_64 0
		.amdhsa_float_denorm_mode_32 3
		.amdhsa_float_denorm_mode_16_64 3
		.amdhsa_fp16_overflow 0
		.amdhsa_workgroup_processor_mode 1
		.amdhsa_memory_ordered 1
		.amdhsa_forward_progress 1
		.amdhsa_inst_pref_size 16
		.amdhsa_round_robin_scheduling 0
		.amdhsa_exception_fp_ieee_invalid_op 0
		.amdhsa_exception_fp_denorm_src 0
		.amdhsa_exception_fp_ieee_div_zero 0
		.amdhsa_exception_fp_ieee_overflow 0
		.amdhsa_exception_fp_ieee_underflow 0
		.amdhsa_exception_fp_ieee_inexact 0
		.amdhsa_exception_int_div_zero 0
	.end_amdhsa_kernel
	.section	.text._ZN2at6native12_GLOBAL__N_135GammaBetaBackwardCUDAKernelTemplateIN3c104HalfEfLj32ELj16ELj128ELb0ELb1ELb1EEEvllPKT_S7_PKT0_SA_PS5_SB_,"axG",@progbits,_ZN2at6native12_GLOBAL__N_135GammaBetaBackwardCUDAKernelTemplateIN3c104HalfEfLj32ELj16ELj128ELb0ELb1ELb1EEEvllPKT_S7_PKT0_SA_PS5_SB_,comdat
.Lfunc_end181:
	.size	_ZN2at6native12_GLOBAL__N_135GammaBetaBackwardCUDAKernelTemplateIN3c104HalfEfLj32ELj16ELj128ELb0ELb1ELb1EEEvllPKT_S7_PKT0_SA_PS5_SB_, .Lfunc_end181-_ZN2at6native12_GLOBAL__N_135GammaBetaBackwardCUDAKernelTemplateIN3c104HalfEfLj32ELj16ELj128ELb0ELb1ELb1EEEvllPKT_S7_PKT0_SA_PS5_SB_
                                        ; -- End function
	.set _ZN2at6native12_GLOBAL__N_135GammaBetaBackwardCUDAKernelTemplateIN3c104HalfEfLj32ELj16ELj128ELb0ELb1ELb1EEEvllPKT_S7_PKT0_SA_PS5_SB_.num_vgpr, 40
	.set _ZN2at6native12_GLOBAL__N_135GammaBetaBackwardCUDAKernelTemplateIN3c104HalfEfLj32ELj16ELj128ELb0ELb1ELb1EEEvllPKT_S7_PKT0_SA_PS5_SB_.num_agpr, 0
	.set _ZN2at6native12_GLOBAL__N_135GammaBetaBackwardCUDAKernelTemplateIN3c104HalfEfLj32ELj16ELj128ELb0ELb1ELb1EEEvllPKT_S7_PKT0_SA_PS5_SB_.numbered_sgpr, 21
	.set _ZN2at6native12_GLOBAL__N_135GammaBetaBackwardCUDAKernelTemplateIN3c104HalfEfLj32ELj16ELj128ELb0ELb1ELb1EEEvllPKT_S7_PKT0_SA_PS5_SB_.num_named_barrier, 0
	.set _ZN2at6native12_GLOBAL__N_135GammaBetaBackwardCUDAKernelTemplateIN3c104HalfEfLj32ELj16ELj128ELb0ELb1ELb1EEEvllPKT_S7_PKT0_SA_PS5_SB_.private_seg_size, 0
	.set _ZN2at6native12_GLOBAL__N_135GammaBetaBackwardCUDAKernelTemplateIN3c104HalfEfLj32ELj16ELj128ELb0ELb1ELb1EEEvllPKT_S7_PKT0_SA_PS5_SB_.uses_vcc, 1
	.set _ZN2at6native12_GLOBAL__N_135GammaBetaBackwardCUDAKernelTemplateIN3c104HalfEfLj32ELj16ELj128ELb0ELb1ELb1EEEvllPKT_S7_PKT0_SA_PS5_SB_.uses_flat_scratch, 0
	.set _ZN2at6native12_GLOBAL__N_135GammaBetaBackwardCUDAKernelTemplateIN3c104HalfEfLj32ELj16ELj128ELb0ELb1ELb1EEEvllPKT_S7_PKT0_SA_PS5_SB_.has_dyn_sized_stack, 0
	.set _ZN2at6native12_GLOBAL__N_135GammaBetaBackwardCUDAKernelTemplateIN3c104HalfEfLj32ELj16ELj128ELb0ELb1ELb1EEEvllPKT_S7_PKT0_SA_PS5_SB_.has_recursion, 0
	.set _ZN2at6native12_GLOBAL__N_135GammaBetaBackwardCUDAKernelTemplateIN3c104HalfEfLj32ELj16ELj128ELb0ELb1ELb1EEEvllPKT_S7_PKT0_SA_PS5_SB_.has_indirect_call, 0
	.section	.AMDGPU.csdata,"",@progbits
; Kernel info:
; codeLenInByte = 2024
; TotalNumSgprs: 23
; NumVgprs: 40
; ScratchSize: 0
; MemoryBound: 0
; FloatMode: 240
; IeeeMode: 1
; LDSByteSize: 0 bytes/workgroup (compile time only)
; SGPRBlocks: 0
; VGPRBlocks: 4
; NumSGPRsForWavesPerEU: 23
; NumVGPRsForWavesPerEU: 40
; Occupancy: 16
; WaveLimiterHint : 0
; COMPUTE_PGM_RSRC2:SCRATCH_EN: 0
; COMPUTE_PGM_RSRC2:USER_SGPR: 2
; COMPUTE_PGM_RSRC2:TRAP_HANDLER: 0
; COMPUTE_PGM_RSRC2:TGID_X_EN: 1
; COMPUTE_PGM_RSRC2:TGID_Y_EN: 1
; COMPUTE_PGM_RSRC2:TGID_Z_EN: 0
; COMPUTE_PGM_RSRC2:TIDIG_COMP_CNT: 1
	.section	.text._ZN2at6native12_GLOBAL__N_135GammaBetaBackwardCUDAKernelTemplateIN3c104HalfEfLj32ELj16ELj128ELb0ELb0ELb1EEEvllPKT_S7_PKT0_SA_PS5_SB_,"axG",@progbits,_ZN2at6native12_GLOBAL__N_135GammaBetaBackwardCUDAKernelTemplateIN3c104HalfEfLj32ELj16ELj128ELb0ELb0ELb1EEEvllPKT_S7_PKT0_SA_PS5_SB_,comdat
	.globl	_ZN2at6native12_GLOBAL__N_135GammaBetaBackwardCUDAKernelTemplateIN3c104HalfEfLj32ELj16ELj128ELb0ELb0ELb1EEEvllPKT_S7_PKT0_SA_PS5_SB_ ; -- Begin function _ZN2at6native12_GLOBAL__N_135GammaBetaBackwardCUDAKernelTemplateIN3c104HalfEfLj32ELj16ELj128ELb0ELb0ELb1EEEvllPKT_S7_PKT0_SA_PS5_SB_
	.p2align	8
	.type	_ZN2at6native12_GLOBAL__N_135GammaBetaBackwardCUDAKernelTemplateIN3c104HalfEfLj32ELj16ELj128ELb0ELb0ELb1EEEvllPKT_S7_PKT0_SA_PS5_SB_,@function
_ZN2at6native12_GLOBAL__N_135GammaBetaBackwardCUDAKernelTemplateIN3c104HalfEfLj32ELj16ELj128ELb0ELb0ELb1EEEvllPKT_S7_PKT0_SA_PS5_SB_: ; @_ZN2at6native12_GLOBAL__N_135GammaBetaBackwardCUDAKernelTemplateIN3c104HalfEfLj32ELj16ELj128ELb0ELb0ELb1EEEvllPKT_S7_PKT0_SA_PS5_SB_
; %bb.0:
	s_clause 0x1
	s_load_b256 s[4:11], s[0:1], 0x0
	s_load_b64 s[12:13], s[0:1], 0x28
	s_lshl_b32 s28, ttmp9, 5
	s_mov_b32 s15, 0
	s_or_b32 s14, s28, 31
	s_wait_kmcnt 0x0
	v_cmp_le_i64_e64 s2, s[6:7], s[14:15]
	s_lshl_b32 s14, ttmp7, 7
	s_wait_alu 0xfffe
	v_cmp_gt_i64_e64 s29, s[4:5], s[14:15]
	s_and_b32 vcc_lo, exec_lo, s2
	v_cndmask_b32_e64 v1, 0, 1, s29
	s_delay_alu instid0(VALU_DEP_1)
	v_cmp_ne_u32_e64 s2, 1, v1
	s_cbranch_vccz .LBB182_49
; %bb.1:
	v_mov_b32_e32 v86, 0
	s_and_b32 vcc_lo, exec_lo, s2
	s_cbranch_vccnz .LBB182_50
; %bb.2:
	v_bfe_u32 v20, v0, 10, 10
	v_dual_mov_b32 v1, 0 :: v_dual_and_b32 v22, 0x3ff, v0
	s_load_b32 s3, s[0:1], 0x44
	s_mov_b32 s17, 0
	s_delay_alu instid0(VALU_DEP_2) | instskip(NEXT) | instid1(VALU_DEP_2)
	v_lshlrev_b32_e32 v21, 3, v20
	v_dual_mov_b32 v3, v1 :: v_dual_add_nc_u32 v2, s28, v22
	s_mov_b32 s21, s17
	v_mov_b32_e32 v55, 0
	s_delay_alu instid0(VALU_DEP_3) | instskip(NEXT) | instid1(VALU_DEP_1)
	v_add_co_u32 v10, s2, v21, s14
	v_add_co_ci_u32_e64 v11, null, 0, 0, s2
	v_cmp_gt_i64_e64 s2, s[6:7], v[2:3]
	s_delay_alu instid0(VALU_DEP_3) | instskip(SKIP_1) | instid1(VALU_DEP_4)
	v_mul_lo_u32 v6, s7, v10
	v_mad_co_u64_u32 v[4:5], null, s6, v10, 0
	v_mul_lo_u32 v7, s6, v11
	v_add_co_u32 v8, vcc_lo, v10, 7
	s_delay_alu instid0(VALU_DEP_1) | instskip(SKIP_1) | instid1(VALU_DEP_3)
	v_add_co_ci_u32_e64 v9, null, 0, v11, vcc_lo
	v_lshlrev_b64_e32 v[18:19], 1, v[2:3]
	v_mul_lo_u32 v12, s7, v8
	s_wait_kmcnt 0x0
	s_lshl_b32 s20, s3, 7
	v_add3_u32 v5, v5, v7, v6
	v_mad_co_u64_u32 v[6:7], null, s6, v8, 0
	v_add_co_u32 v8, vcc_lo, v10, 6
	v_mul_lo_u32 v13, s6, v9
	s_wait_alu 0xfffd
	v_add_co_ci_u32_e64 v9, null, 0, v11, vcc_lo
	v_lshlrev_b64_e32 v[2:3], 1, v[4:5]
	v_mul_lo_u32 v14, s7, v8
	s_mul_u64 s[22:23], s[6:7], s[20:21]
	s_delay_alu instid0(VALU_DEP_3) | instskip(SKIP_1) | instid1(VALU_DEP_4)
	v_mul_lo_u32 v15, s6, v9
	v_mad_co_u64_u32 v[8:9], null, s6, v8, 0
	v_add_co_u32 v23, vcc_lo, s8, v2
	s_wait_alu 0xfffd
	v_add_co_ci_u32_e64 v24, null, s9, v3, vcc_lo
	v_add_co_u32 v25, vcc_lo, s10, v2
	v_add3_u32 v7, v7, v13, v12
	s_wait_alu 0xfffd
	v_add_co_ci_u32_e64 v26, null, s11, v3, vcc_lo
	v_add_co_u32 v12, vcc_lo, v10, 5
	v_add3_u32 v9, v9, v15, v14
	s_wait_alu 0xfffd
	v_add_co_ci_u32_e64 v13, null, 0, v11, vcc_lo
	v_lshlrev_b64_e32 v[2:3], 1, v[6:7]
	v_mul_lo_u32 v14, s7, v12
	v_lshlrev_b64_e32 v[6:7], 1, v[8:9]
	s_delay_alu instid0(VALU_DEP_4)
	v_mul_lo_u32 v13, s6, v13
	v_mad_co_u64_u32 v[8:9], null, s6, v12, 0
	v_add_co_u32 v27, vcc_lo, s8, v2
	s_wait_alu 0xfffd
	v_add_co_ci_u32_e64 v28, null, s9, v3, vcc_lo
	v_add_co_u32 v29, vcc_lo, s10, v2
	s_wait_alu 0xfffd
	v_add_co_ci_u32_e64 v30, null, s11, v3, vcc_lo
	v_add_co_u32 v31, vcc_lo, s8, v6
	v_add3_u32 v9, v9, v13, v14
	s_wait_alu 0xfffd
	v_add_co_ci_u32_e64 v32, null, s9, v7, vcc_lo
	v_add_co_u32 v12, vcc_lo, v10, 4
	v_add_co_u32 v33, s3, s10, v6
	s_wait_alu 0xfffd
	v_add_co_ci_u32_e64 v6, null, 0, v11, vcc_lo
	v_lshlrev_b64_e32 v[2:3], 1, v[8:9]
	v_add_co_u32 v8, vcc_lo, v10, 3
	s_wait_alu 0xfffd
	v_add_co_ci_u32_e64 v9, null, 0, v11, vcc_lo
	s_wait_alu 0xf1ff
	v_add_co_ci_u32_e64 v34, null, s11, v7, s3
	v_mul_lo_u32 v13, s7, v12
	v_mul_lo_u32 v14, s6, v6
	v_mad_co_u64_u32 v[6:7], null, s6, v12, 0
	v_mul_lo_u32 v12, s7, v8
	v_mul_lo_u32 v15, s6, v9
	v_mad_co_u64_u32 v[8:9], null, s6, v8, 0
	v_add_co_u32 v35, vcc_lo, s8, v2
	s_wait_alu 0xfffd
	v_add_co_ci_u32_e64 v36, null, s9, v3, vcc_lo
	v_add3_u32 v7, v7, v14, v13
	v_add_co_u32 v37, vcc_lo, s10, v2
	s_wait_alu 0xfffd
	v_add_co_ci_u32_e64 v38, null, s11, v3, vcc_lo
	v_add_co_u32 v10, vcc_lo, v10, 2
	v_add3_u32 v9, v9, v15, v12
	s_wait_alu 0xfffd
	v_add_co_ci_u32_e64 v11, null, 0, v11, vcc_lo
	v_lshlrev_b64_e32 v[2:3], 1, v[6:7]
	v_mul_lo_u32 v12, s7, v10
	v_lshlrev_b64_e32 v[6:7], 1, v[8:9]
	s_delay_alu instid0(VALU_DEP_4)
	v_mul_lo_u32 v11, s6, v11
	v_mad_co_u64_u32 v[8:9], null, s6, v10, 0
	v_add_co_u32 v39, vcc_lo, s8, v2
	s_wait_alu 0xfffd
	v_add_co_ci_u32_e64 v40, null, s9, v3, vcc_lo
	v_add_co_u32 v41, vcc_lo, s10, v2
	s_wait_alu 0xfffd
	v_add_co_ci_u32_e64 v42, null, s11, v3, vcc_lo
	;; [unrolled: 3-line block ×3, first 2 shown]
	v_add3_u32 v9, v9, v11, v12
	v_add_co_u32 v45, vcc_lo, s10, v6
	s_wait_alu 0xfffd
	v_add_co_ci_u32_e64 v46, null, s11, v7, vcc_lo
	v_add_co_u32 v4, vcc_lo, v4, s6
	s_wait_alu 0xfffd
	v_add_co_ci_u32_e64 v5, null, s7, v5, vcc_lo
	v_lshlrev_b64_e32 v[2:3], 1, v[8:9]
	s_add_nc_u64 s[18:19], s[0:1], 64
	s_lshl_b64 s[22:23], s[22:23], 1
	s_delay_alu instid0(VALU_DEP_2)
	v_lshlrev_b64_e32 v[4:5], 1, v[4:5]
	s_add_nc_u64 s[24:25], s[14:15], 0x7f
	s_mov_b64 s[26:27], s[14:15]
	v_add_co_u32 v47, vcc_lo, s8, v2
	s_wait_alu 0xfffd
	v_add_co_ci_u32_e64 v48, null, s9, v3, vcc_lo
	v_add_co_u32 v49, vcc_lo, s10, v2
	s_wait_alu 0xfffd
	v_add_co_ci_u32_e64 v50, null, s11, v3, vcc_lo
	;; [unrolled: 3-line block ×4, first 2 shown]
.LBB182_3:                              ; =>This Inner Loop Header: Depth=1
	v_cmp_ge_i64_e64 s3, s[24:25], s[4:5]
	v_add_co_u32 v56, s16, v21, s24
	s_wait_alu 0xf1ff
	v_add_co_ci_u32_e64 v57, null, 0, s25, s16
                                        ; implicit-def: $vgpr2_vgpr3_vgpr4_vgpr5_vgpr6_vgpr7_vgpr8_vgpr9
                                        ; implicit-def: $vgpr86
                                        ; implicit-def: $vgpr10_vgpr11_vgpr12_vgpr13_vgpr14_vgpr15_vgpr16_vgpr17
                                        ; implicit-def: $vgpr2
	s_and_b32 vcc_lo, exec_lo, s3
	s_mov_b32 s3, -1
	s_wait_alu 0xfffe
	s_cbranch_vccz .LBB182_25
; %bb.4:                                ;   in Loop: Header=BB182_3 Depth=1
	s_load_b32 s3, s[18:19], 0xc
	v_mov_b32_e32 v58, 0
	s_wait_kmcnt 0x0
	s_and_b32 s3, s3, 0xffff
	s_wait_alu 0xfffe
	v_mad_u32_u24 v2, v20, s3, v22
	s_mov_b32 s3, exec_lo
	s_delay_alu instid0(VALU_DEP_1) | instskip(NEXT) | instid1(VALU_DEP_1)
	v_and_b32_e32 v2, 31, v2
	v_cmpx_gt_u32_e32 8, v2
	s_cbranch_execz .LBB182_8
; %bb.5:                                ;   in Loop: Header=BB182_3 Depth=1
	v_add_co_u32 v2, vcc_lo, v56, v2
	s_wait_alu 0xfffd
	v_add_co_ci_u32_e64 v3, null, 0, v57, vcc_lo
	v_mov_b32_e32 v58, 0
	s_delay_alu instid0(VALU_DEP_3) | instskip(SKIP_1) | instid1(VALU_DEP_3)
	v_add_co_u32 v2, vcc_lo, 0xffffff81, v2
	s_wait_alu 0xfffd
	v_add_co_ci_u32_e64 v3, null, -1, v3, vcc_lo
	s_mov_b32 s16, exec_lo
	v_cmpx_gt_i64_e64 s[4:5], v[2:3]
	s_cbranch_execz .LBB182_7
; %bb.6:                                ;   in Loop: Header=BB182_3 Depth=1
	v_lshlrev_b64_e32 v[2:3], 2, v[2:3]
	s_delay_alu instid0(VALU_DEP_1) | instskip(SKIP_1) | instid1(VALU_DEP_2)
	v_add_co_u32 v2, vcc_lo, s12, v2
	s_wait_alu 0xfffd
	v_add_co_ci_u32_e64 v3, null, s13, v3, vcc_lo
	global_load_b32 v58, v[2:3], off
.LBB182_7:                              ;   in Loop: Header=BB182_3 Depth=1
	s_wait_alu 0xfffe
	s_or_b32 exec_lo, exec_lo, s16
.LBB182_8:                              ;   in Loop: Header=BB182_3 Depth=1
	s_wait_alu 0xfffe
	s_or_b32 exec_lo, exec_lo, s3
	v_add_co_u32 v9, vcc_lo, 0xffffff81, v56
	s_wait_alu 0xfffd
	v_add_co_ci_u32_e64 v10, null, -1, v57, vcc_lo
	v_mov_b32_e32 v8, v1
	v_dual_mov_b32 v2, v1 :: v_dual_mov_b32 v3, v1
	v_dual_mov_b32 v4, v1 :: v_dual_mov_b32 v5, v1
	;; [unrolled: 1-line block ×3, first 2 shown]
	v_cmp_gt_i64_e32 vcc_lo, s[4:5], v[9:10]
	s_delay_alu instid0(VALU_DEP_3) | instskip(NEXT) | instid1(VALU_DEP_3)
	v_dual_mov_b32 v17, v8 :: v_dual_mov_b32 v14, v5
	v_dual_mov_b32 v15, v6 :: v_dual_mov_b32 v16, v7
	;; [unrolled: 1-line block ×4, first 2 shown]
	v_mov_b32_e32 v9, v8
	v_mov_b32_e32 v8, v7
	;; [unrolled: 1-line block ×8, first 2 shown]
	s_and_b32 s16, s2, vcc_lo
	s_wait_alu 0xfffe
	s_and_saveexec_b32 s3, s16
	s_cbranch_execz .LBB182_10
; %bb.9:                                ;   in Loop: Header=BB182_3 Depth=1
	v_add_co_u32 v2, vcc_lo, v23, v18
	s_wait_alu 0xfffd
	v_add_co_ci_u32_e64 v3, null, v24, v19, vcc_lo
	v_add_co_u32 v4, vcc_lo, v25, v18
	s_wait_alu 0xfffd
	v_add_co_ci_u32_e64 v5, null, v26, v19, vcc_lo
	global_load_u16 v2, v[2:3], off
	global_load_u16 v10, v[4:5], off
	v_dual_mov_b32 v3, v1 :: v_dual_mov_b32 v4, v1
	v_dual_mov_b32 v5, v1 :: v_dual_mov_b32 v6, v1
	;; [unrolled: 1-line block ×6, first 2 shown]
	v_mov_b32_e32 v15, v1
	v_mov_b32_e32 v17, v1
	s_wait_loadcnt 0x1
	v_cvt_f32_f16_e32 v2, v2
	s_wait_loadcnt 0x0
	v_cvt_f32_f16_e32 v10, v10
.LBB182_10:                             ;   in Loop: Header=BB182_3 Depth=1
	s_wait_alu 0xfffe
	s_or_b32 exec_lo, exec_lo, s3
	v_add_co_u32 v59, vcc_lo, 0xffffff82, v56
	s_wait_alu 0xfffd
	v_add_co_ci_u32_e64 v60, null, -1, v57, vcc_lo
	s_delay_alu instid0(VALU_DEP_1)
	v_cmp_gt_i64_e32 vcc_lo, s[4:5], v[59:60]
	s_and_b32 s16, s2, vcc_lo
	s_wait_alu 0xfffe
	s_and_saveexec_b32 s3, s16
	s_cbranch_execz .LBB182_12
; %bb.11:                               ;   in Loop: Header=BB182_3 Depth=1
	v_add_co_u32 v59, vcc_lo, v51, v18
	s_wait_alu 0xfffd
	v_add_co_ci_u32_e64 v60, null, v52, v19, vcc_lo
	v_add_co_u32 v61, vcc_lo, v53, v18
	s_wait_alu 0xfffd
	v_add_co_ci_u32_e64 v62, null, v54, v19, vcc_lo
	global_load_u16 v3, v[59:60], off
	global_load_u16 v11, v[61:62], off
	s_wait_loadcnt 0x1
	v_cvt_f32_f16_e32 v3, v3
	s_wait_loadcnt 0x0
	v_cvt_f32_f16_e32 v11, v11
.LBB182_12:                             ;   in Loop: Header=BB182_3 Depth=1
	s_wait_alu 0xfffe
	s_or_b32 exec_lo, exec_lo, s3
	v_add_co_u32 v59, vcc_lo, 0xffffff83, v56
	s_wait_alu 0xfffd
	v_add_co_ci_u32_e64 v60, null, -1, v57, vcc_lo
	s_delay_alu instid0(VALU_DEP_1)
	v_cmp_gt_i64_e32 vcc_lo, s[4:5], v[59:60]
	s_and_b32 s16, s2, vcc_lo
	s_wait_alu 0xfffe
	s_and_saveexec_b32 s3, s16
	s_cbranch_execz .LBB182_14
; %bb.13:                               ;   in Loop: Header=BB182_3 Depth=1
	v_add_co_u32 v59, vcc_lo, v47, v18
	s_wait_alu 0xfffd
	v_add_co_ci_u32_e64 v60, null, v48, v19, vcc_lo
	v_add_co_u32 v61, vcc_lo, v49, v18
	s_wait_alu 0xfffd
	v_add_co_ci_u32_e64 v62, null, v50, v19, vcc_lo
	global_load_u16 v4, v[59:60], off
	global_load_u16 v12, v[61:62], off
	s_wait_loadcnt 0x1
	v_cvt_f32_f16_e32 v4, v4
	s_wait_loadcnt 0x0
	v_cvt_f32_f16_e32 v12, v12
.LBB182_14:                             ;   in Loop: Header=BB182_3 Depth=1
	;; [unrolled: 25-line block ×7, first 2 shown]
	s_wait_alu 0xfffe
	s_or_b32 exec_lo, exec_lo, s3
	s_wait_loadcnt 0x0
	ds_bpermute_b32 v59, v1, v58
	ds_bpermute_b32 v60, v1, v58 offset:4
	ds_bpermute_b32 v61, v1, v58 offset:8
	v_dual_mul_f32 v2, v10, v2 :: v_dual_mul_f32 v3, v11, v3
	ds_bpermute_b32 v10, v1, v58 offset:12
	ds_bpermute_b32 v11, v1, v58 offset:16
	v_mul_f32_e32 v6, v14, v6
	s_mov_b32 s3, 0
	s_wait_dscnt 0x4
	v_fma_f32 v86, v2, v59, v55
	v_mul_f32_e32 v2, v12, v4
	ds_bpermute_b32 v4, v1, v58 offset:20
	s_wait_dscnt 0x4
	v_dual_fmac_f32 v86, v3, v60 :: v_dual_mul_f32 v3, v13, v5
	ds_bpermute_b32 v5, v1, v58 offset:24
	s_wait_dscnt 0x4
	v_fmac_f32_e32 v86, v2, v61
	ds_bpermute_b32 v2, v1, v58 offset:28
	s_wait_dscnt 0x4
	v_fmac_f32_e32 v86, v3, v10
	v_mul_f32_e32 v3, v15, v7
	s_wait_dscnt 0x3
	s_delay_alu instid0(VALU_DEP_2) | instskip(SKIP_1) | instid1(VALU_DEP_1)
	v_fmac_f32_e32 v86, v6, v11
	s_wait_dscnt 0x2
	v_fmac_f32_e32 v86, v3, v4
	v_mul_f32_e32 v3, v16, v8
	s_wait_dscnt 0x1
	s_delay_alu instid0(VALU_DEP_1)
	v_fmac_f32_e32 v86, v3, v5
.LBB182_25:                             ;   in Loop: Header=BB182_3 Depth=1
	s_wait_alu 0xfffe
	s_and_b32 vcc_lo, exec_lo, s3
	s_wait_alu 0xfffe
	s_cbranch_vccz .LBB182_40
; %bb.26:                               ;   in Loop: Header=BB182_3 Depth=1
	s_load_b32 s3, s[18:19], 0x0
	v_mov_b32_e32 v58, 0
	s_wait_kmcnt 0x0
	s_cmp_lt_u32 ttmp9, s3
	s_cselect_b32 s16, 12, 18
	s_wait_alu 0xfffe
	s_add_nc_u64 s[30:31], s[18:19], s[16:17]
	s_load_u16 s3, s[30:31], 0x0
	s_wait_dscnt 0x0
	s_wait_kmcnt 0x0
	v_mad_u32_u24 v2, v20, s3, v22
	s_mov_b32 s3, exec_lo
	s_delay_alu instid0(VALU_DEP_1) | instskip(NEXT) | instid1(VALU_DEP_1)
	v_and_b32_e32 v2, 31, v2
	v_cmpx_gt_u32_e32 8, v2
	s_cbranch_execz .LBB182_30
; %bb.27:                               ;   in Loop: Header=BB182_3 Depth=1
	v_add_co_u32 v2, vcc_lo, v56, v2
	s_wait_alu 0xfffd
	v_add_co_ci_u32_e64 v3, null, 0, v57, vcc_lo
	v_mov_b32_e32 v58, 0
	s_delay_alu instid0(VALU_DEP_3) | instskip(SKIP_1) | instid1(VALU_DEP_3)
	v_add_co_u32 v2, vcc_lo, 0xffffff81, v2
	s_wait_alu 0xfffd
	v_add_co_ci_u32_e64 v3, null, -1, v3, vcc_lo
	s_mov_b32 s16, exec_lo
	v_cmpx_gt_i64_e64 s[4:5], v[2:3]
	s_cbranch_execz .LBB182_29
; %bb.28:                               ;   in Loop: Header=BB182_3 Depth=1
	v_lshlrev_b64_e32 v[2:3], 2, v[2:3]
	s_delay_alu instid0(VALU_DEP_1) | instskip(SKIP_1) | instid1(VALU_DEP_2)
	v_add_co_u32 v2, vcc_lo, s12, v2
	s_wait_alu 0xfffd
	v_add_co_ci_u32_e64 v3, null, s13, v3, vcc_lo
	global_load_b32 v58, v[2:3], off
.LBB182_29:                             ;   in Loop: Header=BB182_3 Depth=1
	s_wait_alu 0xfffe
	s_or_b32 exec_lo, exec_lo, s16
.LBB182_30:                             ;   in Loop: Header=BB182_3 Depth=1
	s_wait_alu 0xfffe
	s_or_b32 exec_lo, exec_lo, s3
	v_mov_b32_e32 v8, v1
	v_dual_mov_b32 v2, v1 :: v_dual_mov_b32 v3, v1
	v_dual_mov_b32 v4, v1 :: v_dual_mov_b32 v5, v1
	;; [unrolled: 1-line block ×3, first 2 shown]
	s_delay_alu instid0(VALU_DEP_4) | instskip(NEXT) | instid1(VALU_DEP_3)
	v_mov_b32_e32 v17, v8
	v_dual_mov_b32 v13, v4 :: v_dual_mov_b32 v12, v3
	s_delay_alu instid0(VALU_DEP_3) | instskip(NEXT) | instid1(VALU_DEP_4)
	v_dual_mov_b32 v15, v6 :: v_dual_mov_b32 v14, v5
	v_dual_mov_b32 v16, v7 :: v_dual_mov_b32 v11, v2
	v_dual_mov_b32 v10, v1 :: v_dual_mov_b32 v9, v8
	v_mov_b32_e32 v8, v7
	v_mov_b32_e32 v7, v6
	;; [unrolled: 1-line block ×7, first 2 shown]
	s_and_saveexec_b32 s3, s2
	s_cbranch_execnz .LBB182_42
; %bb.31:                               ;   in Loop: Header=BB182_3 Depth=1
	s_wait_alu 0xfffe
	s_or_b32 exec_lo, exec_lo, s3
	s_and_saveexec_b32 s3, s2
	s_cbranch_execnz .LBB182_43
.LBB182_32:                             ;   in Loop: Header=BB182_3 Depth=1
	s_wait_alu 0xfffe
	s_or_b32 exec_lo, exec_lo, s3
	s_and_saveexec_b32 s3, s2
	s_cbranch_execnz .LBB182_44
.LBB182_33:                             ;   in Loop: Header=BB182_3 Depth=1
	s_wait_alu 0xfffe
	s_or_b32 exec_lo, exec_lo, s3
	s_and_saveexec_b32 s3, s2
	s_cbranch_execnz .LBB182_45
.LBB182_34:                             ;   in Loop: Header=BB182_3 Depth=1
	s_wait_alu 0xfffe
	s_or_b32 exec_lo, exec_lo, s3
	s_and_saveexec_b32 s3, s2
	s_cbranch_execnz .LBB182_46
.LBB182_35:                             ;   in Loop: Header=BB182_3 Depth=1
	s_wait_alu 0xfffe
	s_or_b32 exec_lo, exec_lo, s3
	s_and_saveexec_b32 s3, s2
	s_cbranch_execnz .LBB182_47
.LBB182_36:                             ;   in Loop: Header=BB182_3 Depth=1
	s_wait_alu 0xfffe
	s_or_b32 exec_lo, exec_lo, s3
	s_and_saveexec_b32 s3, s2
	s_cbranch_execnz .LBB182_48
.LBB182_37:                             ;   in Loop: Header=BB182_3 Depth=1
	s_wait_alu 0xfffe
	s_or_b32 exec_lo, exec_lo, s3
	s_and_saveexec_b32 s3, s2
	s_cbranch_execz .LBB182_39
.LBB182_38:                             ;   in Loop: Header=BB182_3 Depth=1
	v_add_co_u32 v56, vcc_lo, v27, v18
	s_wait_alu 0xfffd
	v_add_co_ci_u32_e64 v57, null, v28, v19, vcc_lo
	v_add_co_u32 v59, vcc_lo, v29, v18
	s_wait_alu 0xfffd
	v_add_co_ci_u32_e64 v60, null, v30, v19, vcc_lo
	global_load_u16 v9, v[56:57], off
	global_load_u16 v17, v[59:60], off
	s_wait_loadcnt 0x1
	v_cvt_f32_f16_e32 v9, v9
	s_wait_loadcnt 0x0
	v_cvt_f32_f16_e32 v17, v17
.LBB182_39:                             ;   in Loop: Header=BB182_3 Depth=1
	s_wait_alu 0xfffe
	s_or_b32 exec_lo, exec_lo, s3
	s_wait_loadcnt 0x0
	ds_bpermute_b32 v56, v1, v58
	ds_bpermute_b32 v57, v1, v58 offset:4
	ds_bpermute_b32 v59, v1, v58 offset:8
	v_dual_mul_f32 v2, v10, v2 :: v_dual_mul_f32 v3, v11, v3
	ds_bpermute_b32 v10, v1, v58 offset:12
	ds_bpermute_b32 v11, v1, v58 offset:16
	s_wait_dscnt 0x4
	v_fmac_f32_e32 v55, v2, v56
	v_mul_f32_e32 v2, v12, v4
	ds_bpermute_b32 v4, v1, v58 offset:20
	s_wait_dscnt 0x4
	v_fmac_f32_e32 v55, v3, v57
	v_mul_f32_e32 v3, v13, v5
	;; [unrolled: 4-line block ×3, first 2 shown]
	s_wait_dscnt 0x3
	s_delay_alu instid0(VALU_DEP_2) | instskip(SKIP_2) | instid1(VALU_DEP_2)
	v_fmac_f32_e32 v55, v3, v10
	v_mul_f32_e32 v3, v15, v7
	s_wait_dscnt 0x2
	v_fmac_f32_e32 v55, v2, v11
	ds_bpermute_b32 v2, v1, v58 offset:28
	s_wait_dscnt 0x2
	v_fmac_f32_e32 v55, v3, v4
	v_mul_f32_e32 v3, v16, v8
	s_wait_dscnt 0x1
	s_delay_alu instid0(VALU_DEP_1) | instskip(NEXT) | instid1(VALU_DEP_1)
	v_fmac_f32_e32 v55, v3, v5
	v_mov_b32_e32 v86, v55
.LBB182_40:                             ;   in Loop: Header=BB182_3 Depth=1
	v_add_co_u32 v23, vcc_lo, v23, s22
	s_wait_alu 0xfffd
	v_add_co_ci_u32_e64 v24, null, s23, v24, vcc_lo
	v_add_co_u32 v25, vcc_lo, v25, s22
	s_wait_alu 0xfffd
	v_add_co_ci_u32_e64 v26, null, s23, v26, vcc_lo
	;; [unrolled: 3-line block ×13, first 2 shown]
	v_add_co_u32 v49, vcc_lo, v49, s22
	v_mul_f32_e32 v3, v9, v17
	s_add_nc_u64 s[26:27], s[26:27], s[20:21]
	s_wait_alu 0xfffd
	v_add_co_ci_u32_e64 v50, null, s23, v50, vcc_lo
	v_add_co_u32 v51, vcc_lo, v51, s22
	s_wait_alu 0xfffe
	v_cmp_lt_i64_e64 s3, s[26:27], s[4:5]
	s_wait_alu 0xfffd
	v_add_co_ci_u32_e64 v52, null, s23, v52, vcc_lo
	v_add_co_u32 v53, vcc_lo, v53, s22
	s_wait_dscnt 0x0
	v_fmac_f32_e32 v86, v3, v2
	s_wait_alu 0xfffd
	v_add_co_ci_u32_e64 v54, null, s23, v54, vcc_lo
	s_and_b32 vcc_lo, exec_lo, s3
	s_add_nc_u64 s[24:25], s[24:25], s[20:21]
	s_wait_alu 0xfffe
	s_cbranch_vccz .LBB182_50
; %bb.41:                               ;   in Loop: Header=BB182_3 Depth=1
	v_mov_b32_e32 v55, v86
	s_branch .LBB182_3
.LBB182_42:                             ;   in Loop: Header=BB182_3 Depth=1
	v_add_co_u32 v2, vcc_lo, v23, v18
	s_wait_alu 0xfffd
	v_add_co_ci_u32_e64 v3, null, v24, v19, vcc_lo
	v_add_co_u32 v4, vcc_lo, v25, v18
	s_wait_alu 0xfffd
	v_add_co_ci_u32_e64 v5, null, v26, v19, vcc_lo
	global_load_u16 v2, v[2:3], off
	global_load_u16 v10, v[4:5], off
	v_dual_mov_b32 v3, v1 :: v_dual_mov_b32 v4, v1
	v_dual_mov_b32 v5, v1 :: v_dual_mov_b32 v6, v1
	v_dual_mov_b32 v7, v1 :: v_dual_mov_b32 v8, v1
	v_dual_mov_b32 v9, v1 :: v_dual_mov_b32 v12, v1
	v_dual_mov_b32 v11, v1 :: v_dual_mov_b32 v14, v1
	v_dual_mov_b32 v13, v1 :: v_dual_mov_b32 v16, v1
	v_mov_b32_e32 v15, v1
	v_mov_b32_e32 v17, v1
	s_wait_loadcnt 0x1
	v_cvt_f32_f16_e32 v2, v2
	s_wait_loadcnt 0x0
	v_cvt_f32_f16_e32 v10, v10
	s_wait_alu 0xfffe
	s_or_b32 exec_lo, exec_lo, s3
	s_and_saveexec_b32 s3, s2
	s_cbranch_execz .LBB182_32
.LBB182_43:                             ;   in Loop: Header=BB182_3 Depth=1
	v_add_co_u32 v56, vcc_lo, v51, v18
	s_wait_alu 0xfffd
	v_add_co_ci_u32_e64 v57, null, v52, v19, vcc_lo
	v_add_co_u32 v59, vcc_lo, v53, v18
	s_wait_alu 0xfffd
	v_add_co_ci_u32_e64 v60, null, v54, v19, vcc_lo
	global_load_u16 v3, v[56:57], off
	global_load_u16 v11, v[59:60], off
	s_wait_loadcnt 0x1
	v_cvt_f32_f16_e32 v3, v3
	s_wait_loadcnt 0x0
	v_cvt_f32_f16_e32 v11, v11
	s_wait_alu 0xfffe
	s_or_b32 exec_lo, exec_lo, s3
	s_and_saveexec_b32 s3, s2
	s_cbranch_execz .LBB182_33
.LBB182_44:                             ;   in Loop: Header=BB182_3 Depth=1
	v_add_co_u32 v56, vcc_lo, v47, v18
	s_wait_alu 0xfffd
	v_add_co_ci_u32_e64 v57, null, v48, v19, vcc_lo
	v_add_co_u32 v59, vcc_lo, v49, v18
	s_wait_alu 0xfffd
	v_add_co_ci_u32_e64 v60, null, v50, v19, vcc_lo
	global_load_u16 v4, v[56:57], off
	global_load_u16 v12, v[59:60], off
	s_wait_loadcnt 0x1
	v_cvt_f32_f16_e32 v4, v4
	s_wait_loadcnt 0x0
	v_cvt_f32_f16_e32 v12, v12
	s_wait_alu 0xfffe
	s_or_b32 exec_lo, exec_lo, s3
	s_and_saveexec_b32 s3, s2
	s_cbranch_execz .LBB182_34
.LBB182_45:                             ;   in Loop: Header=BB182_3 Depth=1
	v_add_co_u32 v56, vcc_lo, v43, v18
	s_wait_alu 0xfffd
	v_add_co_ci_u32_e64 v57, null, v44, v19, vcc_lo
	v_add_co_u32 v59, vcc_lo, v45, v18
	s_wait_alu 0xfffd
	v_add_co_ci_u32_e64 v60, null, v46, v19, vcc_lo
	global_load_u16 v5, v[56:57], off
	global_load_u16 v13, v[59:60], off
	s_wait_loadcnt 0x1
	v_cvt_f32_f16_e32 v5, v5
	s_wait_loadcnt 0x0
	v_cvt_f32_f16_e32 v13, v13
	s_wait_alu 0xfffe
	s_or_b32 exec_lo, exec_lo, s3
	s_and_saveexec_b32 s3, s2
	s_cbranch_execz .LBB182_35
.LBB182_46:                             ;   in Loop: Header=BB182_3 Depth=1
	v_add_co_u32 v56, vcc_lo, v39, v18
	s_wait_alu 0xfffd
	v_add_co_ci_u32_e64 v57, null, v40, v19, vcc_lo
	v_add_co_u32 v59, vcc_lo, v41, v18
	s_wait_alu 0xfffd
	v_add_co_ci_u32_e64 v60, null, v42, v19, vcc_lo
	global_load_u16 v6, v[56:57], off
	global_load_u16 v14, v[59:60], off
	s_wait_loadcnt 0x1
	v_cvt_f32_f16_e32 v6, v6
	s_wait_loadcnt 0x0
	v_cvt_f32_f16_e32 v14, v14
	s_wait_alu 0xfffe
	s_or_b32 exec_lo, exec_lo, s3
	s_and_saveexec_b32 s3, s2
	s_cbranch_execz .LBB182_36
.LBB182_47:                             ;   in Loop: Header=BB182_3 Depth=1
	v_add_co_u32 v56, vcc_lo, v35, v18
	s_wait_alu 0xfffd
	v_add_co_ci_u32_e64 v57, null, v36, v19, vcc_lo
	v_add_co_u32 v59, vcc_lo, v37, v18
	s_wait_alu 0xfffd
	v_add_co_ci_u32_e64 v60, null, v38, v19, vcc_lo
	global_load_u16 v7, v[56:57], off
	global_load_u16 v15, v[59:60], off
	s_wait_loadcnt 0x1
	v_cvt_f32_f16_e32 v7, v7
	s_wait_loadcnt 0x0
	v_cvt_f32_f16_e32 v15, v15
	s_wait_alu 0xfffe
	s_or_b32 exec_lo, exec_lo, s3
	s_and_saveexec_b32 s3, s2
	s_cbranch_execz .LBB182_37
.LBB182_48:                             ;   in Loop: Header=BB182_3 Depth=1
	v_add_co_u32 v56, vcc_lo, v31, v18
	s_wait_alu 0xfffd
	v_add_co_ci_u32_e64 v57, null, v32, v19, vcc_lo
	v_add_co_u32 v59, vcc_lo, v33, v18
	s_wait_alu 0xfffd
	v_add_co_ci_u32_e64 v60, null, v34, v19, vcc_lo
	global_load_u16 v8, v[56:57], off
	global_load_u16 v16, v[59:60], off
	s_wait_loadcnt 0x1
	v_cvt_f32_f16_e32 v8, v8
	s_wait_loadcnt 0x0
	v_cvt_f32_f16_e32 v16, v16
	s_wait_alu 0xfffe
	s_or_b32 exec_lo, exec_lo, s3
	s_and_saveexec_b32 s3, s2
	s_cbranch_execnz .LBB182_38
	s_branch .LBB182_39
.LBB182_49:
                                        ; implicit-def: $vgpr86
	s_branch .LBB182_51
.LBB182_50:
	s_cbranch_execnz .LBB182_83
.LBB182_51:
	v_mov_b32_e32 v86, 0
	s_and_not1_b32 vcc_lo, exec_lo, s29
	s_wait_alu 0xfffe
	s_cbranch_vccnz .LBB182_83
; %bb.52:
	v_bfe_u32 v48, v0, 10, 10
	v_dual_mov_b32 v1, 0 :: v_dual_and_b32 v50, 0x3ff, v0
	s_lshl_b64 s[18:19], s[14:15], 1
	s_mov_b32 s3, 0
	s_delay_alu instid0(VALU_DEP_2) | instskip(SKIP_2) | instid1(VALU_DEP_3)
	v_lshlrev_b32_e32 v49, 3, v48
	v_dual_mov_b32 v83, 0 :: v_dual_lshlrev_b32 v8, 4, v48
	v_dual_mov_b32 v5, v1 :: v_dual_add_nc_u32 v4, s28, v50
	v_add_co_u32 v10, s2, v49, s14
	s_wait_alu 0xf1ff
	v_add_co_ci_u32_e64 v11, null, 0, 0, s2
	s_delay_alu instid0(VALU_DEP_3) | instskip(NEXT) | instid1(VALU_DEP_3)
	v_lshlrev_b64_e32 v[18:19], 1, v[4:5]
	v_mul_lo_u32 v6, s7, v10
	v_mad_co_u64_u32 v[2:3], null, s6, v10, 0
	s_delay_alu instid0(VALU_DEP_4) | instskip(SKIP_2) | instid1(VALU_DEP_1)
	v_mul_lo_u32 v7, s6, v11
	s_load_b32 s2, s[0:1], 0x44
	s_mov_b32 s17, s3
	v_add3_u32 v3, v3, v7, v6
	v_add_co_u32 v6, s16, v8, s18
	s_wait_alu 0xf1ff
	v_add_co_ci_u32_e64 v7, null, 0, s19, s16
	s_delay_alu instid0(VALU_DEP_3) | instskip(NEXT) | instid1(VALU_DEP_3)
	v_lshlrev_b64_e32 v[4:5], 1, v[2:3]
	v_add_co_u32 v8, vcc_lo, v6, 2
	s_wait_alu 0xfffd
	s_delay_alu instid0(VALU_DEP_3) | instskip(NEXT) | instid1(VALU_DEP_3)
	v_add_co_ci_u32_e64 v9, null, 0, v7, vcc_lo
	v_add_co_u32 v51, vcc_lo, s8, v4
	s_wait_alu 0xfffd
	v_add_co_ci_u32_e64 v52, null, s9, v5, vcc_lo
	v_add_co_u32 v53, vcc_lo, s10, v4
	s_wait_alu 0xfffd
	;; [unrolled: 3-line block ×5, first 2 shown]
	v_add_co_ci_u32_e64 v28, null, 0, v7, vcc_lo
	v_add_co_u32 v42, vcc_lo, v6, 10
	v_mad_co_u64_u32 v[22:23], null, s6, v4, s[8:9]
	v_mul_lo_u32 v5, s6, v5
	v_mul_lo_u32 v15, s7, v4
	v_mad_co_u64_u32 v[36:37], null, s6, v4, s[10:11]
	s_wait_alu 0xfffd
	v_add_co_ci_u32_e64 v30, null, 0, v7, vcc_lo
	v_add_co_u32 v44, vcc_lo, v6, 12
	s_wait_alu 0xfffd
	v_add_co_ci_u32_e64 v32, null, 0, v7, vcc_lo
	v_add_co_u32 v6, vcc_lo, v6, 14
	v_mad_co_u64_u32 v[20:21], null, s6, v8, s[8:9]
	v_mul_lo_u32 v9, s6, v9
	v_mul_lo_u32 v12, s7, v8
	v_mad_co_u64_u32 v[34:35], null, s6, v8, s[10:11]
	s_wait_alu 0xfffd
	v_add_co_ci_u32_e64 v7, null, 0, v7, vcc_lo
	v_add_co_u32 v4, vcc_lo, v10, 7
	v_add3_u32 v23, v15, v23, v5
	v_add3_u32 v37, v15, v37, v5
	s_wait_alu 0xfffd
	v_add_co_ci_u32_e64 v5, null, 0, v11, vcc_lo
	v_mul_lo_u32 v61, s6, v7
	v_add_co_u32 v7, vcc_lo, v10, 6
	v_add3_u32 v21, v12, v21, v9
	v_add3_u32 v35, v12, v35, v9
	s_wait_alu 0xfffd
	v_add_co_ci_u32_e64 v12, null, 0, v11, vcc_lo
	v_mul_lo_u32 v8, s7, v4
	v_mul_lo_u32 v9, s6, v5
	v_mad_co_u64_u32 v[4:5], null, s6, v4, 0
	v_mad_co_u64_u32 v[24:25], null, s6, v13, s[8:9]
	v_mul_lo_u32 v17, s7, v13
	v_mul_lo_u32 v59, s6, v32
	v_mad_co_u64_u32 v[32:33], null, s6, v6, s[8:9]
	v_mul_lo_u32 v62, s7, v6
	v_mad_co_u64_u32 v[38:39], null, s6, v13, s[10:11]
	v_mad_co_u64_u32 v[46:47], null, s6, v6, s[10:11]
	v_mul_lo_u32 v13, s7, v7
	v_mul_lo_u32 v12, s6, v12
	v_mad_co_u64_u32 v[6:7], null, s6, v7, 0
	v_add3_u32 v5, v5, v9, v8
	v_add_co_u32 v8, vcc_lo, v10, 5
	v_mad_co_u64_u32 v[26:27], null, s6, v16, s[8:9]
	v_mul_lo_u32 v55, s6, v28
	v_mul_lo_u32 v56, s7, v16
	v_mad_co_u64_u32 v[40:41], null, s6, v16, s[10:11]
	s_wait_alu 0xfffd
	v_add_co_ci_u32_e64 v9, null, 0, v11, vcc_lo
	v_add3_u32 v7, v7, v12, v13
	v_mad_co_u64_u32 v[28:29], null, s6, v42, s[8:9]
	v_mul_lo_u32 v57, s6, v30
	v_mul_lo_u32 v58, s7, v42
	v_mad_co_u64_u32 v[42:43], null, s6, v42, s[10:11]
	v_lshlrev_b64_e32 v[4:5], 1, v[4:5]
	v_mad_co_u64_u32 v[30:31], null, s6, v44, s[8:9]
	v_mul_lo_u32 v60, s7, v44
	v_mad_co_u64_u32 v[44:45], null, s6, v44, s[10:11]
	v_mul_lo_u32 v12, s7, v8
	v_mul_lo_u32 v13, s6, v9
	v_mad_co_u64_u32 v[8:9], null, s6, v8, 0
	v_lshlrev_b64_e32 v[6:7], 1, v[6:7]
	v_add3_u32 v27, v56, v27, v55
	v_add3_u32 v41, v56, v41, v55
	v_add_co_u32 v55, vcc_lo, s8, v4
	v_add3_u32 v29, v58, v29, v57
	v_add3_u32 v43, v58, v43, v57
	s_wait_alu 0xfffd
	v_add_co_ci_u32_e64 v56, null, s9, v5, vcc_lo
	v_add_co_u32 v57, vcc_lo, s10, v4
	v_add3_u32 v31, v60, v31, v59
	v_add3_u32 v45, v60, v45, v59
	s_wait_alu 0xfffd
	v_add_co_ci_u32_e64 v58, null, s11, v5, vcc_lo
	v_add_co_u32 v59, vcc_lo, s8, v6
	v_mul_lo_u32 v14, s6, v14
	v_add3_u32 v9, v9, v13, v12
	s_wait_alu 0xfffd
	v_add_co_ci_u32_e64 v60, null, s9, v7, vcc_lo
	v_add_co_u32 v12, vcc_lo, v10, 4
	s_wait_kmcnt 0x0
	s_lshl_b32 s16, s2, 7
	v_add3_u32 v33, v62, v33, v61
	v_add3_u32 v47, v62, v47, v61
	v_add_co_u32 v61, s2, s10, v6
	s_wait_alu 0xfffd
	v_add_co_ci_u32_e64 v6, null, 0, v11, vcc_lo
	v_lshlrev_b64_e32 v[4:5], 1, v[8:9]
	v_add_co_u32 v8, vcc_lo, v10, 3
	s_wait_alu 0xfffd
	v_add_co_ci_u32_e64 v9, null, 0, v11, vcc_lo
	v_add3_u32 v25, v17, v25, v14
	v_add3_u32 v39, v17, v39, v14
	s_wait_alu 0xf1ff
	v_add_co_ci_u32_e64 v62, null, s11, v7, s2
	v_mul_lo_u32 v13, s7, v12
	v_mul_lo_u32 v14, s6, v6
	v_mad_co_u64_u32 v[6:7], null, s6, v12, 0
	v_mul_lo_u32 v12, s7, v8
	v_mul_lo_u32 v15, s6, v9
	v_mad_co_u64_u32 v[8:9], null, s6, v8, 0
	v_add_co_u32 v63, vcc_lo, s8, v4
	s_wait_alu 0xfffd
	v_add_co_ci_u32_e64 v64, null, s9, v5, vcc_lo
	v_add3_u32 v7, v7, v14, v13
	v_add_co_u32 v65, vcc_lo, s10, v4
	s_wait_alu 0xfffd
	v_add_co_ci_u32_e64 v66, null, s11, v5, vcc_lo
	v_add_co_u32 v10, vcc_lo, v10, 2
	v_add3_u32 v9, v9, v15, v12
	s_wait_alu 0xfffd
	v_add_co_ci_u32_e64 v11, null, 0, v11, vcc_lo
	v_lshlrev_b64_e32 v[4:5], 1, v[6:7]
	v_mul_lo_u32 v12, s7, v10
	v_lshlrev_b64_e32 v[6:7], 1, v[8:9]
	s_delay_alu instid0(VALU_DEP_4)
	v_mul_lo_u32 v11, s6, v11
	v_mad_co_u64_u32 v[8:9], null, s6, v10, 0
	v_add_co_u32 v67, vcc_lo, s8, v4
	s_wait_alu 0xfffd
	v_add_co_ci_u32_e64 v68, null, s9, v5, vcc_lo
	v_add_co_u32 v69, vcc_lo, s10, v4
	s_wait_alu 0xfffd
	v_add_co_ci_u32_e64 v70, null, s11, v5, vcc_lo
	;; [unrolled: 3-line block ×3, first 2 shown]
	v_add3_u32 v9, v9, v11, v12
	v_add_co_u32 v73, vcc_lo, s10, v6
	s_wait_alu 0xfffd
	v_add_co_ci_u32_e64 v74, null, s11, v7, vcc_lo
	v_add_co_u32 v2, vcc_lo, v2, s6
	s_wait_alu 0xfffd
	v_add_co_ci_u32_e64 v3, null, s7, v3, vcc_lo
	v_lshlrev_b64_e32 v[4:5], 1, v[8:9]
	s_wait_alu 0xfffe
	s_mul_u64 s[18:19], s[6:7], s[16:17]
	s_delay_alu instid0(VALU_DEP_2) | instskip(NEXT) | instid1(VALU_DEP_2)
	v_lshlrev_b64_e32 v[2:3], 1, v[2:3]
	v_add_co_u32 v75, vcc_lo, s8, v4
	s_wait_alu 0xfffd
	v_add_co_ci_u32_e64 v76, null, s9, v5, vcc_lo
	v_add_co_u32 v77, vcc_lo, s10, v4
	s_wait_alu 0xfffd
	v_add_co_ci_u32_e64 v78, null, s11, v5, vcc_lo
	;; [unrolled: 3-line block ×4, first 2 shown]
	s_add_nc_u64 s[8:9], s[0:1], 64
	s_wait_alu 0xfffe
	s_lshl_b64 s[10:11], s[18:19], 1
	s_add_nc_u64 s[18:19], s[14:15], 0x7f
.LBB182_53:                             ; =>This Inner Loop Header: Depth=1
	s_wait_alu 0xfffe
	v_cmp_ge_i64_e64 s2, s[18:19], s[4:5]
	v_add_co_u32 v84, s20, v49, s18
	s_wait_alu 0xf1ff
	v_add_co_ci_u32_e64 v85, null, 0, s19, s20
                                        ; implicit-def: $vgpr86
	s_and_b32 vcc_lo, exec_lo, s2
	s_mov_b32 s2, -1
	s_wait_alu 0xfffe
	s_cbranch_vccz .LBB182_75
; %bb.54:                               ;   in Loop: Header=BB182_53 Depth=1
	s_load_b32 s2, s[8:9], 0xc
	v_mov_b32_e32 v87, 0
	s_wait_kmcnt 0x0
	s_and_b32 s2, s2, 0xffff
	s_wait_alu 0xfffe
	v_mad_u32_u24 v2, v48, s2, v50
	s_mov_b32 s2, exec_lo
	s_delay_alu instid0(VALU_DEP_1) | instskip(NEXT) | instid1(VALU_DEP_1)
	v_and_b32_e32 v2, 31, v2
	v_cmpx_gt_u32_e32 8, v2
	s_cbranch_execz .LBB182_58
; %bb.55:                               ;   in Loop: Header=BB182_53 Depth=1
	v_add_co_u32 v2, vcc_lo, v84, v2
	s_wait_alu 0xfffd
	v_add_co_ci_u32_e64 v3, null, 0, v85, vcc_lo
	v_mov_b32_e32 v87, 0
	s_delay_alu instid0(VALU_DEP_3) | instskip(SKIP_1) | instid1(VALU_DEP_3)
	v_add_co_u32 v2, vcc_lo, 0xffffff81, v2
	s_wait_alu 0xfffd
	v_add_co_ci_u32_e64 v3, null, -1, v3, vcc_lo
	s_mov_b32 s20, exec_lo
	v_cmpx_gt_i64_e64 s[4:5], v[2:3]
	s_cbranch_execz .LBB182_57
; %bb.56:                               ;   in Loop: Header=BB182_53 Depth=1
	v_lshlrev_b64_e32 v[2:3], 2, v[2:3]
	s_delay_alu instid0(VALU_DEP_1) | instskip(SKIP_1) | instid1(VALU_DEP_2)
	v_add_co_u32 v2, vcc_lo, s12, v2
	s_wait_alu 0xfffd
	v_add_co_ci_u32_e64 v3, null, s13, v3, vcc_lo
	global_load_b32 v87, v[2:3], off
.LBB182_57:                             ;   in Loop: Header=BB182_53 Depth=1
	s_wait_alu 0xfffe
	s_or_b32 exec_lo, exec_lo, s20
.LBB182_58:                             ;   in Loop: Header=BB182_53 Depth=1
	s_wait_alu 0xfffe
	s_or_b32 exec_lo, exec_lo, s2
	v_add_co_u32 v9, vcc_lo, 0xffffff81, v84
	s_wait_alu 0xfffd
	v_add_co_ci_u32_e64 v10, null, -1, v85, vcc_lo
	v_mov_b32_e32 v8, v1
	v_dual_mov_b32 v2, v1 :: v_dual_mov_b32 v3, v1
	v_dual_mov_b32 v4, v1 :: v_dual_mov_b32 v5, v1
	;; [unrolled: 1-line block ×3, first 2 shown]
	v_cmp_gt_i64_e32 vcc_lo, s[4:5], v[9:10]
	s_delay_alu instid0(VALU_DEP_3) | instskip(NEXT) | instid1(VALU_DEP_3)
	v_dual_mov_b32 v17, v8 :: v_dual_mov_b32 v14, v5
	v_dual_mov_b32 v15, v6 :: v_dual_mov_b32 v16, v7
	;; [unrolled: 1-line block ×4, first 2 shown]
	v_mov_b32_e32 v9, v8
	v_mov_b32_e32 v8, v7
	v_mov_b32_e32 v7, v6
	v_mov_b32_e32 v6, v5
	v_mov_b32_e32 v5, v4
	v_mov_b32_e32 v4, v3
	v_mov_b32_e32 v3, v2
	v_mov_b32_e32 v2, v1
	s_and_saveexec_b32 s2, vcc_lo
	s_cbranch_execz .LBB182_60
; %bb.59:                               ;   in Loop: Header=BB182_53 Depth=1
	v_add_co_u32 v2, vcc_lo, v51, v18
	s_wait_alu 0xfffd
	v_add_co_ci_u32_e64 v3, null, v52, v19, vcc_lo
	v_add_co_u32 v4, vcc_lo, v53, v18
	s_wait_alu 0xfffd
	v_add_co_ci_u32_e64 v5, null, v54, v19, vcc_lo
	global_load_u16 v2, v[2:3], off
	global_load_u16 v10, v[4:5], off
	v_dual_mov_b32 v3, v1 :: v_dual_mov_b32 v4, v1
	v_dual_mov_b32 v5, v1 :: v_dual_mov_b32 v6, v1
	;; [unrolled: 1-line block ×6, first 2 shown]
	v_mov_b32_e32 v15, v1
	v_mov_b32_e32 v17, v1
	s_wait_loadcnt 0x1
	v_cvt_f32_f16_e32 v2, v2
	s_wait_loadcnt 0x0
	v_cvt_f32_f16_e32 v10, v10
.LBB182_60:                             ;   in Loop: Header=BB182_53 Depth=1
	s_wait_alu 0xfffe
	s_or_b32 exec_lo, exec_lo, s2
	v_add_co_u32 v88, vcc_lo, 0xffffff82, v84
	s_wait_alu 0xfffd
	v_add_co_ci_u32_e64 v89, null, -1, v85, vcc_lo
	s_mov_b32 s2, exec_lo
	v_cmpx_gt_i64_e64 s[4:5], v[88:89]
	s_cbranch_execz .LBB182_62
; %bb.61:                               ;   in Loop: Header=BB182_53 Depth=1
	v_add_co_u32 v88, vcc_lo, v79, v18
	s_wait_alu 0xfffd
	v_add_co_ci_u32_e64 v89, null, v80, v19, vcc_lo
	v_add_co_u32 v90, vcc_lo, v81, v18
	s_wait_alu 0xfffd
	v_add_co_ci_u32_e64 v91, null, v82, v19, vcc_lo
	global_load_u16 v3, v[88:89], off
	global_load_u16 v11, v[90:91], off
	s_wait_loadcnt 0x1
	v_cvt_f32_f16_e32 v3, v3
	s_wait_loadcnt 0x0
	v_cvt_f32_f16_e32 v11, v11
.LBB182_62:                             ;   in Loop: Header=BB182_53 Depth=1
	s_wait_alu 0xfffe
	s_or_b32 exec_lo, exec_lo, s2
	v_add_co_u32 v88, vcc_lo, 0xffffff83, v84
	s_wait_alu 0xfffd
	v_add_co_ci_u32_e64 v89, null, -1, v85, vcc_lo
	s_mov_b32 s2, exec_lo
	v_cmpx_gt_i64_e64 s[4:5], v[88:89]
	s_cbranch_execz .LBB182_64
; %bb.63:                               ;   in Loop: Header=BB182_53 Depth=1
	v_add_co_u32 v88, vcc_lo, v75, v18
	s_wait_alu 0xfffd
	v_add_co_ci_u32_e64 v89, null, v76, v19, vcc_lo
	v_add_co_u32 v90, vcc_lo, v77, v18
	s_wait_alu 0xfffd
	v_add_co_ci_u32_e64 v91, null, v78, v19, vcc_lo
	global_load_u16 v4, v[88:89], off
	global_load_u16 v12, v[90:91], off
	s_wait_loadcnt 0x1
	v_cvt_f32_f16_e32 v4, v4
	s_wait_loadcnt 0x0
	v_cvt_f32_f16_e32 v12, v12
.LBB182_64:                             ;   in Loop: Header=BB182_53 Depth=1
	;; [unrolled: 22-line block ×7, first 2 shown]
	s_wait_alu 0xfffe
	s_or_b32 exec_lo, exec_lo, s2
	s_wait_loadcnt 0x0
	ds_bpermute_b32 v86, v1, v87
	ds_bpermute_b32 v88, v1, v87 offset:4
	ds_bpermute_b32 v89, v1, v87 offset:8
	v_dual_mul_f32 v2, v10, v2 :: v_dual_mul_f32 v3, v11, v3
	ds_bpermute_b32 v10, v1, v87 offset:12
	ds_bpermute_b32 v11, v1, v87 offset:16
	s_mov_b32 s2, 0
	s_wait_dscnt 0x4
	v_fma_f32 v86, v2, v86, v83
	v_mul_f32_e32 v2, v12, v4
	ds_bpermute_b32 v4, v1, v87 offset:20
	s_wait_dscnt 0x4
	v_dual_fmac_f32 v86, v3, v88 :: v_dual_mul_f32 v3, v13, v5
	ds_bpermute_b32 v5, v1, v87 offset:24
	s_wait_dscnt 0x4
	v_fmac_f32_e32 v86, v2, v89
	v_mul_f32_e32 v2, v14, v6
	v_mul_f32_e32 v6, v15, v7
	s_wait_dscnt 0x3
	s_delay_alu instid0(VALU_DEP_3)
	v_fmac_f32_e32 v86, v3, v10
	ds_bpermute_b32 v3, v1, v87 offset:28
	s_wait_dscnt 0x3
	v_fmac_f32_e32 v86, v2, v11
	v_mul_f32_e32 v2, v16, v8
	s_wait_dscnt 0x2
	s_delay_alu instid0(VALU_DEP_2) | instskip(SKIP_1) | instid1(VALU_DEP_1)
	v_fmac_f32_e32 v86, v6, v4
	s_wait_dscnt 0x1
	v_fmac_f32_e32 v86, v2, v5
	v_mul_f32_e32 v2, v17, v9
	s_wait_dscnt 0x0
	s_delay_alu instid0(VALU_DEP_1)
	v_fmac_f32_e32 v86, v2, v3
.LBB182_75:                             ;   in Loop: Header=BB182_53 Depth=1
	s_wait_alu 0xfffe
	s_and_b32 vcc_lo, exec_lo, s2
	s_wait_alu 0xfffe
	s_cbranch_vccz .LBB182_81
; %bb.76:                               ;   in Loop: Header=BB182_53 Depth=1
	s_load_b32 s2, s[8:9], 0x0
	v_mov_b32_e32 v4, 0
	s_wait_kmcnt 0x0
	s_cmp_lt_u32 ttmp9, s2
	s_cselect_b32 s2, 12, 18
	s_wait_alu 0xfffe
	s_add_nc_u64 s[20:21], s[8:9], s[2:3]
	s_load_u16 s2, s[20:21], 0x0
	s_wait_kmcnt 0x0
	v_mad_u32_u24 v2, v48, s2, v50
	s_mov_b32 s2, exec_lo
	s_delay_alu instid0(VALU_DEP_1) | instskip(NEXT) | instid1(VALU_DEP_1)
	v_and_b32_e32 v2, 31, v2
	v_cmpx_gt_u32_e32 8, v2
	s_cbranch_execz .LBB182_80
; %bb.77:                               ;   in Loop: Header=BB182_53 Depth=1
	v_add_co_u32 v2, vcc_lo, v84, v2
	s_wait_alu 0xfffd
	v_add_co_ci_u32_e64 v3, null, 0, v85, vcc_lo
	v_mov_b32_e32 v4, 0
	s_delay_alu instid0(VALU_DEP_3) | instskip(SKIP_1) | instid1(VALU_DEP_3)
	v_add_co_u32 v2, vcc_lo, 0xffffff81, v2
	s_wait_alu 0xfffd
	v_add_co_ci_u32_e64 v3, null, -1, v3, vcc_lo
	s_mov_b32 s20, exec_lo
	v_cmpx_gt_i64_e64 s[4:5], v[2:3]
	s_cbranch_execz .LBB182_79
; %bb.78:                               ;   in Loop: Header=BB182_53 Depth=1
	v_lshlrev_b64_e32 v[2:3], 2, v[2:3]
	s_delay_alu instid0(VALU_DEP_1) | instskip(SKIP_1) | instid1(VALU_DEP_2)
	v_add_co_u32 v2, vcc_lo, s12, v2
	s_wait_alu 0xfffd
	v_add_co_ci_u32_e64 v3, null, s13, v3, vcc_lo
	global_load_b32 v4, v[2:3], off
.LBB182_79:                             ;   in Loop: Header=BB182_53 Depth=1
	s_wait_alu 0xfffe
	s_or_b32 exec_lo, exec_lo, s20
.LBB182_80:                             ;   in Loop: Header=BB182_53 Depth=1
	s_wait_alu 0xfffe
	s_or_b32 exec_lo, exec_lo, s2
	v_add_co_u32 v2, vcc_lo, v51, v18
	s_wait_alu 0xfffd
	v_add_co_ci_u32_e64 v3, null, v52, v19, vcc_lo
	v_add_co_u32 v5, vcc_lo, v53, v18
	s_wait_alu 0xfffd
	v_add_co_ci_u32_e64 v6, null, v54, v19, vcc_lo
	v_add_co_u32 v7, vcc_lo, v20, v18
	s_wait_alu 0xfffd
	v_add_co_ci_u32_e64 v8, null, v21, v19, vcc_lo
	v_add_co_u32 v9, vcc_lo, v34, v18
	s_wait_alu 0xfffd
	v_add_co_ci_u32_e64 v10, null, v35, v19, vcc_lo
	v_add_co_u32 v11, vcc_lo, v22, v18
	s_wait_alu 0xfffd
	v_add_co_ci_u32_e64 v12, null, v23, v19, vcc_lo
	global_load_u16 v13, v[2:3], off
	global_load_u16 v14, v[5:6], off
	;; [unrolled: 1-line block ×5, first 2 shown]
	v_add_co_u32 v2, vcc_lo, v36, v18
	s_wait_alu 0xfffd
	v_add_co_ci_u32_e64 v3, null, v37, v19, vcc_lo
	v_add_co_u32 v5, vcc_lo, v24, v18
	s_wait_alu 0xfffd
	v_add_co_ci_u32_e64 v6, null, v25, v19, vcc_lo
	;; [unrolled: 3-line block ×5, first 2 shown]
	global_load_u16 v84, v[2:3], off
	global_load_u16 v85, v[5:6], off
	global_load_u16 v86, v[7:8], off
	global_load_u16 v87, v[9:10], off
	global_load_u16 v11, v[11:12], off
	v_add_co_u32 v2, vcc_lo, v28, v18
	s_wait_alu 0xfffd
	v_add_co_ci_u32_e64 v3, null, v29, v19, vcc_lo
	v_add_co_u32 v5, vcc_lo, v42, v18
	s_wait_alu 0xfffd
	v_add_co_ci_u32_e64 v6, null, v43, v19, vcc_lo
	;; [unrolled: 3-line block ×4, first 2 shown]
	global_load_u16 v12, v[2:3], off
	global_load_u16 v88, v[5:6], off
	;; [unrolled: 1-line block ×4, first 2 shown]
	v_add_co_u32 v2, vcc_lo, v32, v18
	s_wait_alu 0xfffd
	v_add_co_ci_u32_e64 v3, null, v33, v19, vcc_lo
	v_add_co_u32 v5, vcc_lo, v46, v18
	s_wait_alu 0xfffd
	v_add_co_ci_u32_e64 v6, null, v47, v19, vcc_lo
	global_load_u16 v2, v[2:3], off
	global_load_u16 v3, v[5:6], off
	s_wait_loadcnt 0x10
	ds_bpermute_b32 v5, v1, v4
	ds_bpermute_b32 v6, v1, v4 offset:4
	ds_bpermute_b32 v9, v1, v4 offset:8
	s_wait_loadcnt 0xf
	v_cvt_f32_f16_e32 v10, v13
	s_wait_loadcnt 0xe
	v_cvt_f32_f16_e32 v13, v14
	ds_bpermute_b32 v14, v1, v4 offset:12
	s_wait_loadcnt 0xd
	v_cvt_f32_f16_e32 v15, v15
	s_wait_loadcnt 0xc
	v_cvt_f32_f16_e32 v16, v16
	;; [unrolled: 2-line block ×3, first 2 shown]
	v_mul_f32_e32 v10, v10, v13
	ds_bpermute_b32 v13, v1, v4 offset:16
	v_mul_f32_e32 v15, v15, v16
	s_wait_dscnt 0x4
	v_fmac_f32_e32 v83, v10, v5
	ds_bpermute_b32 v5, v1, v4 offset:20
	s_wait_loadcnt 0xa
	v_cvt_f32_f16_e32 v84, v84
	s_wait_loadcnt 0x9
	v_cvt_f32_f16_e32 v10, v85
	;; [unrolled: 2-line block ×3, first 2 shown]
	s_wait_dscnt 0x4
	v_fmac_f32_e32 v83, v15, v6
	ds_bpermute_b32 v6, v1, v4 offset:24
	s_wait_loadcnt 0x7
	v_cvt_f32_f16_e32 v15, v87
	s_wait_loadcnt 0x6
	v_cvt_f32_f16_e32 v11, v11
	v_mul_f32_e32 v10, v10, v16
	ds_bpermute_b32 v4, v1, v4 offset:28
	v_mul_f32_e32 v11, v15, v11
	s_wait_loadcnt 0x3
	v_cvt_f32_f16_e32 v7, v7
	s_wait_loadcnt 0x2
	v_cvt_f32_f16_e32 v8, v8
	s_delay_alu instid0(VALU_DEP_1) | instskip(SKIP_4) | instid1(VALU_DEP_1)
	v_mul_f32_e32 v7, v7, v8
	s_wait_loadcnt 0x1
	v_cvt_f32_f16_e32 v2, v2
	s_wait_loadcnt 0x0
	v_cvt_f32_f16_e32 v3, v3
	v_dual_mul_f32 v17, v17, v84 :: v_dual_mul_f32 v2, v2, v3
	s_wait_dscnt 0x5
	s_delay_alu instid0(VALU_DEP_1) | instskip(SKIP_3) | instid1(VALU_DEP_3)
	v_fmac_f32_e32 v83, v17, v9
	v_cvt_f32_f16_e32 v9, v12
	v_cvt_f32_f16_e32 v12, v88
	s_wait_dscnt 0x4
	v_fmac_f32_e32 v83, v10, v14
	s_delay_alu instid0(VALU_DEP_2) | instskip(SKIP_1) | instid1(VALU_DEP_2)
	v_mul_f32_e32 v9, v9, v12
	s_wait_dscnt 0x3
	v_fmac_f32_e32 v83, v11, v13
	s_wait_dscnt 0x2
	s_delay_alu instid0(VALU_DEP_1) | instskip(SKIP_1) | instid1(VALU_DEP_1)
	v_fmac_f32_e32 v83, v9, v5
	s_wait_dscnt 0x1
	v_fmac_f32_e32 v83, v7, v6
	s_wait_dscnt 0x0
	s_delay_alu instid0(VALU_DEP_1) | instskip(NEXT) | instid1(VALU_DEP_1)
	v_fmac_f32_e32 v83, v2, v4
	v_mov_b32_e32 v86, v83
.LBB182_81:                             ;   in Loop: Header=BB182_53 Depth=1
	v_add_co_u32 v51, vcc_lo, v51, s10
	s_wait_alu 0xfffd
	v_add_co_ci_u32_e64 v52, null, s11, v52, vcc_lo
	v_add_co_u32 v53, vcc_lo, v53, s10
	s_wait_alu 0xfffd
	v_add_co_ci_u32_e64 v54, null, s11, v54, vcc_lo
	;; [unrolled: 3-line block ×27, first 2 shown]
	v_add_co_u32 v77, vcc_lo, v77, s10
	s_add_nc_u64 s[14:15], s[14:15], s[16:17]
	s_wait_alu 0xfffd
	v_add_co_ci_u32_e64 v78, null, s11, v78, vcc_lo
	v_add_co_u32 v79, vcc_lo, v79, s10
	s_wait_alu 0xfffe
	v_cmp_ge_i64_e64 s2, s[14:15], s[4:5]
	s_wait_alu 0xfffd
	v_add_co_ci_u32_e64 v80, null, s11, v80, vcc_lo
	v_add_co_u32 v81, vcc_lo, v81, s10
	s_wait_alu 0xfffd
	v_add_co_ci_u32_e64 v82, null, s11, v82, vcc_lo
	s_and_b32 vcc_lo, exec_lo, s2
	s_add_nc_u64 s[18:19], s[18:19], s[16:17]
	s_wait_alu 0xfffe
	s_cbranch_vccnz .LBB182_83
; %bb.82:                               ;   in Loop: Header=BB182_53 Depth=1
	v_mov_b32_e32 v83, v86
	s_branch .LBB182_53
.LBB182_83:
	v_and_b32_e32 v4, 0x3ff, v0
	v_bfe_u32 v1, v0, 10, 10
	v_bfe_u32 v0, v0, 5, 5
	s_mov_b32 s2, exec_lo
	s_delay_alu instid0(VALU_DEP_2) | instskip(NEXT) | instid1(VALU_DEP_2)
	v_mad_u32_u24 v3, v1, 33, v4
	v_dual_mov_b32 v1, 0 :: v_dual_add_nc_u32 v2, v0, v1
	s_delay_alu instid0(VALU_DEP_2)
	v_lshl_add_u32 v0, v3, 2, 0
	ds_store_b32 v0, v86
	ds_store_b32 v0, v1 offset:2112
	s_wait_dscnt 0x0
	s_barrier_signal -1
	s_barrier_wait -1
	global_inv scope:SCOPE_SE
	v_cmpx_gt_u32_e32 32, v2
	s_cbranch_execz .LBB182_93
; %bb.84:
	s_load_b64 s[2:3], s[0:1], 0x30
	v_and_b32_e32 v0, 31, v4
	s_delay_alu instid0(VALU_DEP_1)
	v_cmp_gt_u32_e32 vcc_lo, 16, v0
	v_mul_u32_u24_e32 v3, 33, v0
                                        ; implicit-def: $vgpr0
	s_and_saveexec_b32 s0, vcc_lo
	s_cbranch_execz .LBB182_86
; %bb.85:
	v_lshlrev_b32_e32 v0, 2, v2
	s_delay_alu instid0(VALU_DEP_2) | instskip(NEXT) | instid1(VALU_DEP_1)
	v_lshlrev_b32_e32 v1, 2, v3
	v_add3_u32 v0, 0, v0, v1
	ds_load_b32 v0, v0
.LBB182_86:
	s_or_b32 exec_lo, exec_lo, s0
	v_mbcnt_lo_u32_b32 v1, -1, 0
	s_mov_b32 s4, ttmp9
	s_mov_b32 s5, 0
	s_wait_alu 0xfffe
	s_lshl_b64 s[4:5], s[4:5], 5
	v_xor_b32_e32 v5, 8, v1
	v_xor_b32_e32 v6, 4, v1
	;; [unrolled: 1-line block ×3, first 2 shown]
	s_wait_kmcnt 0x0
	s_cmp_eq_u64 s[2:3], 0
	s_cselect_b32 s8, -1, 0
	v_cmp_gt_i32_e64 s0, 32, v5
	s_delay_alu instid0(VALU_DEP_1) | instskip(SKIP_1) | instid1(VALU_DEP_2)
	v_cndmask_b32_e64 v5, v1, v5, s0
	v_cmp_gt_i32_e64 s0, 32, v6
	v_lshlrev_b32_e32 v5, 2, v5
	s_wait_alu 0xf1ff
	s_delay_alu instid0(VALU_DEP_2)
	v_cndmask_b32_e64 v6, v1, v6, s0
	s_wait_dscnt 0x0
	ds_bpermute_b32 v7, v5, v0
	v_lshlrev_b32_e32 v6, 2, v6
	s_wait_dscnt 0x0
	v_add_f32_e32 v0, v0, v7
	v_xor_b32_e32 v7, 2, v1
	ds_bpermute_b32 v8, v6, v0
	v_cmp_gt_i32_e64 s0, 32, v7
	s_wait_alu 0xf1ff
	s_delay_alu instid0(VALU_DEP_1) | instskip(SKIP_1) | instid1(VALU_DEP_2)
	v_cndmask_b32_e64 v7, v1, v7, s0
	v_cmp_gt_i32_e64 s0, 32, v9
	v_lshlrev_b32_e32 v7, 2, v7
	s_wait_alu 0xf1ff
	s_delay_alu instid0(VALU_DEP_2)
	v_cndmask_b32_e64 v1, v1, v9, s0
	v_cmp_ne_u32_e64 s0, 0, v4
	s_wait_dscnt 0x0
	v_add_f32_e32 v0, v0, v8
	ds_bpermute_b32 v8, v7, v0
	s_wait_dscnt 0x0
	v_dual_add_f32 v9, v0, v8 :: v_dual_lshlrev_b32 v8, 2, v1
	s_wait_alu 0xfffe
	v_mov_b32_e32 v1, s5
	v_or_b32_e32 v0, s4, v2
	ds_bpermute_b32 v10, v8, v9
	v_cmp_le_i64_e64 s1, s[6:7], v[0:1]
	s_or_b32 s1, s0, s1
	s_wait_alu 0xfffe
	s_nor_b32 s1, s8, s1
	s_wait_dscnt 0x0
	v_add_f32_e32 v4, v9, v10
	s_wait_alu 0xfffe
	s_and_saveexec_b32 s9, s1
	s_cbranch_execz .LBB182_88
; %bb.87:
	v_lshlrev_b64_e32 v[0:1], 1, v[0:1]
	v_cvt_f16_f32_e32 v9, v4
	s_delay_alu instid0(VALU_DEP_2) | instskip(SKIP_1) | instid1(VALU_DEP_3)
	v_add_co_u32 v0, s1, s2, v0
	s_wait_alu 0xf1ff
	v_add_co_ci_u32_e64 v1, null, s3, v1, s1
	global_store_b16 v[0:1], v9, off
.LBB182_88:
	s_wait_alu 0xfffe
	s_or_b32 exec_lo, exec_lo, s9
	v_cmp_gt_u32_e64 s1, 16, v2
	s_and_b32 exec_lo, exec_lo, s1
	s_cbranch_execz .LBB182_93
; %bb.89:
	s_and_saveexec_b32 s1, vcc_lo
	s_cbranch_execz .LBB182_91
; %bb.90:
	v_lshlrev_b32_e32 v0, 2, v2
	v_lshlrev_b32_e32 v1, 2, v3
	s_delay_alu instid0(VALU_DEP_1)
	v_add3_u32 v0, 0, v0, v1
	ds_load_b32 v4, v0 offset:64
.LBB182_91:
	s_wait_alu 0xfffe
	s_or_b32 exec_lo, exec_lo, s1
	s_wait_dscnt 0x0
	ds_bpermute_b32 v0, v5, v4
	v_add_nc_u32_e32 v3, 16, v2
	s_delay_alu instid0(VALU_DEP_1)
	v_or_b32_e32 v3, s4, v3
	s_wait_dscnt 0x0
	v_add_f32_e32 v0, v4, v0
	v_mov_b32_e32 v4, s5
	ds_bpermute_b32 v1, v6, v0
	v_cmp_le_i64_e32 vcc_lo, s[6:7], v[3:4]
	s_or_b32 s0, s0, vcc_lo
	s_wait_alu 0xfffe
	s_nor_b32 s0, s8, s0
	s_wait_dscnt 0x0
	v_add_f32_e32 v0, v0, v1
	ds_bpermute_b32 v1, v7, v0
	s_wait_dscnt 0x0
	v_add_f32_e32 v0, v0, v1
	ds_bpermute_b32 v1, v8, v0
	s_wait_alu 0xfffe
	s_and_saveexec_b32 s1, s0
	s_wait_alu 0xfffe
	s_xor_b32 s1, exec_lo, s1
	s_cbranch_execz .LBB182_93
; %bb.92:
	v_add_co_u32 v2, s0, s4, v2
	s_wait_alu 0xf1ff
	v_add_co_ci_u32_e64 v3, null, s5, 0, s0
	s_wait_dscnt 0x0
	v_add_f32_e32 v4, v0, v1
	s_delay_alu instid0(VALU_DEP_2) | instskip(NEXT) | instid1(VALU_DEP_1)
	v_lshlrev_b64_e32 v[2:3], 1, v[2:3]
	v_add_co_u32 v0, vcc_lo, s2, v2
	s_wait_alu 0xfffd
	s_delay_alu instid0(VALU_DEP_2)
	v_add_co_ci_u32_e64 v1, null, s3, v3, vcc_lo
	v_cvt_f16_f32_e32 v2, v4
	global_store_b16 v[0:1], v2, off offset:32
.LBB182_93:
	s_endpgm
	.section	.rodata,"a",@progbits
	.p2align	6, 0x0
	.amdhsa_kernel _ZN2at6native12_GLOBAL__N_135GammaBetaBackwardCUDAKernelTemplateIN3c104HalfEfLj32ELj16ELj128ELb0ELb0ELb1EEEvllPKT_S7_PKT0_SA_PS5_SB_
		.amdhsa_group_segment_fixed_size 0
		.amdhsa_private_segment_fixed_size 0
		.amdhsa_kernarg_size 320
		.amdhsa_user_sgpr_count 2
		.amdhsa_user_sgpr_dispatch_ptr 0
		.amdhsa_user_sgpr_queue_ptr 0
		.amdhsa_user_sgpr_kernarg_segment_ptr 1
		.amdhsa_user_sgpr_dispatch_id 0
		.amdhsa_user_sgpr_private_segment_size 0
		.amdhsa_wavefront_size32 1
		.amdhsa_uses_dynamic_stack 0
		.amdhsa_enable_private_segment 0
		.amdhsa_system_sgpr_workgroup_id_x 1
		.amdhsa_system_sgpr_workgroup_id_y 1
		.amdhsa_system_sgpr_workgroup_id_z 0
		.amdhsa_system_sgpr_workgroup_info 0
		.amdhsa_system_vgpr_workitem_id 1
		.amdhsa_next_free_vgpr 92
		.amdhsa_next_free_sgpr 32
		.amdhsa_reserve_vcc 1
		.amdhsa_float_round_mode_32 0
		.amdhsa_float_round_mode_16_64 0
		.amdhsa_float_denorm_mode_32 3
		.amdhsa_float_denorm_mode_16_64 3
		.amdhsa_fp16_overflow 0
		.amdhsa_workgroup_processor_mode 1
		.amdhsa_memory_ordered 1
		.amdhsa_forward_progress 1
		.amdhsa_inst_pref_size 77
		.amdhsa_round_robin_scheduling 0
		.amdhsa_exception_fp_ieee_invalid_op 0
		.amdhsa_exception_fp_denorm_src 0
		.amdhsa_exception_fp_ieee_div_zero 0
		.amdhsa_exception_fp_ieee_overflow 0
		.amdhsa_exception_fp_ieee_underflow 0
		.amdhsa_exception_fp_ieee_inexact 0
		.amdhsa_exception_int_div_zero 0
	.end_amdhsa_kernel
	.section	.text._ZN2at6native12_GLOBAL__N_135GammaBetaBackwardCUDAKernelTemplateIN3c104HalfEfLj32ELj16ELj128ELb0ELb0ELb1EEEvllPKT_S7_PKT0_SA_PS5_SB_,"axG",@progbits,_ZN2at6native12_GLOBAL__N_135GammaBetaBackwardCUDAKernelTemplateIN3c104HalfEfLj32ELj16ELj128ELb0ELb0ELb1EEEvllPKT_S7_PKT0_SA_PS5_SB_,comdat
.Lfunc_end182:
	.size	_ZN2at6native12_GLOBAL__N_135GammaBetaBackwardCUDAKernelTemplateIN3c104HalfEfLj32ELj16ELj128ELb0ELb0ELb1EEEvllPKT_S7_PKT0_SA_PS5_SB_, .Lfunc_end182-_ZN2at6native12_GLOBAL__N_135GammaBetaBackwardCUDAKernelTemplateIN3c104HalfEfLj32ELj16ELj128ELb0ELb0ELb1EEEvllPKT_S7_PKT0_SA_PS5_SB_
                                        ; -- End function
	.set _ZN2at6native12_GLOBAL__N_135GammaBetaBackwardCUDAKernelTemplateIN3c104HalfEfLj32ELj16ELj128ELb0ELb0ELb1EEEvllPKT_S7_PKT0_SA_PS5_SB_.num_vgpr, 92
	.set _ZN2at6native12_GLOBAL__N_135GammaBetaBackwardCUDAKernelTemplateIN3c104HalfEfLj32ELj16ELj128ELb0ELb0ELb1EEEvllPKT_S7_PKT0_SA_PS5_SB_.num_agpr, 0
	.set _ZN2at6native12_GLOBAL__N_135GammaBetaBackwardCUDAKernelTemplateIN3c104HalfEfLj32ELj16ELj128ELb0ELb0ELb1EEEvllPKT_S7_PKT0_SA_PS5_SB_.numbered_sgpr, 32
	.set _ZN2at6native12_GLOBAL__N_135GammaBetaBackwardCUDAKernelTemplateIN3c104HalfEfLj32ELj16ELj128ELb0ELb0ELb1EEEvllPKT_S7_PKT0_SA_PS5_SB_.num_named_barrier, 0
	.set _ZN2at6native12_GLOBAL__N_135GammaBetaBackwardCUDAKernelTemplateIN3c104HalfEfLj32ELj16ELj128ELb0ELb0ELb1EEEvllPKT_S7_PKT0_SA_PS5_SB_.private_seg_size, 0
	.set _ZN2at6native12_GLOBAL__N_135GammaBetaBackwardCUDAKernelTemplateIN3c104HalfEfLj32ELj16ELj128ELb0ELb0ELb1EEEvllPKT_S7_PKT0_SA_PS5_SB_.uses_vcc, 1
	.set _ZN2at6native12_GLOBAL__N_135GammaBetaBackwardCUDAKernelTemplateIN3c104HalfEfLj32ELj16ELj128ELb0ELb0ELb1EEEvllPKT_S7_PKT0_SA_PS5_SB_.uses_flat_scratch, 0
	.set _ZN2at6native12_GLOBAL__N_135GammaBetaBackwardCUDAKernelTemplateIN3c104HalfEfLj32ELj16ELj128ELb0ELb0ELb1EEEvllPKT_S7_PKT0_SA_PS5_SB_.has_dyn_sized_stack, 0
	.set _ZN2at6native12_GLOBAL__N_135GammaBetaBackwardCUDAKernelTemplateIN3c104HalfEfLj32ELj16ELj128ELb0ELb0ELb1EEEvllPKT_S7_PKT0_SA_PS5_SB_.has_recursion, 0
	.set _ZN2at6native12_GLOBAL__N_135GammaBetaBackwardCUDAKernelTemplateIN3c104HalfEfLj32ELj16ELj128ELb0ELb0ELb1EEEvllPKT_S7_PKT0_SA_PS5_SB_.has_indirect_call, 0
	.section	.AMDGPU.csdata,"",@progbits
; Kernel info:
; codeLenInByte = 9772
; TotalNumSgprs: 34
; NumVgprs: 92
; ScratchSize: 0
; MemoryBound: 0
; FloatMode: 240
; IeeeMode: 1
; LDSByteSize: 0 bytes/workgroup (compile time only)
; SGPRBlocks: 0
; VGPRBlocks: 11
; NumSGPRsForWavesPerEU: 34
; NumVGPRsForWavesPerEU: 92
; Occupancy: 16
; WaveLimiterHint : 0
; COMPUTE_PGM_RSRC2:SCRATCH_EN: 0
; COMPUTE_PGM_RSRC2:USER_SGPR: 2
; COMPUTE_PGM_RSRC2:TRAP_HANDLER: 0
; COMPUTE_PGM_RSRC2:TGID_X_EN: 1
; COMPUTE_PGM_RSRC2:TGID_Y_EN: 1
; COMPUTE_PGM_RSRC2:TGID_Z_EN: 0
; COMPUTE_PGM_RSRC2:TIDIG_COMP_CNT: 1
	.section	.text._ZN2at6native12_GLOBAL__N_135GammaBetaBackwardCUDAKernelTemplateIN3c104HalfEfLj32ELj32ELj256ELb0ELb1ELb1EEEvllPKT_S7_PKT0_SA_PS5_SB_,"axG",@progbits,_ZN2at6native12_GLOBAL__N_135GammaBetaBackwardCUDAKernelTemplateIN3c104HalfEfLj32ELj32ELj256ELb0ELb1ELb1EEEvllPKT_S7_PKT0_SA_PS5_SB_,comdat
	.globl	_ZN2at6native12_GLOBAL__N_135GammaBetaBackwardCUDAKernelTemplateIN3c104HalfEfLj32ELj32ELj256ELb0ELb1ELb1EEEvllPKT_S7_PKT0_SA_PS5_SB_ ; -- Begin function _ZN2at6native12_GLOBAL__N_135GammaBetaBackwardCUDAKernelTemplateIN3c104HalfEfLj32ELj32ELj256ELb0ELb1ELb1EEEvllPKT_S7_PKT0_SA_PS5_SB_
	.p2align	8
	.type	_ZN2at6native12_GLOBAL__N_135GammaBetaBackwardCUDAKernelTemplateIN3c104HalfEfLj32ELj32ELj256ELb0ELb1ELb1EEEvllPKT_S7_PKT0_SA_PS5_SB_,@function
_ZN2at6native12_GLOBAL__N_135GammaBetaBackwardCUDAKernelTemplateIN3c104HalfEfLj32ELj32ELj256ELb0ELb1ELb1EEEvllPKT_S7_PKT0_SA_PS5_SB_: ; @_ZN2at6native12_GLOBAL__N_135GammaBetaBackwardCUDAKernelTemplateIN3c104HalfEfLj32ELj32ELj256ELb0ELb1ELb1EEEvllPKT_S7_PKT0_SA_PS5_SB_
; %bb.0:
	s_load_b128 s[4:7], s[0:1], 0x0
	s_lshl_b32 s12, ttmp7, 8
	s_mov_b32 s13, 0
	v_bfe_u32 v7, v0, 10, 10
	s_wait_kmcnt 0x0
	v_cmp_gt_i64_e64 s2, s[4:5], s[12:13]
	s_and_b32 vcc_lo, exec_lo, s2
	s_cbranch_vccnz .LBB183_2
; %bb.1:
	v_bfe_u32 v1, v0, 10, 10
	s_mov_b32 s2, s13
	v_and_b32_e32 v6, 0x3ff, v0
	v_mov_b32_e32 v12, 0
	s_and_not1_b32 vcc_lo, exec_lo, s2
	s_cbranch_vccz .LBB183_3
	s_branch .LBB183_10
.LBB183_2:
                                        ; implicit-def: $vgpr1
	v_and_b32_e32 v6, 0x3ff, v0
	v_mov_b32_e32 v12, 0
.LBB183_3:
	s_load_b32 s2, s[0:1], 0x4c
	v_dual_mov_b32 v1, 0 :: v_dual_lshlrev_b32 v0, 3, v7
	s_clause 0x2
	s_load_b32 s3, s[0:1], 0x44
	s_load_b128 s[8:11], s[0:1], 0x10
	s_load_b64 s[16:17], s[0:1], 0x28
	s_mov_b32 s15, 0
	v_dual_mov_b32 v8, 4 :: v_dual_mov_b32 v9, 8
	v_add_co_u32 v2, s14, v0, s12
	s_delay_alu instid0(VALU_DEP_1) | instskip(SKIP_1) | instid1(VALU_DEP_3)
	v_add_co_ci_u32_e64 v3, null, 0, 0, s14
	v_lshl_add_u32 v0, ttmp9, 5, v6
	v_mul_lo_u32 v12, s7, v2
	v_mad_co_u64_u32 v[4:5], null, s6, v2, 0
	s_delay_alu instid0(VALU_DEP_4) | instskip(NEXT) | instid1(VALU_DEP_4)
	v_mul_lo_u32 v14, s6, v3
	v_lshlrev_b64_e32 v[15:16], 1, v[0:1]
	v_dual_mov_b32 v10, 12 :: v_dual_mov_b32 v11, 16
	v_mov_b32_e32 v0, 24
	s_wait_kmcnt 0x0
	s_and_b32 s2, s2, 0xffff
	s_lshl_b32 s14, s3, 8
	v_mad_u32_u24 v13, v7, s2, v6
	v_add3_u32 v5, v5, v14, v12
	v_mov_b32_e32 v14, 28
	v_mov_b32_e32 v12, 0
	s_wait_alu 0xfffe
	s_mul_u64 s[18:19], s[6:7], s[14:15]
	v_and_b32_e32 v19, 31, v13
	v_lshlrev_b64_e32 v[4:5], 1, v[4:5]
	v_mov_b32_e32 v13, 20
	s_lshl_b64 s[18:19], s[18:19], 1
	s_lshl_b64 s[6:7], s[6:7], 1
	v_add_co_u32 v2, vcc_lo, v2, v19
	s_delay_alu instid0(VALU_DEP_1) | instskip(SKIP_3) | instid1(VALU_DEP_3)
	v_add_co_ci_u32_e64 v3, null, 0, v3, vcc_lo
	v_add_co_u32 v15, vcc_lo, v4, v15
	s_wait_alu 0xfffd
	v_add_co_ci_u32_e64 v16, null, v5, v16, vcc_lo
	v_lshlrev_b64_e32 v[17:18], 2, v[2:3]
	v_cmp_gt_u32_e64 s2, 8, v19
	s_delay_alu instid0(VALU_DEP_2) | instskip(SKIP_1) | instid1(VALU_DEP_3)
	v_add_co_u32 v4, vcc_lo, s16, v17
	s_wait_alu 0xfffd
	v_add_co_ci_u32_e64 v5, null, s17, v18, vcc_lo
	s_lshl_b64 s[16:17], s[14:15], 2
	s_branch .LBB183_6
.LBB183_4:                              ;   in Loop: Header=BB183_6 Depth=1
	s_or_b32 exec_lo, exec_lo, s20
.LBB183_5:                              ;   in Loop: Header=BB183_6 Depth=1
	s_wait_alu 0xfffe
	s_or_b32 exec_lo, exec_lo, s3
	v_add_co_u32 v18, vcc_lo, s8, v15
	s_wait_alu 0xfffd
	v_add_co_ci_u32_e64 v19, null, s9, v16, vcc_lo
	v_add_co_u32 v20, vcc_lo, s10, v15
	s_wait_alu 0xfffd
	v_add_co_ci_u32_e64 v21, null, s11, v16, vcc_lo
	;; [unrolled: 3-line block ×4, first 2 shown]
	global_load_u16 v28, v[18:19], off
	global_load_u16 v29, v[20:21], off
	;; [unrolled: 1-line block ×4, first 2 shown]
	v_add_co_u32 v18, vcc_lo, v22, s6
	s_wait_alu 0xfffd
	v_add_co_ci_u32_e64 v19, null, s7, v23, vcc_lo
	v_add_co_u32 v20, vcc_lo, v24, s6
	s_wait_alu 0xfffd
	v_add_co_ci_u32_e64 v21, null, s7, v25, vcc_lo
	;; [unrolled: 3-line block ×5, first 2 shown]
	global_load_u16 v32, v[18:19], off
	global_load_u16 v33, v[20:21], off
	;; [unrolled: 1-line block ×5, first 2 shown]
	v_add_co_u32 v18, vcc_lo, v24, s6
	s_wait_alu 0xfffd
	v_add_co_ci_u32_e64 v19, null, s7, v25, vcc_lo
	v_add_co_u32 v20, vcc_lo, v26, s6
	s_wait_alu 0xfffd
	v_add_co_ci_u32_e64 v21, null, s7, v27, vcc_lo
	;; [unrolled: 3-line block ×5, first 2 shown]
	global_load_u16 v37, v[18:19], off
	global_load_u16 v38, v[20:21], off
	;; [unrolled: 1-line block ×5, first 2 shown]
	v_add_co_u32 v18, vcc_lo, v24, s6
	s_wait_alu 0xfffd
	v_add_co_ci_u32_e64 v19, null, s7, v25, vcc_lo
	v_add_co_u32 v20, vcc_lo, v26, s6
	s_wait_alu 0xfffd
	v_add_co_ci_u32_e64 v21, null, s7, v27, vcc_lo
	global_load_u16 v18, v[18:19], off
	global_load_u16 v19, v[20:21], off
	s_wait_loadcnt 0x10
	ds_bpermute_b32 v20, v1, v17
	ds_bpermute_b32 v21, v8, v17
	;; [unrolled: 1-line block ×3, first 2 shown]
	v_add_co_u32 v4, vcc_lo, v4, s16
	s_add_nc_u64 s[12:13], s[12:13], s[14:15]
	s_wait_alu 0xfffd
	v_add_co_ci_u32_e64 v5, null, s17, v5, vcc_lo
	v_add_co_u32 v2, vcc_lo, v2, s14
	s_wait_alu 0xfffe
	v_cmp_lt_i64_e64 s3, s[12:13], s[4:5]
	s_wait_alu 0xfffd
	v_add_co_ci_u32_e64 v3, null, 0, v3, vcc_lo
	v_add_co_u32 v15, vcc_lo, v15, s18
	s_wait_alu 0xfffd
	v_add_co_ci_u32_e64 v16, null, s19, v16, vcc_lo
	s_and_b32 vcc_lo, exec_lo, s3
	s_wait_loadcnt 0xf
	v_cvt_f32_f16_e32 v24, v28
	s_wait_loadcnt 0xe
	v_cvt_f32_f16_e32 v25, v29
	;; [unrolled: 2-line block ×3, first 2 shown]
	ds_bpermute_b32 v28, v10, v17
	v_mul_f32_e32 v24, v24, v25
	s_wait_loadcnt 0xc
	v_cvt_f32_f16_e32 v25, v31
	s_wait_dscnt 0x3
	s_delay_alu instid0(VALU_DEP_2) | instskip(NEXT) | instid1(VALU_DEP_2)
	v_fmac_f32_e32 v12, v24, v20
	v_mul_f32_e32 v20, v27, v25
	ds_bpermute_b32 v25, v11, v17
	s_wait_dscnt 0x3
	v_fmac_f32_e32 v12, v20, v21
	s_wait_loadcnt 0xb
	v_cvt_f32_f16_e32 v29, v32
	s_wait_loadcnt 0xa
	v_cvt_f32_f16_e32 v24, v33
	;; [unrolled: 2-line block ×4, first 2 shown]
	v_mul_f32_e32 v20, v29, v24
	ds_bpermute_b32 v24, v13, v17
	s_wait_loadcnt 0x7
	v_cvt_f32_f16_e32 v29, v36
	s_wait_dscnt 0x3
	v_fmac_f32_e32 v12, v20, v26
	v_mul_f32_e32 v20, v27, v21
	ds_bpermute_b32 v26, v0, v17
	ds_bpermute_b32 v17, v14, v17
	s_wait_dscnt 0x4
	v_fmac_f32_e32 v12, v20, v28
	s_wait_loadcnt 0x6
	v_cvt_f32_f16_e32 v21, v37
	s_wait_loadcnt 0x5
	v_cvt_f32_f16_e32 v27, v38
	s_delay_alu instid0(VALU_DEP_2)
	v_mul_f32_e32 v20, v29, v21
	s_wait_loadcnt 0x4
	v_cvt_f32_f16_e32 v21, v22
	s_wait_loadcnt 0x3
	v_cvt_f32_f16_e32 v22, v23
	;; [unrolled: 2-line block ×3, first 2 shown]
	s_wait_dscnt 0x3
	v_fmac_f32_e32 v12, v20, v25
	v_mul_f32_e32 v20, v27, v21
	s_wait_loadcnt 0x1
	v_cvt_f32_f16_e32 v18, v18
	s_wait_loadcnt 0x0
	v_cvt_f32_f16_e32 v19, v19
	s_wait_dscnt 0x2
	v_fmac_f32_e32 v12, v20, v24
	v_mul_f32_e32 v20, v22, v23
	s_delay_alu instid0(VALU_DEP_3) | instskip(SKIP_1) | instid1(VALU_DEP_2)
	v_mul_f32_e32 v18, v18, v19
	s_wait_dscnt 0x1
	v_fmac_f32_e32 v12, v20, v26
	s_wait_dscnt 0x0
	s_delay_alu instid0(VALU_DEP_1)
	v_fmac_f32_e32 v12, v18, v17
	s_wait_alu 0xfffe
	s_cbranch_vccz .LBB183_9
.LBB183_6:                              ; =>This Inner Loop Header: Depth=1
	v_mov_b32_e32 v17, 0
	s_and_saveexec_b32 s3, s2
	s_cbranch_execz .LBB183_5
; %bb.7:                                ;   in Loop: Header=BB183_6 Depth=1
	v_mov_b32_e32 v17, 0
	s_mov_b32 s20, exec_lo
	v_cmpx_gt_i64_e64 s[4:5], v[2:3]
	s_cbranch_execz .LBB183_4
; %bb.8:                                ;   in Loop: Header=BB183_6 Depth=1
	global_load_b32 v17, v[4:5], off
	s_branch .LBB183_4
.LBB183_9:
	v_mov_b32_e32 v1, v7
.LBB183_10:
	s_load_b64 s[0:1], s[0:1], 0x30
	s_delay_alu instid0(VALU_DEP_1) | instskip(SKIP_3) | instid1(VALU_DEP_3)
	v_mad_u32_u24 v0, v1, 33, v6
	v_lshrrev_b32_e32 v2, 5, v6
	v_mov_b32_e32 v4, 0
	s_mov_b32 s2, exec_lo
	v_lshl_add_u32 v3, v0, 2, 0
	s_delay_alu instid0(VALU_DEP_3)
	v_add_nc_u32_e32 v0, v2, v1
	ds_store_b32 v3, v12
	ds_store_b32 v3, v4 offset:4224
	s_wait_dscnt 0x0
	s_barrier_signal -1
	s_barrier_wait -1
	global_inv scope:SCOPE_SE
	v_cmpx_gt_u32_e32 32, v0
	s_cbranch_execz .LBB183_13
; %bb.11:
	v_and_b32_e32 v1, 31, v6
	v_lshlrev_b32_e32 v2, 2, v0
	s_wait_kmcnt 0x0
	s_cmp_lg_u64 s[0:1], 0
	s_cselect_b32 s2, -1, 0
	v_mul_u32_u24_e32 v1, 0x84, v1
	s_delay_alu instid0(VALU_DEP_1) | instskip(SKIP_4) | instid1(VALU_DEP_2)
	v_add3_u32 v1, 0, v2, v1
	v_mbcnt_lo_u32_b32 v2, -1, 0
	ds_load_b32 v1, v1
	v_xor_b32_e32 v3, 16, v2
	v_xor_b32_e32 v4, 8, v2
	v_cmp_gt_i32_e32 vcc_lo, 32, v3
	s_wait_alu 0xfffd
	v_cndmask_b32_e32 v3, v2, v3, vcc_lo
	s_delay_alu instid0(VALU_DEP_3) | instskip(SKIP_2) | instid1(VALU_DEP_1)
	v_cmp_gt_i32_e32 vcc_lo, 32, v4
	s_wait_alu 0xfffd
	v_cndmask_b32_e32 v4, v2, v4, vcc_lo
	v_lshlrev_b32_e32 v4, 2, v4
	v_lshlrev_b32_e32 v3, 2, v3
	s_wait_dscnt 0x0
	ds_bpermute_b32 v3, v3, v1
	s_wait_dscnt 0x0
	v_add_f32_e32 v1, v1, v3
	ds_bpermute_b32 v3, v4, v1
	v_xor_b32_e32 v4, 4, v2
	s_delay_alu instid0(VALU_DEP_1) | instskip(SKIP_3) | instid1(VALU_DEP_1)
	v_cmp_gt_i32_e32 vcc_lo, 32, v4
	s_wait_alu 0xfffd
	v_cndmask_b32_e32 v4, v2, v4, vcc_lo
	s_wait_dscnt 0x0
	v_dual_add_f32 v1, v1, v3 :: v_dual_lshlrev_b32 v4, 2, v4
	ds_bpermute_b32 v3, v4, v1
	v_xor_b32_e32 v4, 2, v2
	s_delay_alu instid0(VALU_DEP_1) | instskip(SKIP_3) | instid1(VALU_DEP_1)
	v_cmp_gt_i32_e32 vcc_lo, 32, v4
	s_wait_dscnt 0x0
	s_wait_alu 0xfffd
	v_dual_cndmask_b32 v4, v2, v4 :: v_dual_add_f32 v1, v1, v3
	v_lshlrev_b32_e32 v4, 2, v4
	ds_bpermute_b32 v3, v4, v1
	v_xor_b32_e32 v4, 1, v2
	s_delay_alu instid0(VALU_DEP_1)
	v_cmp_gt_i32_e32 vcc_lo, 32, v4
	s_wait_alu 0xfffd
	v_cndmask_b32_e32 v4, v2, v4, vcc_lo
	v_cmp_eq_u32_e32 vcc_lo, 0, v6
	s_wait_alu 0xfffe
	s_and_b32 s2, vcc_lo, s2
	s_wait_dscnt 0x0
	v_dual_add_f32 v2, v1, v3 :: v_dual_lshlrev_b32 v1, 2, v4
	ds_bpermute_b32 v3, v1, v2
	s_wait_alu 0xfffe
	s_and_b32 exec_lo, exec_lo, s2
	s_cbranch_execz .LBB183_13
; %bb.12:
	s_wait_dscnt 0x0
	v_dual_mov_b32 v1, 0 :: v_dual_add_f32 v2, v2, v3
	s_mov_b32 s2, ttmp9
	s_mov_b32 s3, 0
	s_wait_alu 0xfffe
	s_lshl_b64 s[2:3], s[2:3], 6
	v_lshlrev_b64_e32 v[0:1], 1, v[0:1]
	s_wait_alu 0xfffe
	s_add_nc_u64 s[0:1], s[0:1], s[2:3]
	v_cvt_f16_f32_e32 v2, v2
	s_wait_alu 0xfffe
	s_delay_alu instid0(VALU_DEP_2)
	v_add_co_u32 v0, vcc_lo, s0, v0
	s_wait_alu 0xfffd
	v_add_co_ci_u32_e64 v1, null, s1, v1, vcc_lo
	global_store_b16 v[0:1], v2, off
.LBB183_13:
	s_endpgm
	.section	.rodata,"a",@progbits
	.p2align	6, 0x0
	.amdhsa_kernel _ZN2at6native12_GLOBAL__N_135GammaBetaBackwardCUDAKernelTemplateIN3c104HalfEfLj32ELj32ELj256ELb0ELb1ELb1EEEvllPKT_S7_PKT0_SA_PS5_SB_
		.amdhsa_group_segment_fixed_size 0
		.amdhsa_private_segment_fixed_size 0
		.amdhsa_kernarg_size 320
		.amdhsa_user_sgpr_count 2
		.amdhsa_user_sgpr_dispatch_ptr 0
		.amdhsa_user_sgpr_queue_ptr 0
		.amdhsa_user_sgpr_kernarg_segment_ptr 1
		.amdhsa_user_sgpr_dispatch_id 0
		.amdhsa_user_sgpr_private_segment_size 0
		.amdhsa_wavefront_size32 1
		.amdhsa_uses_dynamic_stack 0
		.amdhsa_enable_private_segment 0
		.amdhsa_system_sgpr_workgroup_id_x 1
		.amdhsa_system_sgpr_workgroup_id_y 1
		.amdhsa_system_sgpr_workgroup_id_z 0
		.amdhsa_system_sgpr_workgroup_info 0
		.amdhsa_system_vgpr_workitem_id 1
		.amdhsa_next_free_vgpr 40
		.amdhsa_next_free_sgpr 21
		.amdhsa_reserve_vcc 1
		.amdhsa_float_round_mode_32 0
		.amdhsa_float_round_mode_16_64 0
		.amdhsa_float_denorm_mode_32 3
		.amdhsa_float_denorm_mode_16_64 3
		.amdhsa_fp16_overflow 0
		.amdhsa_workgroup_processor_mode 1
		.amdhsa_memory_ordered 1
		.amdhsa_forward_progress 1
		.amdhsa_inst_pref_size 15
		.amdhsa_round_robin_scheduling 0
		.amdhsa_exception_fp_ieee_invalid_op 0
		.amdhsa_exception_fp_denorm_src 0
		.amdhsa_exception_fp_ieee_div_zero 0
		.amdhsa_exception_fp_ieee_overflow 0
		.amdhsa_exception_fp_ieee_underflow 0
		.amdhsa_exception_fp_ieee_inexact 0
		.amdhsa_exception_int_div_zero 0
	.end_amdhsa_kernel
	.section	.text._ZN2at6native12_GLOBAL__N_135GammaBetaBackwardCUDAKernelTemplateIN3c104HalfEfLj32ELj32ELj256ELb0ELb1ELb1EEEvllPKT_S7_PKT0_SA_PS5_SB_,"axG",@progbits,_ZN2at6native12_GLOBAL__N_135GammaBetaBackwardCUDAKernelTemplateIN3c104HalfEfLj32ELj32ELj256ELb0ELb1ELb1EEEvllPKT_S7_PKT0_SA_PS5_SB_,comdat
.Lfunc_end183:
	.size	_ZN2at6native12_GLOBAL__N_135GammaBetaBackwardCUDAKernelTemplateIN3c104HalfEfLj32ELj32ELj256ELb0ELb1ELb1EEEvllPKT_S7_PKT0_SA_PS5_SB_, .Lfunc_end183-_ZN2at6native12_GLOBAL__N_135GammaBetaBackwardCUDAKernelTemplateIN3c104HalfEfLj32ELj32ELj256ELb0ELb1ELb1EEEvllPKT_S7_PKT0_SA_PS5_SB_
                                        ; -- End function
	.set _ZN2at6native12_GLOBAL__N_135GammaBetaBackwardCUDAKernelTemplateIN3c104HalfEfLj32ELj32ELj256ELb0ELb1ELb1EEEvllPKT_S7_PKT0_SA_PS5_SB_.num_vgpr, 40
	.set _ZN2at6native12_GLOBAL__N_135GammaBetaBackwardCUDAKernelTemplateIN3c104HalfEfLj32ELj32ELj256ELb0ELb1ELb1EEEvllPKT_S7_PKT0_SA_PS5_SB_.num_agpr, 0
	.set _ZN2at6native12_GLOBAL__N_135GammaBetaBackwardCUDAKernelTemplateIN3c104HalfEfLj32ELj32ELj256ELb0ELb1ELb1EEEvllPKT_S7_PKT0_SA_PS5_SB_.numbered_sgpr, 21
	.set _ZN2at6native12_GLOBAL__N_135GammaBetaBackwardCUDAKernelTemplateIN3c104HalfEfLj32ELj32ELj256ELb0ELb1ELb1EEEvllPKT_S7_PKT0_SA_PS5_SB_.num_named_barrier, 0
	.set _ZN2at6native12_GLOBAL__N_135GammaBetaBackwardCUDAKernelTemplateIN3c104HalfEfLj32ELj32ELj256ELb0ELb1ELb1EEEvllPKT_S7_PKT0_SA_PS5_SB_.private_seg_size, 0
	.set _ZN2at6native12_GLOBAL__N_135GammaBetaBackwardCUDAKernelTemplateIN3c104HalfEfLj32ELj32ELj256ELb0ELb1ELb1EEEvllPKT_S7_PKT0_SA_PS5_SB_.uses_vcc, 1
	.set _ZN2at6native12_GLOBAL__N_135GammaBetaBackwardCUDAKernelTemplateIN3c104HalfEfLj32ELj32ELj256ELb0ELb1ELb1EEEvllPKT_S7_PKT0_SA_PS5_SB_.uses_flat_scratch, 0
	.set _ZN2at6native12_GLOBAL__N_135GammaBetaBackwardCUDAKernelTemplateIN3c104HalfEfLj32ELj32ELj256ELb0ELb1ELb1EEEvllPKT_S7_PKT0_SA_PS5_SB_.has_dyn_sized_stack, 0
	.set _ZN2at6native12_GLOBAL__N_135GammaBetaBackwardCUDAKernelTemplateIN3c104HalfEfLj32ELj32ELj256ELb0ELb1ELb1EEEvllPKT_S7_PKT0_SA_PS5_SB_.has_recursion, 0
	.set _ZN2at6native12_GLOBAL__N_135GammaBetaBackwardCUDAKernelTemplateIN3c104HalfEfLj32ELj32ELj256ELb0ELb1ELb1EEEvllPKT_S7_PKT0_SA_PS5_SB_.has_indirect_call, 0
	.section	.AMDGPU.csdata,"",@progbits
; Kernel info:
; codeLenInByte = 1800
; TotalNumSgprs: 23
; NumVgprs: 40
; ScratchSize: 0
; MemoryBound: 0
; FloatMode: 240
; IeeeMode: 1
; LDSByteSize: 0 bytes/workgroup (compile time only)
; SGPRBlocks: 0
; VGPRBlocks: 4
; NumSGPRsForWavesPerEU: 23
; NumVGPRsForWavesPerEU: 40
; Occupancy: 16
; WaveLimiterHint : 0
; COMPUTE_PGM_RSRC2:SCRATCH_EN: 0
; COMPUTE_PGM_RSRC2:USER_SGPR: 2
; COMPUTE_PGM_RSRC2:TRAP_HANDLER: 0
; COMPUTE_PGM_RSRC2:TGID_X_EN: 1
; COMPUTE_PGM_RSRC2:TGID_Y_EN: 1
; COMPUTE_PGM_RSRC2:TGID_Z_EN: 0
; COMPUTE_PGM_RSRC2:TIDIG_COMP_CNT: 1
	.section	.text._ZN2at6native12_GLOBAL__N_135GammaBetaBackwardCUDAKernelTemplateIN3c104HalfEfLj32ELj32ELj256ELb0ELb0ELb1EEEvllPKT_S7_PKT0_SA_PS5_SB_,"axG",@progbits,_ZN2at6native12_GLOBAL__N_135GammaBetaBackwardCUDAKernelTemplateIN3c104HalfEfLj32ELj32ELj256ELb0ELb0ELb1EEEvllPKT_S7_PKT0_SA_PS5_SB_,comdat
	.globl	_ZN2at6native12_GLOBAL__N_135GammaBetaBackwardCUDAKernelTemplateIN3c104HalfEfLj32ELj32ELj256ELb0ELb0ELb1EEEvllPKT_S7_PKT0_SA_PS5_SB_ ; -- Begin function _ZN2at6native12_GLOBAL__N_135GammaBetaBackwardCUDAKernelTemplateIN3c104HalfEfLj32ELj32ELj256ELb0ELb0ELb1EEEvllPKT_S7_PKT0_SA_PS5_SB_
	.p2align	8
	.type	_ZN2at6native12_GLOBAL__N_135GammaBetaBackwardCUDAKernelTemplateIN3c104HalfEfLj32ELj32ELj256ELb0ELb0ELb1EEEvllPKT_S7_PKT0_SA_PS5_SB_,@function
_ZN2at6native12_GLOBAL__N_135GammaBetaBackwardCUDAKernelTemplateIN3c104HalfEfLj32ELj32ELj256ELb0ELb0ELb1EEEvllPKT_S7_PKT0_SA_PS5_SB_: ; @_ZN2at6native12_GLOBAL__N_135GammaBetaBackwardCUDAKernelTemplateIN3c104HalfEfLj32ELj32ELj256ELb0ELb0ELb1EEEvllPKT_S7_PKT0_SA_PS5_SB_
; %bb.0:
	s_clause 0x1
	s_load_b256 s[4:11], s[0:1], 0x0
	s_load_b64 s[12:13], s[0:1], 0x28
	s_lshl_b32 s28, ttmp9, 5
	s_mov_b32 s15, 0
	s_or_b32 s14, s28, 31
	s_wait_kmcnt 0x0
	v_cmp_le_i64_e64 s2, s[6:7], s[14:15]
	s_lshl_b32 s14, ttmp7, 8
	s_wait_alu 0xfffe
	v_cmp_gt_i64_e64 s29, s[4:5], s[14:15]
	s_and_b32 vcc_lo, exec_lo, s2
	v_cndmask_b32_e64 v1, 0, 1, s29
	s_delay_alu instid0(VALU_DEP_1)
	v_cmp_ne_u32_e64 s2, 1, v1
	s_cbranch_vccz .LBB184_49
; %bb.1:
	v_mov_b32_e32 v86, 0
	s_and_b32 vcc_lo, exec_lo, s2
	s_cbranch_vccnz .LBB184_50
; %bb.2:
	v_bfe_u32 v20, v0, 10, 10
	v_dual_mov_b32 v1, 0 :: v_dual_and_b32 v22, 0x3ff, v0
	s_load_b32 s3, s[0:1], 0x44
	s_mov_b32 s17, 0
	s_delay_alu instid0(VALU_DEP_2) | instskip(NEXT) | instid1(VALU_DEP_2)
	v_lshlrev_b32_e32 v21, 3, v20
	v_dual_mov_b32 v3, v1 :: v_dual_add_nc_u32 v2, s28, v22
	s_mov_b32 s21, s17
	v_mov_b32_e32 v55, 0
	s_delay_alu instid0(VALU_DEP_3) | instskip(NEXT) | instid1(VALU_DEP_1)
	v_add_co_u32 v10, s2, v21, s14
	v_add_co_ci_u32_e64 v11, null, 0, 0, s2
	v_cmp_gt_i64_e64 s2, s[6:7], v[2:3]
	s_delay_alu instid0(VALU_DEP_3) | instskip(SKIP_1) | instid1(VALU_DEP_4)
	v_mul_lo_u32 v6, s7, v10
	v_mad_co_u64_u32 v[4:5], null, s6, v10, 0
	v_mul_lo_u32 v7, s6, v11
	v_add_co_u32 v8, vcc_lo, v10, 7
	s_delay_alu instid0(VALU_DEP_1) | instskip(SKIP_1) | instid1(VALU_DEP_3)
	v_add_co_ci_u32_e64 v9, null, 0, v11, vcc_lo
	v_lshlrev_b64_e32 v[18:19], 1, v[2:3]
	v_mul_lo_u32 v12, s7, v8
	s_wait_kmcnt 0x0
	s_lshl_b32 s20, s3, 8
	v_add3_u32 v5, v5, v7, v6
	v_mad_co_u64_u32 v[6:7], null, s6, v8, 0
	v_add_co_u32 v8, vcc_lo, v10, 6
	v_mul_lo_u32 v13, s6, v9
	s_wait_alu 0xfffd
	v_add_co_ci_u32_e64 v9, null, 0, v11, vcc_lo
	v_lshlrev_b64_e32 v[2:3], 1, v[4:5]
	v_mul_lo_u32 v14, s7, v8
	s_mul_u64 s[22:23], s[6:7], s[20:21]
	s_delay_alu instid0(VALU_DEP_3) | instskip(SKIP_1) | instid1(VALU_DEP_4)
	v_mul_lo_u32 v15, s6, v9
	v_mad_co_u64_u32 v[8:9], null, s6, v8, 0
	v_add_co_u32 v23, vcc_lo, s8, v2
	s_wait_alu 0xfffd
	v_add_co_ci_u32_e64 v24, null, s9, v3, vcc_lo
	v_add_co_u32 v25, vcc_lo, s10, v2
	v_add3_u32 v7, v7, v13, v12
	s_wait_alu 0xfffd
	v_add_co_ci_u32_e64 v26, null, s11, v3, vcc_lo
	v_add_co_u32 v12, vcc_lo, v10, 5
	v_add3_u32 v9, v9, v15, v14
	s_wait_alu 0xfffd
	v_add_co_ci_u32_e64 v13, null, 0, v11, vcc_lo
	v_lshlrev_b64_e32 v[2:3], 1, v[6:7]
	v_mul_lo_u32 v14, s7, v12
	v_lshlrev_b64_e32 v[6:7], 1, v[8:9]
	s_delay_alu instid0(VALU_DEP_4)
	v_mul_lo_u32 v13, s6, v13
	v_mad_co_u64_u32 v[8:9], null, s6, v12, 0
	v_add_co_u32 v27, vcc_lo, s8, v2
	s_wait_alu 0xfffd
	v_add_co_ci_u32_e64 v28, null, s9, v3, vcc_lo
	v_add_co_u32 v29, vcc_lo, s10, v2
	s_wait_alu 0xfffd
	v_add_co_ci_u32_e64 v30, null, s11, v3, vcc_lo
	v_add_co_u32 v31, vcc_lo, s8, v6
	v_add3_u32 v9, v9, v13, v14
	s_wait_alu 0xfffd
	v_add_co_ci_u32_e64 v32, null, s9, v7, vcc_lo
	v_add_co_u32 v12, vcc_lo, v10, 4
	v_add_co_u32 v33, s3, s10, v6
	s_wait_alu 0xfffd
	v_add_co_ci_u32_e64 v6, null, 0, v11, vcc_lo
	v_lshlrev_b64_e32 v[2:3], 1, v[8:9]
	v_add_co_u32 v8, vcc_lo, v10, 3
	s_wait_alu 0xfffd
	v_add_co_ci_u32_e64 v9, null, 0, v11, vcc_lo
	s_wait_alu 0xf1ff
	v_add_co_ci_u32_e64 v34, null, s11, v7, s3
	v_mul_lo_u32 v13, s7, v12
	v_mul_lo_u32 v14, s6, v6
	v_mad_co_u64_u32 v[6:7], null, s6, v12, 0
	v_mul_lo_u32 v12, s7, v8
	v_mul_lo_u32 v15, s6, v9
	v_mad_co_u64_u32 v[8:9], null, s6, v8, 0
	v_add_co_u32 v35, vcc_lo, s8, v2
	s_wait_alu 0xfffd
	v_add_co_ci_u32_e64 v36, null, s9, v3, vcc_lo
	v_add3_u32 v7, v7, v14, v13
	v_add_co_u32 v37, vcc_lo, s10, v2
	s_wait_alu 0xfffd
	v_add_co_ci_u32_e64 v38, null, s11, v3, vcc_lo
	v_add_co_u32 v10, vcc_lo, v10, 2
	v_add3_u32 v9, v9, v15, v12
	s_wait_alu 0xfffd
	v_add_co_ci_u32_e64 v11, null, 0, v11, vcc_lo
	v_lshlrev_b64_e32 v[2:3], 1, v[6:7]
	v_mul_lo_u32 v12, s7, v10
	v_lshlrev_b64_e32 v[6:7], 1, v[8:9]
	s_delay_alu instid0(VALU_DEP_4)
	v_mul_lo_u32 v11, s6, v11
	v_mad_co_u64_u32 v[8:9], null, s6, v10, 0
	v_add_co_u32 v39, vcc_lo, s8, v2
	s_wait_alu 0xfffd
	v_add_co_ci_u32_e64 v40, null, s9, v3, vcc_lo
	v_add_co_u32 v41, vcc_lo, s10, v2
	s_wait_alu 0xfffd
	v_add_co_ci_u32_e64 v42, null, s11, v3, vcc_lo
	;; [unrolled: 3-line block ×3, first 2 shown]
	v_add3_u32 v9, v9, v11, v12
	v_add_co_u32 v45, vcc_lo, s10, v6
	s_wait_alu 0xfffd
	v_add_co_ci_u32_e64 v46, null, s11, v7, vcc_lo
	v_add_co_u32 v4, vcc_lo, v4, s6
	s_wait_alu 0xfffd
	v_add_co_ci_u32_e64 v5, null, s7, v5, vcc_lo
	v_lshlrev_b64_e32 v[2:3], 1, v[8:9]
	s_add_nc_u64 s[18:19], s[0:1], 64
	s_lshl_b64 s[22:23], s[22:23], 1
	s_delay_alu instid0(VALU_DEP_2)
	v_lshlrev_b64_e32 v[4:5], 1, v[4:5]
	s_add_nc_u64 s[24:25], s[14:15], 0xff
	s_mov_b64 s[26:27], s[14:15]
	v_add_co_u32 v47, vcc_lo, s8, v2
	s_wait_alu 0xfffd
	v_add_co_ci_u32_e64 v48, null, s9, v3, vcc_lo
	v_add_co_u32 v49, vcc_lo, s10, v2
	s_wait_alu 0xfffd
	v_add_co_ci_u32_e64 v50, null, s11, v3, vcc_lo
	;; [unrolled: 3-line block ×4, first 2 shown]
.LBB184_3:                              ; =>This Inner Loop Header: Depth=1
	v_cmp_ge_i64_e64 s3, s[24:25], s[4:5]
	v_add_co_u32 v56, s16, v21, s24
	s_wait_alu 0xf1ff
	v_add_co_ci_u32_e64 v57, null, 0, s25, s16
                                        ; implicit-def: $vgpr2_vgpr3_vgpr4_vgpr5_vgpr6_vgpr7_vgpr8_vgpr9
                                        ; implicit-def: $vgpr86
                                        ; implicit-def: $vgpr10_vgpr11_vgpr12_vgpr13_vgpr14_vgpr15_vgpr16_vgpr17
                                        ; implicit-def: $vgpr2
	s_and_b32 vcc_lo, exec_lo, s3
	s_mov_b32 s3, -1
	s_wait_alu 0xfffe
	s_cbranch_vccz .LBB184_25
; %bb.4:                                ;   in Loop: Header=BB184_3 Depth=1
	s_load_b32 s3, s[18:19], 0xc
	v_mov_b32_e32 v58, 0
	s_wait_kmcnt 0x0
	s_and_b32 s3, s3, 0xffff
	s_wait_alu 0xfffe
	v_mad_u32_u24 v2, v20, s3, v22
	s_mov_b32 s3, exec_lo
	s_delay_alu instid0(VALU_DEP_1) | instskip(NEXT) | instid1(VALU_DEP_1)
	v_and_b32_e32 v2, 31, v2
	v_cmpx_gt_u32_e32 8, v2
	s_cbranch_execz .LBB184_8
; %bb.5:                                ;   in Loop: Header=BB184_3 Depth=1
	v_add_co_u32 v2, vcc_lo, v56, v2
	s_wait_alu 0xfffd
	v_add_co_ci_u32_e64 v3, null, 0, v57, vcc_lo
	v_mov_b32_e32 v58, 0
	s_delay_alu instid0(VALU_DEP_3) | instskip(SKIP_1) | instid1(VALU_DEP_3)
	v_add_co_u32 v2, vcc_lo, 0xffffff01, v2
	s_wait_alu 0xfffd
	v_add_co_ci_u32_e64 v3, null, -1, v3, vcc_lo
	s_mov_b32 s16, exec_lo
	v_cmpx_gt_i64_e64 s[4:5], v[2:3]
	s_cbranch_execz .LBB184_7
; %bb.6:                                ;   in Loop: Header=BB184_3 Depth=1
	v_lshlrev_b64_e32 v[2:3], 2, v[2:3]
	s_delay_alu instid0(VALU_DEP_1) | instskip(SKIP_1) | instid1(VALU_DEP_2)
	v_add_co_u32 v2, vcc_lo, s12, v2
	s_wait_alu 0xfffd
	v_add_co_ci_u32_e64 v3, null, s13, v3, vcc_lo
	global_load_b32 v58, v[2:3], off
.LBB184_7:                              ;   in Loop: Header=BB184_3 Depth=1
	s_wait_alu 0xfffe
	s_or_b32 exec_lo, exec_lo, s16
.LBB184_8:                              ;   in Loop: Header=BB184_3 Depth=1
	s_wait_alu 0xfffe
	s_or_b32 exec_lo, exec_lo, s3
	v_add_co_u32 v9, vcc_lo, 0xffffff01, v56
	s_wait_alu 0xfffd
	v_add_co_ci_u32_e64 v10, null, -1, v57, vcc_lo
	v_mov_b32_e32 v8, v1
	v_dual_mov_b32 v2, v1 :: v_dual_mov_b32 v3, v1
	v_dual_mov_b32 v4, v1 :: v_dual_mov_b32 v5, v1
	;; [unrolled: 1-line block ×3, first 2 shown]
	v_cmp_gt_i64_e32 vcc_lo, s[4:5], v[9:10]
	s_delay_alu instid0(VALU_DEP_3) | instskip(NEXT) | instid1(VALU_DEP_3)
	v_dual_mov_b32 v17, v8 :: v_dual_mov_b32 v14, v5
	v_dual_mov_b32 v15, v6 :: v_dual_mov_b32 v16, v7
	;; [unrolled: 1-line block ×4, first 2 shown]
	v_mov_b32_e32 v9, v8
	v_mov_b32_e32 v8, v7
	;; [unrolled: 1-line block ×8, first 2 shown]
	s_and_b32 s16, s2, vcc_lo
	s_wait_alu 0xfffe
	s_and_saveexec_b32 s3, s16
	s_cbranch_execz .LBB184_10
; %bb.9:                                ;   in Loop: Header=BB184_3 Depth=1
	v_add_co_u32 v2, vcc_lo, v23, v18
	s_wait_alu 0xfffd
	v_add_co_ci_u32_e64 v3, null, v24, v19, vcc_lo
	v_add_co_u32 v4, vcc_lo, v25, v18
	s_wait_alu 0xfffd
	v_add_co_ci_u32_e64 v5, null, v26, v19, vcc_lo
	global_load_u16 v2, v[2:3], off
	global_load_u16 v10, v[4:5], off
	v_dual_mov_b32 v3, v1 :: v_dual_mov_b32 v4, v1
	v_dual_mov_b32 v5, v1 :: v_dual_mov_b32 v6, v1
	;; [unrolled: 1-line block ×6, first 2 shown]
	v_mov_b32_e32 v15, v1
	v_mov_b32_e32 v17, v1
	s_wait_loadcnt 0x1
	v_cvt_f32_f16_e32 v2, v2
	s_wait_loadcnt 0x0
	v_cvt_f32_f16_e32 v10, v10
.LBB184_10:                             ;   in Loop: Header=BB184_3 Depth=1
	s_wait_alu 0xfffe
	s_or_b32 exec_lo, exec_lo, s3
	v_add_co_u32 v59, vcc_lo, 0xffffff02, v56
	s_wait_alu 0xfffd
	v_add_co_ci_u32_e64 v60, null, -1, v57, vcc_lo
	s_delay_alu instid0(VALU_DEP_1)
	v_cmp_gt_i64_e32 vcc_lo, s[4:5], v[59:60]
	s_and_b32 s16, s2, vcc_lo
	s_wait_alu 0xfffe
	s_and_saveexec_b32 s3, s16
	s_cbranch_execz .LBB184_12
; %bb.11:                               ;   in Loop: Header=BB184_3 Depth=1
	v_add_co_u32 v59, vcc_lo, v51, v18
	s_wait_alu 0xfffd
	v_add_co_ci_u32_e64 v60, null, v52, v19, vcc_lo
	v_add_co_u32 v61, vcc_lo, v53, v18
	s_wait_alu 0xfffd
	v_add_co_ci_u32_e64 v62, null, v54, v19, vcc_lo
	global_load_u16 v3, v[59:60], off
	global_load_u16 v11, v[61:62], off
	s_wait_loadcnt 0x1
	v_cvt_f32_f16_e32 v3, v3
	s_wait_loadcnt 0x0
	v_cvt_f32_f16_e32 v11, v11
.LBB184_12:                             ;   in Loop: Header=BB184_3 Depth=1
	s_wait_alu 0xfffe
	s_or_b32 exec_lo, exec_lo, s3
	v_add_co_u32 v59, vcc_lo, 0xffffff03, v56
	s_wait_alu 0xfffd
	v_add_co_ci_u32_e64 v60, null, -1, v57, vcc_lo
	s_delay_alu instid0(VALU_DEP_1)
	v_cmp_gt_i64_e32 vcc_lo, s[4:5], v[59:60]
	s_and_b32 s16, s2, vcc_lo
	s_wait_alu 0xfffe
	s_and_saveexec_b32 s3, s16
	s_cbranch_execz .LBB184_14
; %bb.13:                               ;   in Loop: Header=BB184_3 Depth=1
	v_add_co_u32 v59, vcc_lo, v47, v18
	s_wait_alu 0xfffd
	v_add_co_ci_u32_e64 v60, null, v48, v19, vcc_lo
	v_add_co_u32 v61, vcc_lo, v49, v18
	s_wait_alu 0xfffd
	v_add_co_ci_u32_e64 v62, null, v50, v19, vcc_lo
	global_load_u16 v4, v[59:60], off
	global_load_u16 v12, v[61:62], off
	s_wait_loadcnt 0x1
	v_cvt_f32_f16_e32 v4, v4
	s_wait_loadcnt 0x0
	v_cvt_f32_f16_e32 v12, v12
.LBB184_14:                             ;   in Loop: Header=BB184_3 Depth=1
	s_wait_alu 0xfffe
	s_or_b32 exec_lo, exec_lo, s3
	v_add_co_u32 v59, vcc_lo, 0xffffff04, v56
	s_wait_alu 0xfffd
	v_add_co_ci_u32_e64 v60, null, -1, v57, vcc_lo
	s_delay_alu instid0(VALU_DEP_1)
	v_cmp_gt_i64_e32 vcc_lo, s[4:5], v[59:60]
	s_and_b32 s16, s2, vcc_lo
	s_wait_alu 0xfffe
	s_and_saveexec_b32 s3, s16
	s_cbranch_execz .LBB184_16
; %bb.15:                               ;   in Loop: Header=BB184_3 Depth=1
	v_add_co_u32 v59, vcc_lo, v43, v18
	s_wait_alu 0xfffd
	v_add_co_ci_u32_e64 v60, null, v44, v19, vcc_lo
	v_add_co_u32 v61, vcc_lo, v45, v18
	s_wait_alu 0xfffd
	v_add_co_ci_u32_e64 v62, null, v46, v19, vcc_lo
	global_load_u16 v5, v[59:60], off
	global_load_u16 v13, v[61:62], off
	s_wait_loadcnt 0x1
	v_cvt_f32_f16_e32 v5, v5
	s_wait_loadcnt 0x0
	v_cvt_f32_f16_e32 v13, v13
.LBB184_16:                             ;   in Loop: Header=BB184_3 Depth=1
	s_wait_alu 0xfffe
	s_or_b32 exec_lo, exec_lo, s3
	v_add_co_u32 v59, vcc_lo, 0xffffff05, v56
	s_wait_alu 0xfffd
	v_add_co_ci_u32_e64 v60, null, -1, v57, vcc_lo
	s_delay_alu instid0(VALU_DEP_1)
	v_cmp_gt_i64_e32 vcc_lo, s[4:5], v[59:60]
	s_and_b32 s16, s2, vcc_lo
	s_wait_alu 0xfffe
	s_and_saveexec_b32 s3, s16
	s_cbranch_execz .LBB184_18
; %bb.17:                               ;   in Loop: Header=BB184_3 Depth=1
	v_add_co_u32 v59, vcc_lo, v39, v18
	s_wait_alu 0xfffd
	v_add_co_ci_u32_e64 v60, null, v40, v19, vcc_lo
	v_add_co_u32 v61, vcc_lo, v41, v18
	s_wait_alu 0xfffd
	v_add_co_ci_u32_e64 v62, null, v42, v19, vcc_lo
	global_load_u16 v6, v[59:60], off
	global_load_u16 v14, v[61:62], off
	s_wait_loadcnt 0x1
	v_cvt_f32_f16_e32 v6, v6
	s_wait_loadcnt 0x0
	v_cvt_f32_f16_e32 v14, v14
.LBB184_18:                             ;   in Loop: Header=BB184_3 Depth=1
	s_wait_alu 0xfffe
	s_or_b32 exec_lo, exec_lo, s3
	v_add_co_u32 v59, vcc_lo, 0xffffff06, v56
	s_wait_alu 0xfffd
	v_add_co_ci_u32_e64 v60, null, -1, v57, vcc_lo
	s_delay_alu instid0(VALU_DEP_1)
	v_cmp_gt_i64_e32 vcc_lo, s[4:5], v[59:60]
	s_and_b32 s16, s2, vcc_lo
	s_wait_alu 0xfffe
	s_and_saveexec_b32 s3, s16
	s_cbranch_execz .LBB184_20
; %bb.19:                               ;   in Loop: Header=BB184_3 Depth=1
	v_add_co_u32 v59, vcc_lo, v35, v18
	s_wait_alu 0xfffd
	v_add_co_ci_u32_e64 v60, null, v36, v19, vcc_lo
	v_add_co_u32 v61, vcc_lo, v37, v18
	s_wait_alu 0xfffd
	v_add_co_ci_u32_e64 v62, null, v38, v19, vcc_lo
	global_load_u16 v7, v[59:60], off
	global_load_u16 v15, v[61:62], off
	s_wait_loadcnt 0x1
	v_cvt_f32_f16_e32 v7, v7
	s_wait_loadcnt 0x0
	v_cvt_f32_f16_e32 v15, v15
.LBB184_20:                             ;   in Loop: Header=BB184_3 Depth=1
	s_wait_alu 0xfffe
	s_or_b32 exec_lo, exec_lo, s3
	v_add_co_u32 v59, vcc_lo, 0xffffff07, v56
	s_wait_alu 0xfffd
	v_add_co_ci_u32_e64 v60, null, -1, v57, vcc_lo
	s_delay_alu instid0(VALU_DEP_1)
	v_cmp_gt_i64_e32 vcc_lo, s[4:5], v[59:60]
	s_and_b32 s16, s2, vcc_lo
	s_wait_alu 0xfffe
	s_and_saveexec_b32 s3, s16
	s_cbranch_execz .LBB184_22
; %bb.21:                               ;   in Loop: Header=BB184_3 Depth=1
	v_add_co_u32 v59, vcc_lo, v31, v18
	s_wait_alu 0xfffd
	v_add_co_ci_u32_e64 v60, null, v32, v19, vcc_lo
	v_add_co_u32 v61, vcc_lo, v33, v18
	s_wait_alu 0xfffd
	v_add_co_ci_u32_e64 v62, null, v34, v19, vcc_lo
	global_load_u16 v8, v[59:60], off
	global_load_u16 v16, v[61:62], off
	s_wait_loadcnt 0x1
	v_cvt_f32_f16_e32 v8, v8
	s_wait_loadcnt 0x0
	v_cvt_f32_f16_e32 v16, v16
.LBB184_22:                             ;   in Loop: Header=BB184_3 Depth=1
	s_wait_alu 0xfffe
	s_or_b32 exec_lo, exec_lo, s3
	v_add_co_u32 v59, vcc_lo, 0xffffff08, v56
	s_wait_alu 0xfffd
	v_add_co_ci_u32_e64 v60, null, -1, v57, vcc_lo
	s_delay_alu instid0(VALU_DEP_1)
	v_cmp_gt_i64_e32 vcc_lo, s[4:5], v[59:60]
	s_and_b32 s16, s2, vcc_lo
	s_wait_alu 0xfffe
	s_and_saveexec_b32 s3, s16
	s_cbranch_execz .LBB184_24
; %bb.23:                               ;   in Loop: Header=BB184_3 Depth=1
	v_add_co_u32 v59, vcc_lo, v27, v18
	s_wait_alu 0xfffd
	v_add_co_ci_u32_e64 v60, null, v28, v19, vcc_lo
	v_add_co_u32 v61, vcc_lo, v29, v18
	s_wait_alu 0xfffd
	v_add_co_ci_u32_e64 v62, null, v30, v19, vcc_lo
	global_load_u16 v9, v[59:60], off
	global_load_u16 v17, v[61:62], off
	s_wait_loadcnt 0x1
	v_cvt_f32_f16_e32 v9, v9
	s_wait_loadcnt 0x0
	v_cvt_f32_f16_e32 v17, v17
.LBB184_24:                             ;   in Loop: Header=BB184_3 Depth=1
	s_wait_alu 0xfffe
	s_or_b32 exec_lo, exec_lo, s3
	s_wait_loadcnt 0x0
	ds_bpermute_b32 v59, v1, v58
	ds_bpermute_b32 v60, v1, v58 offset:4
	ds_bpermute_b32 v61, v1, v58 offset:8
	v_dual_mul_f32 v2, v10, v2 :: v_dual_mul_f32 v3, v11, v3
	ds_bpermute_b32 v10, v1, v58 offset:12
	ds_bpermute_b32 v11, v1, v58 offset:16
	v_mul_f32_e32 v6, v14, v6
	s_mov_b32 s3, 0
	s_wait_dscnt 0x4
	v_fma_f32 v86, v2, v59, v55
	v_mul_f32_e32 v2, v12, v4
	ds_bpermute_b32 v4, v1, v58 offset:20
	s_wait_dscnt 0x4
	v_dual_fmac_f32 v86, v3, v60 :: v_dual_mul_f32 v3, v13, v5
	ds_bpermute_b32 v5, v1, v58 offset:24
	s_wait_dscnt 0x4
	v_fmac_f32_e32 v86, v2, v61
	ds_bpermute_b32 v2, v1, v58 offset:28
	s_wait_dscnt 0x4
	v_fmac_f32_e32 v86, v3, v10
	v_mul_f32_e32 v3, v15, v7
	s_wait_dscnt 0x3
	s_delay_alu instid0(VALU_DEP_2) | instskip(SKIP_1) | instid1(VALU_DEP_1)
	v_fmac_f32_e32 v86, v6, v11
	s_wait_dscnt 0x2
	v_fmac_f32_e32 v86, v3, v4
	v_mul_f32_e32 v3, v16, v8
	s_wait_dscnt 0x1
	s_delay_alu instid0(VALU_DEP_1)
	v_fmac_f32_e32 v86, v3, v5
.LBB184_25:                             ;   in Loop: Header=BB184_3 Depth=1
	s_wait_alu 0xfffe
	s_and_b32 vcc_lo, exec_lo, s3
	s_wait_alu 0xfffe
	s_cbranch_vccz .LBB184_40
; %bb.26:                               ;   in Loop: Header=BB184_3 Depth=1
	s_load_b32 s3, s[18:19], 0x0
	v_mov_b32_e32 v58, 0
	s_wait_kmcnt 0x0
	s_cmp_lt_u32 ttmp9, s3
	s_cselect_b32 s16, 12, 18
	s_wait_alu 0xfffe
	s_add_nc_u64 s[30:31], s[18:19], s[16:17]
	s_load_u16 s3, s[30:31], 0x0
	s_wait_dscnt 0x0
	s_wait_kmcnt 0x0
	v_mad_u32_u24 v2, v20, s3, v22
	s_mov_b32 s3, exec_lo
	s_delay_alu instid0(VALU_DEP_1) | instskip(NEXT) | instid1(VALU_DEP_1)
	v_and_b32_e32 v2, 31, v2
	v_cmpx_gt_u32_e32 8, v2
	s_cbranch_execz .LBB184_30
; %bb.27:                               ;   in Loop: Header=BB184_3 Depth=1
	v_add_co_u32 v2, vcc_lo, v56, v2
	s_wait_alu 0xfffd
	v_add_co_ci_u32_e64 v3, null, 0, v57, vcc_lo
	v_mov_b32_e32 v58, 0
	s_delay_alu instid0(VALU_DEP_3) | instskip(SKIP_1) | instid1(VALU_DEP_3)
	v_add_co_u32 v2, vcc_lo, 0xffffff01, v2
	s_wait_alu 0xfffd
	v_add_co_ci_u32_e64 v3, null, -1, v3, vcc_lo
	s_mov_b32 s16, exec_lo
	v_cmpx_gt_i64_e64 s[4:5], v[2:3]
	s_cbranch_execz .LBB184_29
; %bb.28:                               ;   in Loop: Header=BB184_3 Depth=1
	v_lshlrev_b64_e32 v[2:3], 2, v[2:3]
	s_delay_alu instid0(VALU_DEP_1) | instskip(SKIP_1) | instid1(VALU_DEP_2)
	v_add_co_u32 v2, vcc_lo, s12, v2
	s_wait_alu 0xfffd
	v_add_co_ci_u32_e64 v3, null, s13, v3, vcc_lo
	global_load_b32 v58, v[2:3], off
.LBB184_29:                             ;   in Loop: Header=BB184_3 Depth=1
	s_wait_alu 0xfffe
	s_or_b32 exec_lo, exec_lo, s16
.LBB184_30:                             ;   in Loop: Header=BB184_3 Depth=1
	s_wait_alu 0xfffe
	s_or_b32 exec_lo, exec_lo, s3
	v_mov_b32_e32 v8, v1
	v_dual_mov_b32 v2, v1 :: v_dual_mov_b32 v3, v1
	v_dual_mov_b32 v4, v1 :: v_dual_mov_b32 v5, v1
	;; [unrolled: 1-line block ×3, first 2 shown]
	s_delay_alu instid0(VALU_DEP_4) | instskip(NEXT) | instid1(VALU_DEP_3)
	v_mov_b32_e32 v17, v8
	v_dual_mov_b32 v13, v4 :: v_dual_mov_b32 v12, v3
	s_delay_alu instid0(VALU_DEP_3) | instskip(NEXT) | instid1(VALU_DEP_4)
	v_dual_mov_b32 v15, v6 :: v_dual_mov_b32 v14, v5
	v_dual_mov_b32 v16, v7 :: v_dual_mov_b32 v11, v2
	;; [unrolled: 1-line block ×3, first 2 shown]
	v_mov_b32_e32 v8, v7
	v_mov_b32_e32 v7, v6
	;; [unrolled: 1-line block ×7, first 2 shown]
	s_and_saveexec_b32 s3, s2
	s_cbranch_execnz .LBB184_42
; %bb.31:                               ;   in Loop: Header=BB184_3 Depth=1
	s_wait_alu 0xfffe
	s_or_b32 exec_lo, exec_lo, s3
	s_and_saveexec_b32 s3, s2
	s_cbranch_execnz .LBB184_43
.LBB184_32:                             ;   in Loop: Header=BB184_3 Depth=1
	s_wait_alu 0xfffe
	s_or_b32 exec_lo, exec_lo, s3
	s_and_saveexec_b32 s3, s2
	s_cbranch_execnz .LBB184_44
.LBB184_33:                             ;   in Loop: Header=BB184_3 Depth=1
	s_wait_alu 0xfffe
	s_or_b32 exec_lo, exec_lo, s3
	s_and_saveexec_b32 s3, s2
	s_cbranch_execnz .LBB184_45
.LBB184_34:                             ;   in Loop: Header=BB184_3 Depth=1
	s_wait_alu 0xfffe
	s_or_b32 exec_lo, exec_lo, s3
	s_and_saveexec_b32 s3, s2
	s_cbranch_execnz .LBB184_46
.LBB184_35:                             ;   in Loop: Header=BB184_3 Depth=1
	s_wait_alu 0xfffe
	s_or_b32 exec_lo, exec_lo, s3
	s_and_saveexec_b32 s3, s2
	s_cbranch_execnz .LBB184_47
.LBB184_36:                             ;   in Loop: Header=BB184_3 Depth=1
	s_wait_alu 0xfffe
	s_or_b32 exec_lo, exec_lo, s3
	s_and_saveexec_b32 s3, s2
	s_cbranch_execnz .LBB184_48
.LBB184_37:                             ;   in Loop: Header=BB184_3 Depth=1
	s_wait_alu 0xfffe
	s_or_b32 exec_lo, exec_lo, s3
	s_and_saveexec_b32 s3, s2
	s_cbranch_execz .LBB184_39
.LBB184_38:                             ;   in Loop: Header=BB184_3 Depth=1
	v_add_co_u32 v56, vcc_lo, v27, v18
	s_wait_alu 0xfffd
	v_add_co_ci_u32_e64 v57, null, v28, v19, vcc_lo
	v_add_co_u32 v59, vcc_lo, v29, v18
	s_wait_alu 0xfffd
	v_add_co_ci_u32_e64 v60, null, v30, v19, vcc_lo
	global_load_u16 v9, v[56:57], off
	global_load_u16 v17, v[59:60], off
	s_wait_loadcnt 0x1
	v_cvt_f32_f16_e32 v9, v9
	s_wait_loadcnt 0x0
	v_cvt_f32_f16_e32 v17, v17
.LBB184_39:                             ;   in Loop: Header=BB184_3 Depth=1
	s_wait_alu 0xfffe
	s_or_b32 exec_lo, exec_lo, s3
	s_wait_loadcnt 0x0
	ds_bpermute_b32 v56, v1, v58
	ds_bpermute_b32 v57, v1, v58 offset:4
	ds_bpermute_b32 v59, v1, v58 offset:8
	v_dual_mul_f32 v2, v10, v2 :: v_dual_mul_f32 v3, v11, v3
	ds_bpermute_b32 v10, v1, v58 offset:12
	ds_bpermute_b32 v11, v1, v58 offset:16
	s_wait_dscnt 0x4
	v_fmac_f32_e32 v55, v2, v56
	v_mul_f32_e32 v2, v12, v4
	ds_bpermute_b32 v4, v1, v58 offset:20
	s_wait_dscnt 0x4
	v_fmac_f32_e32 v55, v3, v57
	v_mul_f32_e32 v3, v13, v5
	;; [unrolled: 4-line block ×3, first 2 shown]
	s_wait_dscnt 0x3
	s_delay_alu instid0(VALU_DEP_2) | instskip(SKIP_2) | instid1(VALU_DEP_2)
	v_fmac_f32_e32 v55, v3, v10
	v_mul_f32_e32 v3, v15, v7
	s_wait_dscnt 0x2
	v_fmac_f32_e32 v55, v2, v11
	ds_bpermute_b32 v2, v1, v58 offset:28
	s_wait_dscnt 0x2
	v_fmac_f32_e32 v55, v3, v4
	v_mul_f32_e32 v3, v16, v8
	s_wait_dscnt 0x1
	s_delay_alu instid0(VALU_DEP_1) | instskip(NEXT) | instid1(VALU_DEP_1)
	v_fmac_f32_e32 v55, v3, v5
	v_mov_b32_e32 v86, v55
.LBB184_40:                             ;   in Loop: Header=BB184_3 Depth=1
	v_add_co_u32 v23, vcc_lo, v23, s22
	s_wait_alu 0xfffd
	v_add_co_ci_u32_e64 v24, null, s23, v24, vcc_lo
	v_add_co_u32 v25, vcc_lo, v25, s22
	s_wait_alu 0xfffd
	v_add_co_ci_u32_e64 v26, null, s23, v26, vcc_lo
	;; [unrolled: 3-line block ×13, first 2 shown]
	v_add_co_u32 v49, vcc_lo, v49, s22
	v_mul_f32_e32 v3, v9, v17
	s_add_nc_u64 s[26:27], s[26:27], s[20:21]
	s_wait_alu 0xfffd
	v_add_co_ci_u32_e64 v50, null, s23, v50, vcc_lo
	v_add_co_u32 v51, vcc_lo, v51, s22
	s_wait_alu 0xfffe
	v_cmp_lt_i64_e64 s3, s[26:27], s[4:5]
	s_wait_alu 0xfffd
	v_add_co_ci_u32_e64 v52, null, s23, v52, vcc_lo
	v_add_co_u32 v53, vcc_lo, v53, s22
	s_wait_dscnt 0x0
	v_fmac_f32_e32 v86, v3, v2
	s_wait_alu 0xfffd
	v_add_co_ci_u32_e64 v54, null, s23, v54, vcc_lo
	s_and_b32 vcc_lo, exec_lo, s3
	s_add_nc_u64 s[24:25], s[24:25], s[20:21]
	s_wait_alu 0xfffe
	s_cbranch_vccz .LBB184_50
; %bb.41:                               ;   in Loop: Header=BB184_3 Depth=1
	v_mov_b32_e32 v55, v86
	s_branch .LBB184_3
.LBB184_42:                             ;   in Loop: Header=BB184_3 Depth=1
	v_add_co_u32 v2, vcc_lo, v23, v18
	s_wait_alu 0xfffd
	v_add_co_ci_u32_e64 v3, null, v24, v19, vcc_lo
	v_add_co_u32 v4, vcc_lo, v25, v18
	s_wait_alu 0xfffd
	v_add_co_ci_u32_e64 v5, null, v26, v19, vcc_lo
	global_load_u16 v2, v[2:3], off
	global_load_u16 v10, v[4:5], off
	v_dual_mov_b32 v3, v1 :: v_dual_mov_b32 v4, v1
	v_dual_mov_b32 v5, v1 :: v_dual_mov_b32 v6, v1
	;; [unrolled: 1-line block ×6, first 2 shown]
	v_mov_b32_e32 v15, v1
	v_mov_b32_e32 v17, v1
	s_wait_loadcnt 0x1
	v_cvt_f32_f16_e32 v2, v2
	s_wait_loadcnt 0x0
	v_cvt_f32_f16_e32 v10, v10
	s_wait_alu 0xfffe
	s_or_b32 exec_lo, exec_lo, s3
	s_and_saveexec_b32 s3, s2
	s_cbranch_execz .LBB184_32
.LBB184_43:                             ;   in Loop: Header=BB184_3 Depth=1
	v_add_co_u32 v56, vcc_lo, v51, v18
	s_wait_alu 0xfffd
	v_add_co_ci_u32_e64 v57, null, v52, v19, vcc_lo
	v_add_co_u32 v59, vcc_lo, v53, v18
	s_wait_alu 0xfffd
	v_add_co_ci_u32_e64 v60, null, v54, v19, vcc_lo
	global_load_u16 v3, v[56:57], off
	global_load_u16 v11, v[59:60], off
	s_wait_loadcnt 0x1
	v_cvt_f32_f16_e32 v3, v3
	s_wait_loadcnt 0x0
	v_cvt_f32_f16_e32 v11, v11
	s_wait_alu 0xfffe
	s_or_b32 exec_lo, exec_lo, s3
	s_and_saveexec_b32 s3, s2
	s_cbranch_execz .LBB184_33
.LBB184_44:                             ;   in Loop: Header=BB184_3 Depth=1
	v_add_co_u32 v56, vcc_lo, v47, v18
	s_wait_alu 0xfffd
	v_add_co_ci_u32_e64 v57, null, v48, v19, vcc_lo
	v_add_co_u32 v59, vcc_lo, v49, v18
	s_wait_alu 0xfffd
	v_add_co_ci_u32_e64 v60, null, v50, v19, vcc_lo
	global_load_u16 v4, v[56:57], off
	global_load_u16 v12, v[59:60], off
	s_wait_loadcnt 0x1
	v_cvt_f32_f16_e32 v4, v4
	s_wait_loadcnt 0x0
	v_cvt_f32_f16_e32 v12, v12
	s_wait_alu 0xfffe
	s_or_b32 exec_lo, exec_lo, s3
	s_and_saveexec_b32 s3, s2
	s_cbranch_execz .LBB184_34
.LBB184_45:                             ;   in Loop: Header=BB184_3 Depth=1
	v_add_co_u32 v56, vcc_lo, v43, v18
	s_wait_alu 0xfffd
	v_add_co_ci_u32_e64 v57, null, v44, v19, vcc_lo
	v_add_co_u32 v59, vcc_lo, v45, v18
	s_wait_alu 0xfffd
	v_add_co_ci_u32_e64 v60, null, v46, v19, vcc_lo
	global_load_u16 v5, v[56:57], off
	global_load_u16 v13, v[59:60], off
	s_wait_loadcnt 0x1
	v_cvt_f32_f16_e32 v5, v5
	s_wait_loadcnt 0x0
	v_cvt_f32_f16_e32 v13, v13
	s_wait_alu 0xfffe
	s_or_b32 exec_lo, exec_lo, s3
	s_and_saveexec_b32 s3, s2
	s_cbranch_execz .LBB184_35
.LBB184_46:                             ;   in Loop: Header=BB184_3 Depth=1
	v_add_co_u32 v56, vcc_lo, v39, v18
	s_wait_alu 0xfffd
	v_add_co_ci_u32_e64 v57, null, v40, v19, vcc_lo
	v_add_co_u32 v59, vcc_lo, v41, v18
	s_wait_alu 0xfffd
	v_add_co_ci_u32_e64 v60, null, v42, v19, vcc_lo
	global_load_u16 v6, v[56:57], off
	global_load_u16 v14, v[59:60], off
	s_wait_loadcnt 0x1
	v_cvt_f32_f16_e32 v6, v6
	s_wait_loadcnt 0x0
	v_cvt_f32_f16_e32 v14, v14
	s_wait_alu 0xfffe
	s_or_b32 exec_lo, exec_lo, s3
	s_and_saveexec_b32 s3, s2
	s_cbranch_execz .LBB184_36
.LBB184_47:                             ;   in Loop: Header=BB184_3 Depth=1
	v_add_co_u32 v56, vcc_lo, v35, v18
	s_wait_alu 0xfffd
	v_add_co_ci_u32_e64 v57, null, v36, v19, vcc_lo
	v_add_co_u32 v59, vcc_lo, v37, v18
	s_wait_alu 0xfffd
	v_add_co_ci_u32_e64 v60, null, v38, v19, vcc_lo
	global_load_u16 v7, v[56:57], off
	global_load_u16 v15, v[59:60], off
	s_wait_loadcnt 0x1
	v_cvt_f32_f16_e32 v7, v7
	s_wait_loadcnt 0x0
	v_cvt_f32_f16_e32 v15, v15
	s_wait_alu 0xfffe
	s_or_b32 exec_lo, exec_lo, s3
	s_and_saveexec_b32 s3, s2
	s_cbranch_execz .LBB184_37
.LBB184_48:                             ;   in Loop: Header=BB184_3 Depth=1
	v_add_co_u32 v56, vcc_lo, v31, v18
	s_wait_alu 0xfffd
	v_add_co_ci_u32_e64 v57, null, v32, v19, vcc_lo
	v_add_co_u32 v59, vcc_lo, v33, v18
	s_wait_alu 0xfffd
	v_add_co_ci_u32_e64 v60, null, v34, v19, vcc_lo
	global_load_u16 v8, v[56:57], off
	global_load_u16 v16, v[59:60], off
	s_wait_loadcnt 0x1
	v_cvt_f32_f16_e32 v8, v8
	s_wait_loadcnt 0x0
	v_cvt_f32_f16_e32 v16, v16
	s_wait_alu 0xfffe
	s_or_b32 exec_lo, exec_lo, s3
	s_and_saveexec_b32 s3, s2
	s_cbranch_execnz .LBB184_38
	s_branch .LBB184_39
.LBB184_49:
                                        ; implicit-def: $vgpr86
	s_branch .LBB184_51
.LBB184_50:
	s_cbranch_execnz .LBB184_83
.LBB184_51:
	v_mov_b32_e32 v86, 0
	s_and_not1_b32 vcc_lo, exec_lo, s29
	s_wait_alu 0xfffe
	s_cbranch_vccnz .LBB184_83
; %bb.52:
	v_bfe_u32 v48, v0, 10, 10
	v_dual_mov_b32 v1, 0 :: v_dual_and_b32 v50, 0x3ff, v0
	s_lshl_b64 s[18:19], s[14:15], 1
	s_mov_b32 s3, 0
	s_delay_alu instid0(VALU_DEP_2) | instskip(SKIP_2) | instid1(VALU_DEP_3)
	v_lshlrev_b32_e32 v49, 3, v48
	v_dual_mov_b32 v83, 0 :: v_dual_lshlrev_b32 v8, 4, v48
	v_dual_mov_b32 v5, v1 :: v_dual_add_nc_u32 v4, s28, v50
	v_add_co_u32 v10, s2, v49, s14
	s_wait_alu 0xf1ff
	v_add_co_ci_u32_e64 v11, null, 0, 0, s2
	s_delay_alu instid0(VALU_DEP_3) | instskip(NEXT) | instid1(VALU_DEP_3)
	v_lshlrev_b64_e32 v[18:19], 1, v[4:5]
	v_mul_lo_u32 v6, s7, v10
	v_mad_co_u64_u32 v[2:3], null, s6, v10, 0
	s_delay_alu instid0(VALU_DEP_4) | instskip(SKIP_2) | instid1(VALU_DEP_1)
	v_mul_lo_u32 v7, s6, v11
	s_load_b32 s2, s[0:1], 0x44
	s_mov_b32 s17, s3
	v_add3_u32 v3, v3, v7, v6
	v_add_co_u32 v6, s16, v8, s18
	s_wait_alu 0xf1ff
	v_add_co_ci_u32_e64 v7, null, 0, s19, s16
	s_delay_alu instid0(VALU_DEP_3) | instskip(NEXT) | instid1(VALU_DEP_3)
	v_lshlrev_b64_e32 v[4:5], 1, v[2:3]
	v_add_co_u32 v8, vcc_lo, v6, 2
	s_wait_alu 0xfffd
	s_delay_alu instid0(VALU_DEP_3) | instskip(NEXT) | instid1(VALU_DEP_3)
	v_add_co_ci_u32_e64 v9, null, 0, v7, vcc_lo
	v_add_co_u32 v51, vcc_lo, s8, v4
	s_wait_alu 0xfffd
	v_add_co_ci_u32_e64 v52, null, s9, v5, vcc_lo
	v_add_co_u32 v53, vcc_lo, s10, v4
	s_wait_alu 0xfffd
	;; [unrolled: 3-line block ×5, first 2 shown]
	v_add_co_ci_u32_e64 v28, null, 0, v7, vcc_lo
	v_add_co_u32 v42, vcc_lo, v6, 10
	v_mad_co_u64_u32 v[22:23], null, s6, v4, s[8:9]
	v_mul_lo_u32 v5, s6, v5
	v_mul_lo_u32 v15, s7, v4
	v_mad_co_u64_u32 v[36:37], null, s6, v4, s[10:11]
	s_wait_alu 0xfffd
	v_add_co_ci_u32_e64 v30, null, 0, v7, vcc_lo
	v_add_co_u32 v44, vcc_lo, v6, 12
	s_wait_alu 0xfffd
	v_add_co_ci_u32_e64 v32, null, 0, v7, vcc_lo
	v_add_co_u32 v6, vcc_lo, v6, 14
	v_mad_co_u64_u32 v[20:21], null, s6, v8, s[8:9]
	v_mul_lo_u32 v9, s6, v9
	v_mul_lo_u32 v12, s7, v8
	v_mad_co_u64_u32 v[34:35], null, s6, v8, s[10:11]
	s_wait_alu 0xfffd
	v_add_co_ci_u32_e64 v7, null, 0, v7, vcc_lo
	v_add_co_u32 v4, vcc_lo, v10, 7
	v_add3_u32 v23, v15, v23, v5
	v_add3_u32 v37, v15, v37, v5
	s_wait_alu 0xfffd
	v_add_co_ci_u32_e64 v5, null, 0, v11, vcc_lo
	v_mul_lo_u32 v61, s6, v7
	v_add_co_u32 v7, vcc_lo, v10, 6
	v_add3_u32 v21, v12, v21, v9
	v_add3_u32 v35, v12, v35, v9
	s_wait_alu 0xfffd
	v_add_co_ci_u32_e64 v12, null, 0, v11, vcc_lo
	v_mul_lo_u32 v8, s7, v4
	v_mul_lo_u32 v9, s6, v5
	v_mad_co_u64_u32 v[4:5], null, s6, v4, 0
	v_mad_co_u64_u32 v[24:25], null, s6, v13, s[8:9]
	v_mul_lo_u32 v17, s7, v13
	v_mul_lo_u32 v59, s6, v32
	v_mad_co_u64_u32 v[32:33], null, s6, v6, s[8:9]
	v_mul_lo_u32 v62, s7, v6
	v_mad_co_u64_u32 v[38:39], null, s6, v13, s[10:11]
	v_mad_co_u64_u32 v[46:47], null, s6, v6, s[10:11]
	v_mul_lo_u32 v13, s7, v7
	v_mul_lo_u32 v12, s6, v12
	v_mad_co_u64_u32 v[6:7], null, s6, v7, 0
	v_add3_u32 v5, v5, v9, v8
	v_add_co_u32 v8, vcc_lo, v10, 5
	v_mad_co_u64_u32 v[26:27], null, s6, v16, s[8:9]
	v_mul_lo_u32 v55, s6, v28
	v_mul_lo_u32 v56, s7, v16
	v_mad_co_u64_u32 v[40:41], null, s6, v16, s[10:11]
	s_wait_alu 0xfffd
	v_add_co_ci_u32_e64 v9, null, 0, v11, vcc_lo
	v_add3_u32 v7, v7, v12, v13
	v_mad_co_u64_u32 v[28:29], null, s6, v42, s[8:9]
	v_mul_lo_u32 v57, s6, v30
	v_mul_lo_u32 v58, s7, v42
	v_mad_co_u64_u32 v[42:43], null, s6, v42, s[10:11]
	v_lshlrev_b64_e32 v[4:5], 1, v[4:5]
	v_mad_co_u64_u32 v[30:31], null, s6, v44, s[8:9]
	v_mul_lo_u32 v60, s7, v44
	v_mad_co_u64_u32 v[44:45], null, s6, v44, s[10:11]
	v_mul_lo_u32 v12, s7, v8
	v_mul_lo_u32 v13, s6, v9
	v_mad_co_u64_u32 v[8:9], null, s6, v8, 0
	v_lshlrev_b64_e32 v[6:7], 1, v[6:7]
	v_add3_u32 v27, v56, v27, v55
	v_add3_u32 v41, v56, v41, v55
	v_add_co_u32 v55, vcc_lo, s8, v4
	v_add3_u32 v29, v58, v29, v57
	v_add3_u32 v43, v58, v43, v57
	s_wait_alu 0xfffd
	v_add_co_ci_u32_e64 v56, null, s9, v5, vcc_lo
	v_add_co_u32 v57, vcc_lo, s10, v4
	v_add3_u32 v31, v60, v31, v59
	v_add3_u32 v45, v60, v45, v59
	s_wait_alu 0xfffd
	v_add_co_ci_u32_e64 v58, null, s11, v5, vcc_lo
	v_add_co_u32 v59, vcc_lo, s8, v6
	v_mul_lo_u32 v14, s6, v14
	v_add3_u32 v9, v9, v13, v12
	s_wait_alu 0xfffd
	v_add_co_ci_u32_e64 v60, null, s9, v7, vcc_lo
	v_add_co_u32 v12, vcc_lo, v10, 4
	s_wait_kmcnt 0x0
	s_lshl_b32 s16, s2, 8
	v_add3_u32 v33, v62, v33, v61
	v_add3_u32 v47, v62, v47, v61
	v_add_co_u32 v61, s2, s10, v6
	s_wait_alu 0xfffd
	v_add_co_ci_u32_e64 v6, null, 0, v11, vcc_lo
	v_lshlrev_b64_e32 v[4:5], 1, v[8:9]
	v_add_co_u32 v8, vcc_lo, v10, 3
	s_wait_alu 0xfffd
	v_add_co_ci_u32_e64 v9, null, 0, v11, vcc_lo
	v_add3_u32 v25, v17, v25, v14
	v_add3_u32 v39, v17, v39, v14
	s_wait_alu 0xf1ff
	v_add_co_ci_u32_e64 v62, null, s11, v7, s2
	v_mul_lo_u32 v13, s7, v12
	v_mul_lo_u32 v14, s6, v6
	v_mad_co_u64_u32 v[6:7], null, s6, v12, 0
	v_mul_lo_u32 v12, s7, v8
	v_mul_lo_u32 v15, s6, v9
	v_mad_co_u64_u32 v[8:9], null, s6, v8, 0
	v_add_co_u32 v63, vcc_lo, s8, v4
	s_wait_alu 0xfffd
	v_add_co_ci_u32_e64 v64, null, s9, v5, vcc_lo
	v_add3_u32 v7, v7, v14, v13
	v_add_co_u32 v65, vcc_lo, s10, v4
	s_wait_alu 0xfffd
	v_add_co_ci_u32_e64 v66, null, s11, v5, vcc_lo
	v_add_co_u32 v10, vcc_lo, v10, 2
	v_add3_u32 v9, v9, v15, v12
	s_wait_alu 0xfffd
	v_add_co_ci_u32_e64 v11, null, 0, v11, vcc_lo
	v_lshlrev_b64_e32 v[4:5], 1, v[6:7]
	v_mul_lo_u32 v12, s7, v10
	v_lshlrev_b64_e32 v[6:7], 1, v[8:9]
	s_delay_alu instid0(VALU_DEP_4)
	v_mul_lo_u32 v11, s6, v11
	v_mad_co_u64_u32 v[8:9], null, s6, v10, 0
	v_add_co_u32 v67, vcc_lo, s8, v4
	s_wait_alu 0xfffd
	v_add_co_ci_u32_e64 v68, null, s9, v5, vcc_lo
	v_add_co_u32 v69, vcc_lo, s10, v4
	s_wait_alu 0xfffd
	v_add_co_ci_u32_e64 v70, null, s11, v5, vcc_lo
	;; [unrolled: 3-line block ×3, first 2 shown]
	v_add3_u32 v9, v9, v11, v12
	v_add_co_u32 v73, vcc_lo, s10, v6
	s_wait_alu 0xfffd
	v_add_co_ci_u32_e64 v74, null, s11, v7, vcc_lo
	v_add_co_u32 v2, vcc_lo, v2, s6
	s_wait_alu 0xfffd
	v_add_co_ci_u32_e64 v3, null, s7, v3, vcc_lo
	v_lshlrev_b64_e32 v[4:5], 1, v[8:9]
	s_wait_alu 0xfffe
	s_mul_u64 s[18:19], s[6:7], s[16:17]
	s_delay_alu instid0(VALU_DEP_2) | instskip(NEXT) | instid1(VALU_DEP_2)
	v_lshlrev_b64_e32 v[2:3], 1, v[2:3]
	v_add_co_u32 v75, vcc_lo, s8, v4
	s_wait_alu 0xfffd
	v_add_co_ci_u32_e64 v76, null, s9, v5, vcc_lo
	v_add_co_u32 v77, vcc_lo, s10, v4
	s_wait_alu 0xfffd
	v_add_co_ci_u32_e64 v78, null, s11, v5, vcc_lo
	v_add_co_u32 v79, vcc_lo, s8, v2
	s_wait_alu 0xfffd
	v_add_co_ci_u32_e64 v80, null, s9, v3, vcc_lo
	v_add_co_u32 v81, vcc_lo, s10, v2
	s_wait_alu 0xfffd
	v_add_co_ci_u32_e64 v82, null, s11, v3, vcc_lo
	s_add_nc_u64 s[8:9], s[0:1], 64
	s_wait_alu 0xfffe
	s_lshl_b64 s[10:11], s[18:19], 1
	s_add_nc_u64 s[18:19], s[14:15], 0xff
.LBB184_53:                             ; =>This Inner Loop Header: Depth=1
	s_wait_alu 0xfffe
	v_cmp_ge_i64_e64 s2, s[18:19], s[4:5]
	v_add_co_u32 v84, s20, v49, s18
	s_wait_alu 0xf1ff
	v_add_co_ci_u32_e64 v85, null, 0, s19, s20
                                        ; implicit-def: $vgpr86
	s_and_b32 vcc_lo, exec_lo, s2
	s_mov_b32 s2, -1
	s_wait_alu 0xfffe
	s_cbranch_vccz .LBB184_75
; %bb.54:                               ;   in Loop: Header=BB184_53 Depth=1
	s_load_b32 s2, s[8:9], 0xc
	v_mov_b32_e32 v87, 0
	s_wait_kmcnt 0x0
	s_and_b32 s2, s2, 0xffff
	s_wait_alu 0xfffe
	v_mad_u32_u24 v2, v48, s2, v50
	s_mov_b32 s2, exec_lo
	s_delay_alu instid0(VALU_DEP_1) | instskip(NEXT) | instid1(VALU_DEP_1)
	v_and_b32_e32 v2, 31, v2
	v_cmpx_gt_u32_e32 8, v2
	s_cbranch_execz .LBB184_58
; %bb.55:                               ;   in Loop: Header=BB184_53 Depth=1
	v_add_co_u32 v2, vcc_lo, v84, v2
	s_wait_alu 0xfffd
	v_add_co_ci_u32_e64 v3, null, 0, v85, vcc_lo
	v_mov_b32_e32 v87, 0
	s_delay_alu instid0(VALU_DEP_3) | instskip(SKIP_1) | instid1(VALU_DEP_3)
	v_add_co_u32 v2, vcc_lo, 0xffffff01, v2
	s_wait_alu 0xfffd
	v_add_co_ci_u32_e64 v3, null, -1, v3, vcc_lo
	s_mov_b32 s20, exec_lo
	v_cmpx_gt_i64_e64 s[4:5], v[2:3]
	s_cbranch_execz .LBB184_57
; %bb.56:                               ;   in Loop: Header=BB184_53 Depth=1
	v_lshlrev_b64_e32 v[2:3], 2, v[2:3]
	s_delay_alu instid0(VALU_DEP_1) | instskip(SKIP_1) | instid1(VALU_DEP_2)
	v_add_co_u32 v2, vcc_lo, s12, v2
	s_wait_alu 0xfffd
	v_add_co_ci_u32_e64 v3, null, s13, v3, vcc_lo
	global_load_b32 v87, v[2:3], off
.LBB184_57:                             ;   in Loop: Header=BB184_53 Depth=1
	s_wait_alu 0xfffe
	s_or_b32 exec_lo, exec_lo, s20
.LBB184_58:                             ;   in Loop: Header=BB184_53 Depth=1
	s_wait_alu 0xfffe
	s_or_b32 exec_lo, exec_lo, s2
	v_add_co_u32 v9, vcc_lo, 0xffffff01, v84
	s_wait_alu 0xfffd
	v_add_co_ci_u32_e64 v10, null, -1, v85, vcc_lo
	v_mov_b32_e32 v8, v1
	v_dual_mov_b32 v2, v1 :: v_dual_mov_b32 v3, v1
	v_dual_mov_b32 v4, v1 :: v_dual_mov_b32 v5, v1
	v_dual_mov_b32 v6, v1 :: v_dual_mov_b32 v7, v1
	v_cmp_gt_i64_e32 vcc_lo, s[4:5], v[9:10]
	s_delay_alu instid0(VALU_DEP_3) | instskip(NEXT) | instid1(VALU_DEP_3)
	v_dual_mov_b32 v17, v8 :: v_dual_mov_b32 v14, v5
	v_dual_mov_b32 v15, v6 :: v_dual_mov_b32 v16, v7
	;; [unrolled: 1-line block ×4, first 2 shown]
	v_mov_b32_e32 v9, v8
	v_mov_b32_e32 v8, v7
	;; [unrolled: 1-line block ×8, first 2 shown]
	s_and_saveexec_b32 s2, vcc_lo
	s_cbranch_execz .LBB184_60
; %bb.59:                               ;   in Loop: Header=BB184_53 Depth=1
	v_add_co_u32 v2, vcc_lo, v51, v18
	s_wait_alu 0xfffd
	v_add_co_ci_u32_e64 v3, null, v52, v19, vcc_lo
	v_add_co_u32 v4, vcc_lo, v53, v18
	s_wait_alu 0xfffd
	v_add_co_ci_u32_e64 v5, null, v54, v19, vcc_lo
	global_load_u16 v2, v[2:3], off
	global_load_u16 v10, v[4:5], off
	v_dual_mov_b32 v3, v1 :: v_dual_mov_b32 v4, v1
	v_dual_mov_b32 v5, v1 :: v_dual_mov_b32 v6, v1
	;; [unrolled: 1-line block ×6, first 2 shown]
	v_mov_b32_e32 v15, v1
	v_mov_b32_e32 v17, v1
	s_wait_loadcnt 0x1
	v_cvt_f32_f16_e32 v2, v2
	s_wait_loadcnt 0x0
	v_cvt_f32_f16_e32 v10, v10
.LBB184_60:                             ;   in Loop: Header=BB184_53 Depth=1
	s_wait_alu 0xfffe
	s_or_b32 exec_lo, exec_lo, s2
	v_add_co_u32 v88, vcc_lo, 0xffffff02, v84
	s_wait_alu 0xfffd
	v_add_co_ci_u32_e64 v89, null, -1, v85, vcc_lo
	s_mov_b32 s2, exec_lo
	v_cmpx_gt_i64_e64 s[4:5], v[88:89]
	s_cbranch_execz .LBB184_62
; %bb.61:                               ;   in Loop: Header=BB184_53 Depth=1
	v_add_co_u32 v88, vcc_lo, v79, v18
	s_wait_alu 0xfffd
	v_add_co_ci_u32_e64 v89, null, v80, v19, vcc_lo
	v_add_co_u32 v90, vcc_lo, v81, v18
	s_wait_alu 0xfffd
	v_add_co_ci_u32_e64 v91, null, v82, v19, vcc_lo
	global_load_u16 v3, v[88:89], off
	global_load_u16 v11, v[90:91], off
	s_wait_loadcnt 0x1
	v_cvt_f32_f16_e32 v3, v3
	s_wait_loadcnt 0x0
	v_cvt_f32_f16_e32 v11, v11
.LBB184_62:                             ;   in Loop: Header=BB184_53 Depth=1
	s_wait_alu 0xfffe
	s_or_b32 exec_lo, exec_lo, s2
	v_add_co_u32 v88, vcc_lo, 0xffffff03, v84
	s_wait_alu 0xfffd
	v_add_co_ci_u32_e64 v89, null, -1, v85, vcc_lo
	s_mov_b32 s2, exec_lo
	v_cmpx_gt_i64_e64 s[4:5], v[88:89]
	s_cbranch_execz .LBB184_64
; %bb.63:                               ;   in Loop: Header=BB184_53 Depth=1
	v_add_co_u32 v88, vcc_lo, v75, v18
	s_wait_alu 0xfffd
	v_add_co_ci_u32_e64 v89, null, v76, v19, vcc_lo
	v_add_co_u32 v90, vcc_lo, v77, v18
	s_wait_alu 0xfffd
	v_add_co_ci_u32_e64 v91, null, v78, v19, vcc_lo
	global_load_u16 v4, v[88:89], off
	global_load_u16 v12, v[90:91], off
	s_wait_loadcnt 0x1
	v_cvt_f32_f16_e32 v4, v4
	s_wait_loadcnt 0x0
	v_cvt_f32_f16_e32 v12, v12
.LBB184_64:                             ;   in Loop: Header=BB184_53 Depth=1
	;; [unrolled: 22-line block ×7, first 2 shown]
	s_wait_alu 0xfffe
	s_or_b32 exec_lo, exec_lo, s2
	s_wait_loadcnt 0x0
	ds_bpermute_b32 v86, v1, v87
	ds_bpermute_b32 v88, v1, v87 offset:4
	ds_bpermute_b32 v89, v1, v87 offset:8
	v_dual_mul_f32 v2, v10, v2 :: v_dual_mul_f32 v3, v11, v3
	ds_bpermute_b32 v10, v1, v87 offset:12
	ds_bpermute_b32 v11, v1, v87 offset:16
	s_mov_b32 s2, 0
	s_wait_dscnt 0x4
	v_fma_f32 v86, v2, v86, v83
	v_mul_f32_e32 v2, v12, v4
	ds_bpermute_b32 v4, v1, v87 offset:20
	s_wait_dscnt 0x4
	v_dual_fmac_f32 v86, v3, v88 :: v_dual_mul_f32 v3, v13, v5
	ds_bpermute_b32 v5, v1, v87 offset:24
	s_wait_dscnt 0x4
	v_fmac_f32_e32 v86, v2, v89
	v_mul_f32_e32 v2, v14, v6
	v_mul_f32_e32 v6, v15, v7
	s_wait_dscnt 0x3
	s_delay_alu instid0(VALU_DEP_3)
	v_fmac_f32_e32 v86, v3, v10
	ds_bpermute_b32 v3, v1, v87 offset:28
	s_wait_dscnt 0x3
	v_fmac_f32_e32 v86, v2, v11
	v_mul_f32_e32 v2, v16, v8
	s_wait_dscnt 0x2
	s_delay_alu instid0(VALU_DEP_2) | instskip(SKIP_1) | instid1(VALU_DEP_1)
	v_fmac_f32_e32 v86, v6, v4
	s_wait_dscnt 0x1
	v_fmac_f32_e32 v86, v2, v5
	v_mul_f32_e32 v2, v17, v9
	s_wait_dscnt 0x0
	s_delay_alu instid0(VALU_DEP_1)
	v_fmac_f32_e32 v86, v2, v3
.LBB184_75:                             ;   in Loop: Header=BB184_53 Depth=1
	s_wait_alu 0xfffe
	s_and_b32 vcc_lo, exec_lo, s2
	s_wait_alu 0xfffe
	s_cbranch_vccz .LBB184_81
; %bb.76:                               ;   in Loop: Header=BB184_53 Depth=1
	s_load_b32 s2, s[8:9], 0x0
	v_mov_b32_e32 v4, 0
	s_wait_kmcnt 0x0
	s_cmp_lt_u32 ttmp9, s2
	s_cselect_b32 s2, 12, 18
	s_wait_alu 0xfffe
	s_add_nc_u64 s[20:21], s[8:9], s[2:3]
	s_load_u16 s2, s[20:21], 0x0
	s_wait_kmcnt 0x0
	v_mad_u32_u24 v2, v48, s2, v50
	s_mov_b32 s2, exec_lo
	s_delay_alu instid0(VALU_DEP_1) | instskip(NEXT) | instid1(VALU_DEP_1)
	v_and_b32_e32 v2, 31, v2
	v_cmpx_gt_u32_e32 8, v2
	s_cbranch_execz .LBB184_80
; %bb.77:                               ;   in Loop: Header=BB184_53 Depth=1
	v_add_co_u32 v2, vcc_lo, v84, v2
	s_wait_alu 0xfffd
	v_add_co_ci_u32_e64 v3, null, 0, v85, vcc_lo
	v_mov_b32_e32 v4, 0
	s_delay_alu instid0(VALU_DEP_3) | instskip(SKIP_1) | instid1(VALU_DEP_3)
	v_add_co_u32 v2, vcc_lo, 0xffffff01, v2
	s_wait_alu 0xfffd
	v_add_co_ci_u32_e64 v3, null, -1, v3, vcc_lo
	s_mov_b32 s20, exec_lo
	v_cmpx_gt_i64_e64 s[4:5], v[2:3]
	s_cbranch_execz .LBB184_79
; %bb.78:                               ;   in Loop: Header=BB184_53 Depth=1
	v_lshlrev_b64_e32 v[2:3], 2, v[2:3]
	s_delay_alu instid0(VALU_DEP_1) | instskip(SKIP_1) | instid1(VALU_DEP_2)
	v_add_co_u32 v2, vcc_lo, s12, v2
	s_wait_alu 0xfffd
	v_add_co_ci_u32_e64 v3, null, s13, v3, vcc_lo
	global_load_b32 v4, v[2:3], off
.LBB184_79:                             ;   in Loop: Header=BB184_53 Depth=1
	s_wait_alu 0xfffe
	s_or_b32 exec_lo, exec_lo, s20
.LBB184_80:                             ;   in Loop: Header=BB184_53 Depth=1
	s_wait_alu 0xfffe
	s_or_b32 exec_lo, exec_lo, s2
	v_add_co_u32 v2, vcc_lo, v51, v18
	s_wait_alu 0xfffd
	v_add_co_ci_u32_e64 v3, null, v52, v19, vcc_lo
	v_add_co_u32 v5, vcc_lo, v53, v18
	s_wait_alu 0xfffd
	v_add_co_ci_u32_e64 v6, null, v54, v19, vcc_lo
	;; [unrolled: 3-line block ×5, first 2 shown]
	global_load_u16 v13, v[2:3], off
	global_load_u16 v14, v[5:6], off
	;; [unrolled: 1-line block ×5, first 2 shown]
	v_add_co_u32 v2, vcc_lo, v36, v18
	s_wait_alu 0xfffd
	v_add_co_ci_u32_e64 v3, null, v37, v19, vcc_lo
	v_add_co_u32 v5, vcc_lo, v24, v18
	s_wait_alu 0xfffd
	v_add_co_ci_u32_e64 v6, null, v25, v19, vcc_lo
	;; [unrolled: 3-line block ×5, first 2 shown]
	global_load_u16 v84, v[2:3], off
	global_load_u16 v85, v[5:6], off
	;; [unrolled: 1-line block ×5, first 2 shown]
	v_add_co_u32 v2, vcc_lo, v28, v18
	s_wait_alu 0xfffd
	v_add_co_ci_u32_e64 v3, null, v29, v19, vcc_lo
	v_add_co_u32 v5, vcc_lo, v42, v18
	s_wait_alu 0xfffd
	v_add_co_ci_u32_e64 v6, null, v43, v19, vcc_lo
	v_add_co_u32 v7, vcc_lo, v30, v18
	s_wait_alu 0xfffd
	v_add_co_ci_u32_e64 v8, null, v31, v19, vcc_lo
	v_add_co_u32 v9, vcc_lo, v44, v18
	s_wait_alu 0xfffd
	v_add_co_ci_u32_e64 v10, null, v45, v19, vcc_lo
	global_load_u16 v12, v[2:3], off
	global_load_u16 v88, v[5:6], off
	;; [unrolled: 1-line block ×4, first 2 shown]
	v_add_co_u32 v2, vcc_lo, v32, v18
	s_wait_alu 0xfffd
	v_add_co_ci_u32_e64 v3, null, v33, v19, vcc_lo
	v_add_co_u32 v5, vcc_lo, v46, v18
	s_wait_alu 0xfffd
	v_add_co_ci_u32_e64 v6, null, v47, v19, vcc_lo
	global_load_u16 v2, v[2:3], off
	global_load_u16 v3, v[5:6], off
	s_wait_loadcnt 0x10
	ds_bpermute_b32 v5, v1, v4
	ds_bpermute_b32 v6, v1, v4 offset:4
	ds_bpermute_b32 v9, v1, v4 offset:8
	s_wait_loadcnt 0xf
	v_cvt_f32_f16_e32 v10, v13
	s_wait_loadcnt 0xe
	v_cvt_f32_f16_e32 v13, v14
	ds_bpermute_b32 v14, v1, v4 offset:12
	s_wait_loadcnt 0xd
	v_cvt_f32_f16_e32 v15, v15
	s_wait_loadcnt 0xc
	v_cvt_f32_f16_e32 v16, v16
	;; [unrolled: 2-line block ×3, first 2 shown]
	v_mul_f32_e32 v10, v10, v13
	ds_bpermute_b32 v13, v1, v4 offset:16
	v_mul_f32_e32 v15, v15, v16
	s_wait_dscnt 0x4
	v_fmac_f32_e32 v83, v10, v5
	ds_bpermute_b32 v5, v1, v4 offset:20
	s_wait_loadcnt 0xa
	v_cvt_f32_f16_e32 v84, v84
	s_wait_loadcnt 0x9
	v_cvt_f32_f16_e32 v10, v85
	;; [unrolled: 2-line block ×3, first 2 shown]
	s_wait_dscnt 0x4
	v_fmac_f32_e32 v83, v15, v6
	ds_bpermute_b32 v6, v1, v4 offset:24
	s_wait_loadcnt 0x7
	v_cvt_f32_f16_e32 v15, v87
	s_wait_loadcnt 0x6
	v_cvt_f32_f16_e32 v11, v11
	v_mul_f32_e32 v10, v10, v16
	ds_bpermute_b32 v4, v1, v4 offset:28
	v_mul_f32_e32 v11, v15, v11
	s_wait_loadcnt 0x3
	v_cvt_f32_f16_e32 v7, v7
	s_wait_loadcnt 0x2
	v_cvt_f32_f16_e32 v8, v8
	s_delay_alu instid0(VALU_DEP_1) | instskip(SKIP_4) | instid1(VALU_DEP_1)
	v_mul_f32_e32 v7, v7, v8
	s_wait_loadcnt 0x1
	v_cvt_f32_f16_e32 v2, v2
	s_wait_loadcnt 0x0
	v_cvt_f32_f16_e32 v3, v3
	v_dual_mul_f32 v17, v17, v84 :: v_dual_mul_f32 v2, v2, v3
	s_wait_dscnt 0x5
	s_delay_alu instid0(VALU_DEP_1) | instskip(SKIP_3) | instid1(VALU_DEP_3)
	v_fmac_f32_e32 v83, v17, v9
	v_cvt_f32_f16_e32 v9, v12
	v_cvt_f32_f16_e32 v12, v88
	s_wait_dscnt 0x4
	v_fmac_f32_e32 v83, v10, v14
	s_delay_alu instid0(VALU_DEP_2) | instskip(SKIP_1) | instid1(VALU_DEP_2)
	v_mul_f32_e32 v9, v9, v12
	s_wait_dscnt 0x3
	v_fmac_f32_e32 v83, v11, v13
	s_wait_dscnt 0x2
	s_delay_alu instid0(VALU_DEP_1) | instskip(SKIP_1) | instid1(VALU_DEP_1)
	v_fmac_f32_e32 v83, v9, v5
	s_wait_dscnt 0x1
	v_fmac_f32_e32 v83, v7, v6
	s_wait_dscnt 0x0
	s_delay_alu instid0(VALU_DEP_1) | instskip(NEXT) | instid1(VALU_DEP_1)
	v_fmac_f32_e32 v83, v2, v4
	v_mov_b32_e32 v86, v83
.LBB184_81:                             ;   in Loop: Header=BB184_53 Depth=1
	v_add_co_u32 v51, vcc_lo, v51, s10
	s_wait_alu 0xfffd
	v_add_co_ci_u32_e64 v52, null, s11, v52, vcc_lo
	v_add_co_u32 v53, vcc_lo, v53, s10
	s_wait_alu 0xfffd
	v_add_co_ci_u32_e64 v54, null, s11, v54, vcc_lo
	;; [unrolled: 3-line block ×27, first 2 shown]
	v_add_co_u32 v77, vcc_lo, v77, s10
	s_add_nc_u64 s[14:15], s[14:15], s[16:17]
	s_wait_alu 0xfffd
	v_add_co_ci_u32_e64 v78, null, s11, v78, vcc_lo
	v_add_co_u32 v79, vcc_lo, v79, s10
	s_wait_alu 0xfffe
	v_cmp_ge_i64_e64 s2, s[14:15], s[4:5]
	s_wait_alu 0xfffd
	v_add_co_ci_u32_e64 v80, null, s11, v80, vcc_lo
	v_add_co_u32 v81, vcc_lo, v81, s10
	s_wait_alu 0xfffd
	v_add_co_ci_u32_e64 v82, null, s11, v82, vcc_lo
	s_and_b32 vcc_lo, exec_lo, s2
	s_add_nc_u64 s[18:19], s[18:19], s[16:17]
	s_wait_alu 0xfffe
	s_cbranch_vccnz .LBB184_83
; %bb.82:                               ;   in Loop: Header=BB184_53 Depth=1
	v_mov_b32_e32 v83, v86
	s_branch .LBB184_53
.LBB184_83:
	v_and_b32_e32 v2, 0x3ff, v0
	v_bfe_u32 v1, v0, 10, 10
	v_bfe_u32 v0, v0, 5, 5
	s_mov_b32 s3, 0
	s_mov_b32 s2, exec_lo
	s_delay_alu instid0(VALU_DEP_2) | instskip(NEXT) | instid1(VALU_DEP_2)
	v_mad_u32_u24 v3, v1, 33, v2
	v_add_nc_u32_e32 v0, v0, v1
	s_delay_alu instid0(VALU_DEP_2)
	v_lshl_add_u32 v1, v3, 2, 0
	v_mov_b32_e32 v3, 0
	ds_store_b32 v1, v86
	ds_store_b32 v1, v3 offset:4224
	s_wait_dscnt 0x0
	s_barrier_signal -1
	s_barrier_wait -1
	global_inv scope:SCOPE_SE
	v_cmpx_gt_u32_e32 32, v0
	s_cbranch_execz .LBB184_86
; %bb.84:
	v_and_b32_e32 v1, 31, v2
	v_lshlrev_b32_e32 v3, 2, v0
	s_load_b64 s[4:5], s[0:1], 0x30
	s_mov_b32 s2, ttmp9
	s_wait_alu 0xfffe
	s_lshl_b64 s[0:1], s[2:3], 5
	v_mul_u32_u24_e32 v1, 0x84, v1
	v_or_b32_e32 v0, s0, v0
	v_cmp_eq_u32_e64 s0, 0, v2
	s_delay_alu instid0(VALU_DEP_3) | instskip(SKIP_4) | instid1(VALU_DEP_2)
	v_add3_u32 v1, 0, v3, v1
	v_mbcnt_lo_u32_b32 v3, -1, 0
	ds_load_b32 v1, v1
	v_xor_b32_e32 v4, 16, v3
	v_xor_b32_e32 v5, 8, v3
	v_cmp_gt_i32_e32 vcc_lo, 32, v4
	s_wait_kmcnt 0x0
	s_cmp_lg_u64 s[4:5], 0
	s_wait_alu 0xfffd
	v_cndmask_b32_e32 v4, v3, v4, vcc_lo
	v_cmp_gt_i32_e32 vcc_lo, 32, v5
	s_wait_alu 0xfffd
	s_delay_alu instid0(VALU_DEP_2)
	v_dual_cndmask_b32 v5, v3, v5 :: v_dual_lshlrev_b32 v4, 2, v4
	s_wait_dscnt 0x0
	ds_bpermute_b32 v4, v4, v1
	v_lshlrev_b32_e32 v5, 2, v5
	s_wait_dscnt 0x0
	v_add_f32_e32 v1, v1, v4
	ds_bpermute_b32 v4, v5, v1
	v_xor_b32_e32 v5, 4, v3
	s_delay_alu instid0(VALU_DEP_1) | instskip(SKIP_2) | instid1(VALU_DEP_1)
	v_cmp_gt_i32_e32 vcc_lo, 32, v5
	s_wait_alu 0xfffd
	v_cndmask_b32_e32 v5, v3, v5, vcc_lo
	v_lshlrev_b32_e32 v5, 2, v5
	s_wait_dscnt 0x0
	v_add_f32_e32 v1, v1, v4
	ds_bpermute_b32 v4, v5, v1
	v_xor_b32_e32 v5, 2, v3
	s_delay_alu instid0(VALU_DEP_1) | instskip(SKIP_2) | instid1(VALU_DEP_1)
	v_cmp_gt_i32_e32 vcc_lo, 32, v5
	s_wait_alu 0xfffd
	v_cndmask_b32_e32 v5, v3, v5, vcc_lo
	v_lshlrev_b32_e32 v5, 2, v5
	s_wait_dscnt 0x0
	v_add_f32_e32 v1, v1, v4
	ds_bpermute_b32 v4, v5, v1
	v_xor_b32_e32 v5, 1, v3
	s_delay_alu instid0(VALU_DEP_1) | instskip(SKIP_4) | instid1(VALU_DEP_2)
	v_cmp_gt_i32_e32 vcc_lo, 32, v5
	s_wait_alu 0xfffd
	v_cndmask_b32_e32 v5, v3, v5, vcc_lo
	s_wait_dscnt 0x0
	v_add_f32_e32 v3, v1, v4
	v_lshlrev_b32_e32 v1, 2, v5
	ds_bpermute_b32 v4, v1, v3
	v_mov_b32_e32 v1, s1
	s_cselect_b32 s1, -1, 0
	s_delay_alu instid0(VALU_DEP_1)
	v_cmp_gt_i64_e32 vcc_lo, s[6:7], v[0:1]
	s_and_b32 s0, s0, vcc_lo
	s_wait_alu 0xfffe
	s_and_b32 s0, s1, s0
	s_wait_alu 0xfffe
	s_and_b32 exec_lo, exec_lo, s0
	s_cbranch_execz .LBB184_86
; %bb.85:
	v_lshlrev_b64_e32 v[0:1], 1, v[0:1]
	s_wait_dscnt 0x0
	v_add_f32_e32 v2, v3, v4
	s_delay_alu instid0(VALU_DEP_1) | instskip(NEXT) | instid1(VALU_DEP_3)
	v_cvt_f16_f32_e32 v2, v2
	v_add_co_u32 v0, vcc_lo, s4, v0
	s_wait_alu 0xfffd
	v_add_co_ci_u32_e64 v1, null, s5, v1, vcc_lo
	global_store_b16 v[0:1], v2, off
.LBB184_86:
	s_endpgm
	.section	.rodata,"a",@progbits
	.p2align	6, 0x0
	.amdhsa_kernel _ZN2at6native12_GLOBAL__N_135GammaBetaBackwardCUDAKernelTemplateIN3c104HalfEfLj32ELj32ELj256ELb0ELb0ELb1EEEvllPKT_S7_PKT0_SA_PS5_SB_
		.amdhsa_group_segment_fixed_size 0
		.amdhsa_private_segment_fixed_size 0
		.amdhsa_kernarg_size 320
		.amdhsa_user_sgpr_count 2
		.amdhsa_user_sgpr_dispatch_ptr 0
		.amdhsa_user_sgpr_queue_ptr 0
		.amdhsa_user_sgpr_kernarg_segment_ptr 1
		.amdhsa_user_sgpr_dispatch_id 0
		.amdhsa_user_sgpr_private_segment_size 0
		.amdhsa_wavefront_size32 1
		.amdhsa_uses_dynamic_stack 0
		.amdhsa_enable_private_segment 0
		.amdhsa_system_sgpr_workgroup_id_x 1
		.amdhsa_system_sgpr_workgroup_id_y 1
		.amdhsa_system_sgpr_workgroup_id_z 0
		.amdhsa_system_sgpr_workgroup_info 0
		.amdhsa_system_vgpr_workitem_id 1
		.amdhsa_next_free_vgpr 92
		.amdhsa_next_free_sgpr 32
		.amdhsa_reserve_vcc 1
		.amdhsa_float_round_mode_32 0
		.amdhsa_float_round_mode_16_64 0
		.amdhsa_float_denorm_mode_32 3
		.amdhsa_float_denorm_mode_16_64 3
		.amdhsa_fp16_overflow 0
		.amdhsa_workgroup_processor_mode 1
		.amdhsa_memory_ordered 1
		.amdhsa_forward_progress 1
		.amdhsa_inst_pref_size 75
		.amdhsa_round_robin_scheduling 0
		.amdhsa_exception_fp_ieee_invalid_op 0
		.amdhsa_exception_fp_denorm_src 0
		.amdhsa_exception_fp_ieee_div_zero 0
		.amdhsa_exception_fp_ieee_overflow 0
		.amdhsa_exception_fp_ieee_underflow 0
		.amdhsa_exception_fp_ieee_inexact 0
		.amdhsa_exception_int_div_zero 0
	.end_amdhsa_kernel
	.section	.text._ZN2at6native12_GLOBAL__N_135GammaBetaBackwardCUDAKernelTemplateIN3c104HalfEfLj32ELj32ELj256ELb0ELb0ELb1EEEvllPKT_S7_PKT0_SA_PS5_SB_,"axG",@progbits,_ZN2at6native12_GLOBAL__N_135GammaBetaBackwardCUDAKernelTemplateIN3c104HalfEfLj32ELj32ELj256ELb0ELb0ELb1EEEvllPKT_S7_PKT0_SA_PS5_SB_,comdat
.Lfunc_end184:
	.size	_ZN2at6native12_GLOBAL__N_135GammaBetaBackwardCUDAKernelTemplateIN3c104HalfEfLj32ELj32ELj256ELb0ELb0ELb1EEEvllPKT_S7_PKT0_SA_PS5_SB_, .Lfunc_end184-_ZN2at6native12_GLOBAL__N_135GammaBetaBackwardCUDAKernelTemplateIN3c104HalfEfLj32ELj32ELj256ELb0ELb0ELb1EEEvllPKT_S7_PKT0_SA_PS5_SB_
                                        ; -- End function
	.set _ZN2at6native12_GLOBAL__N_135GammaBetaBackwardCUDAKernelTemplateIN3c104HalfEfLj32ELj32ELj256ELb0ELb0ELb1EEEvllPKT_S7_PKT0_SA_PS5_SB_.num_vgpr, 92
	.set _ZN2at6native12_GLOBAL__N_135GammaBetaBackwardCUDAKernelTemplateIN3c104HalfEfLj32ELj32ELj256ELb0ELb0ELb1EEEvllPKT_S7_PKT0_SA_PS5_SB_.num_agpr, 0
	.set _ZN2at6native12_GLOBAL__N_135GammaBetaBackwardCUDAKernelTemplateIN3c104HalfEfLj32ELj32ELj256ELb0ELb0ELb1EEEvllPKT_S7_PKT0_SA_PS5_SB_.numbered_sgpr, 32
	.set _ZN2at6native12_GLOBAL__N_135GammaBetaBackwardCUDAKernelTemplateIN3c104HalfEfLj32ELj32ELj256ELb0ELb0ELb1EEEvllPKT_S7_PKT0_SA_PS5_SB_.num_named_barrier, 0
	.set _ZN2at6native12_GLOBAL__N_135GammaBetaBackwardCUDAKernelTemplateIN3c104HalfEfLj32ELj32ELj256ELb0ELb0ELb1EEEvllPKT_S7_PKT0_SA_PS5_SB_.private_seg_size, 0
	.set _ZN2at6native12_GLOBAL__N_135GammaBetaBackwardCUDAKernelTemplateIN3c104HalfEfLj32ELj32ELj256ELb0ELb0ELb1EEEvllPKT_S7_PKT0_SA_PS5_SB_.uses_vcc, 1
	.set _ZN2at6native12_GLOBAL__N_135GammaBetaBackwardCUDAKernelTemplateIN3c104HalfEfLj32ELj32ELj256ELb0ELb0ELb1EEEvllPKT_S7_PKT0_SA_PS5_SB_.uses_flat_scratch, 0
	.set _ZN2at6native12_GLOBAL__N_135GammaBetaBackwardCUDAKernelTemplateIN3c104HalfEfLj32ELj32ELj256ELb0ELb0ELb1EEEvllPKT_S7_PKT0_SA_PS5_SB_.has_dyn_sized_stack, 0
	.set _ZN2at6native12_GLOBAL__N_135GammaBetaBackwardCUDAKernelTemplateIN3c104HalfEfLj32ELj32ELj256ELb0ELb0ELb1EEEvllPKT_S7_PKT0_SA_PS5_SB_.has_recursion, 0
	.set _ZN2at6native12_GLOBAL__N_135GammaBetaBackwardCUDAKernelTemplateIN3c104HalfEfLj32ELj32ELj256ELb0ELb0ELb1EEEvllPKT_S7_PKT0_SA_PS5_SB_.has_indirect_call, 0
	.section	.AMDGPU.csdata,"",@progbits
; Kernel info:
; codeLenInByte = 9500
; TotalNumSgprs: 34
; NumVgprs: 92
; ScratchSize: 0
; MemoryBound: 0
; FloatMode: 240
; IeeeMode: 1
; LDSByteSize: 0 bytes/workgroup (compile time only)
; SGPRBlocks: 0
; VGPRBlocks: 11
; NumSGPRsForWavesPerEU: 34
; NumVGPRsForWavesPerEU: 92
; Occupancy: 16
; WaveLimiterHint : 0
; COMPUTE_PGM_RSRC2:SCRATCH_EN: 0
; COMPUTE_PGM_RSRC2:USER_SGPR: 2
; COMPUTE_PGM_RSRC2:TRAP_HANDLER: 0
; COMPUTE_PGM_RSRC2:TGID_X_EN: 1
; COMPUTE_PGM_RSRC2:TGID_Y_EN: 1
; COMPUTE_PGM_RSRC2:TGID_Z_EN: 0
; COMPUTE_PGM_RSRC2:TIDIG_COMP_CNT: 1
	.section	.text._ZN2at6native12_GLOBAL__N_118cuComputeGradInputIN3c108BFloat16EfLb1EEEvPKT_S7_llPKT0_SA_S7_PS5_,"axG",@progbits,_ZN2at6native12_GLOBAL__N_118cuComputeGradInputIN3c108BFloat16EfLb1EEEvPKT_S7_llPKT0_SA_S7_PS5_,comdat
	.globl	_ZN2at6native12_GLOBAL__N_118cuComputeGradInputIN3c108BFloat16EfLb1EEEvPKT_S7_llPKT0_SA_S7_PS5_ ; -- Begin function _ZN2at6native12_GLOBAL__N_118cuComputeGradInputIN3c108BFloat16EfLb1EEEvPKT_S7_llPKT0_SA_S7_PS5_
	.p2align	8
	.type	_ZN2at6native12_GLOBAL__N_118cuComputeGradInputIN3c108BFloat16EfLb1EEEvPKT_S7_llPKT0_SA_S7_PS5_,@function
_ZN2at6native12_GLOBAL__N_118cuComputeGradInputIN3c108BFloat16EfLb1EEEvPKT_S7_llPKT0_SA_S7_PS5_: ; @_ZN2at6native12_GLOBAL__N_118cuComputeGradInputIN3c108BFloat16EfLb1EEEvPKT_S7_llPKT0_SA_S7_PS5_
; %bb.0:
	s_load_b128 s[8:11], s[0:1], 0x10
	s_mov_b32 s4, ttmp7
	s_ashr_i32 s5, ttmp7, 31
	s_wait_kmcnt 0x0
	v_cmp_le_i64_e64 s2, s[8:9], s[4:5]
	s_and_b32 vcc_lo, exec_lo, s2
	s_cbranch_vccnz .LBB185_47
; %bb.1:
	s_clause 0x2
	s_load_b32 s2, s[0:1], 0x4c
	s_load_b128 s[12:15], s[0:1], 0x30
	s_load_b32 s27, s[0:1], 0x44
	s_cls_i32 s3, s11
	v_bfe_u32 v10, v0, 10, 10
	v_cmp_gt_i64_e64 s34, s[10:11], 0
	v_mbcnt_lo_u32_b32 v12, -1, 0
	s_mov_b32 s26, ttmp7
	v_cndmask_b32_e64 v11, 0, 1, s34
	s_wait_kmcnt 0x0
	s_lshr_b32 s28, s2, 16
	s_and_b32 s29, s2, 0xffff
	s_cmp_lg_u64 s[12:13], 0
	s_mul_i32 s35, s28, s29
	s_cselect_b32 s30, -1, 0
	s_cmp_gt_u32 s29, 1
	s_cselect_b32 s31, -1, 0
	s_cmp_gt_u32 s28, 1
	s_cselect_b32 s33, -1, 0
	s_xor_b32 s2, s10, s11
	s_add_co_i32 s3, s3, -1
	s_ashr_i32 s2, s2, 31
	s_wait_alu 0xfffe
	s_ashr_i32 s36, s35, 31
	s_add_co_i32 s2, s2, 32
	s_delay_alu instid0(SALU_CYCLE_1) | instskip(NEXT) | instid1(SALU_CYCLE_1)
	s_min_u32 s6, s3, s2
	s_lshl_b64 s[2:3], s[10:11], s6
	s_delay_alu instid0(SALU_CYCLE_1) | instskip(NEXT) | instid1(SALU_CYCLE_1)
	s_min_u32 s2, s2, 1
	s_or_b32 s2, s3, s2
	s_sub_co_i32 s3, 32, s6
	s_cvt_f32_i32 s2, s2
	s_clause 0x1
	s_load_b128 s[16:19], s[0:1], 0x0
	s_load_b64 s[6:7], s[0:1], 0x28
	v_cmp_eq_u32_e64 s0, 0, v10
	v_cmp_ne_u32_e64 s1, 0, v10
	v_ldexp_f32 v8, s2, s3
	s_delay_alu instid0(VALU_DEP_1) | instskip(SKIP_1) | instid1(VALU_DEP_2)
	v_div_scale_f32 v1, null, v8, v8, 1.0
	v_div_scale_f32 v4, vcc_lo, 1.0, v8, 1.0
	v_rcp_f32_e32 v2, v1
	v_xor_b32_e32 v3, 0x80000000, v1
	s_delay_alu instid0(TRANS32_DEP_1) | instid1(VALU_DEP_1)
	v_fma_f32 v1, v3, v2, 1.0
	s_delay_alu instid0(VALU_DEP_1) | instskip(NEXT) | instid1(VALU_DEP_1)
	v_dual_fmac_f32 v2, v1, v2 :: v_dual_and_b32 v9, 0x3ff, v0
	v_mad_u32_u24 v0, v10, s29, v9
	v_dual_mov_b32 v1, 0 :: v_dual_lshlrev_b32 v6, 3, v9
	s_delay_alu instid0(VALU_DEP_2) | instskip(NEXT) | instid1(VALU_DEP_2)
	v_dual_mul_f32 v5, v4, v2 :: v_dual_lshlrev_b32 v14, 3, v0
	v_cmp_gt_i64_e64 s2, s[10:11], v[0:1]
	s_delay_alu instid0(VALU_DEP_3) | instskip(NEXT) | instid1(VALU_DEP_3)
	v_add_nc_u32_e32 v16, 0, v6
	v_fma_f32 v7, v3, v5, v4
	s_delay_alu instid0(VALU_DEP_4) | instskip(NEXT) | instid1(VALU_DEP_2)
	v_add_nc_u32_e32 v14, 0, v14
	v_fmac_f32_e32 v5, v7, v2
	s_delay_alu instid0(VALU_DEP_1) | instskip(NEXT) | instid1(VALU_DEP_1)
	v_dual_fmac_f32 v4, v3, v5 :: v_dual_add_nc_u32 v13, s35, v0
	v_ashrrev_i32_e32 v3, 31, v13
	s_delay_alu instid0(VALU_DEP_2) | instskip(SKIP_2) | instid1(VALU_DEP_3)
	v_div_fmas_f32 v4, v4, v2, v5
	v_sub_co_u32 v2, vcc_lo, v13, s35
	s_wait_alu 0xfffd
	v_subrev_co_ci_u32_e64 v3, null, s36, v3, vcc_lo
	s_delay_alu instid0(VALU_DEP_3)
	v_div_fixup_f32 v15, v4, v8, 1.0
	s_branch .LBB185_4
.LBB185_2:                              ;   in Loop: Header=BB185_4 Depth=1
	s_or_b32 exec_lo, exec_lo, s24
.LBB185_3:                              ;   in Loop: Header=BB185_4 Depth=1
	s_add_co_i32 s4, s27, s26
	s_wait_storecnt 0x0
	s_wait_loadcnt_dscnt 0x0
	s_wait_alu 0xfffe
	s_ashr_i32 s5, s4, 31
	s_mov_b32 s26, s4
	s_wait_alu 0xfffe
	v_cmp_le_i64_e64 s3, s[8:9], s[4:5]
	s_barrier_signal -1
	s_barrier_wait -1
	global_inv scope:SCOPE_SE
	s_and_b32 vcc_lo, exec_lo, s3
	s_wait_alu 0xfffe
	s_cbranch_vccnz .LBB185_47
.LBB185_4:                              ; =>This Loop Header: Depth=1
                                        ;     Child Loop BB185_8 Depth 2
                                        ;     Child Loop BB185_19 Depth 2
	;; [unrolled: 1-line block ×6, first 2 shown]
	s_lshl_b64 s[20:21], s[4:5], 2
	s_mul_u64 s[4:5], s[4:5], s[10:11]
	s_wait_kmcnt 0x0
	s_wait_alu 0xfffe
	s_add_nc_u64 s[20:21], s[6:7], s[20:21]
	v_cmp_ne_u32_e64 s3, 1, v11
	s_load_b32 s37, s[20:21], 0x0
	s_lshl_b64 s[24:25], s[4:5], 1
	s_and_not1_b32 vcc_lo, exec_lo, s30
	s_add_nc_u64 s[20:21], s[18:19], s[24:25]
	s_add_nc_u64 s[22:23], s[16:17], s[24:25]
	s_mov_b32 s4, -1
                                        ; implicit-def: $vgpr17
	s_wait_alu 0xfffe
	s_cbranch_vccnz .LBB185_15
; %bb.5:                                ;   in Loop: Header=BB185_4 Depth=1
	v_mov_b32_e32 v17, 0
	s_and_b32 vcc_lo, exec_lo, s3
	s_wait_alu 0xfffe
	s_cbranch_vccnz .LBB185_14
; %bb.6:                                ;   in Loop: Header=BB185_4 Depth=1
	s_mov_b32 s4, 0
	s_branch .LBB185_8
.LBB185_7:                              ;   in Loop: Header=BB185_8 Depth=2
	s_wait_alu 0xfffe
	s_or_b32 exec_lo, exec_lo, s3
	s_delay_alu instid0(VALU_DEP_1)
	v_mul_f32_e32 v4, v6, v18
	s_add_co_i32 s4, s4, s35
	s_wait_alu 0xfffe
	s_ashr_i32 s5, s4, 31
	s_wait_alu 0xfffe
	v_cmp_le_i64_e64 s3, s[10:11], s[4:5]
	v_mul_f32_e32 v4, v7, v4
	s_wait_kmcnt 0x0
	s_delay_alu instid0(VALU_DEP_1)
	v_fmac_f32_e32 v17, s37, v4
	s_and_b32 vcc_lo, exec_lo, s3
	s_wait_alu 0xfffe
	s_cbranch_vccnz .LBB185_14
.LBB185_8:                              ;   Parent Loop BB185_4 Depth=1
                                        ; =>  This Inner Loop Header: Depth=2
	s_wait_alu 0xfffe
	v_add_nc_u32_e32 v4, s4, v0
	v_mov_b32_e32 v6, 0
	s_delay_alu instid0(VALU_DEP_2) | instskip(NEXT) | instid1(VALU_DEP_1)
	v_ashrrev_i32_e32 v5, 31, v4
	v_cmp_gt_i64_e32 vcc_lo, s[10:11], v[4:5]
	v_lshlrev_b64_e32 v[4:5], 1, v[4:5]
	s_and_saveexec_b32 s5, vcc_lo
	s_cbranch_execz .LBB185_10
; %bb.9:                                ;   in Loop: Header=BB185_8 Depth=2
	s_delay_alu instid0(VALU_DEP_1) | instskip(SKIP_1) | instid1(VALU_DEP_2)
	v_add_co_u32 v6, s3, s12, v4
	s_wait_alu 0xf1ff
	v_add_co_ci_u32_e64 v7, null, s13, v5, s3
	global_load_u16 v6, v[6:7], off
	s_wait_loadcnt 0x0
	v_lshlrev_b32_e32 v6, 16, v6
.LBB185_10:                             ;   in Loop: Header=BB185_8 Depth=2
	s_wait_alu 0xfffe
	s_or_b32 exec_lo, exec_lo, s5
	v_dual_mov_b32 v18, 0 :: v_dual_mov_b32 v7, 0
	s_and_saveexec_b32 s5, vcc_lo
	s_cbranch_execz .LBB185_12
; %bb.11:                               ;   in Loop: Header=BB185_8 Depth=2
	v_add_co_u32 v19, s3, s20, v4
	s_wait_alu 0xf1ff
	v_add_co_ci_u32_e64 v20, null, s21, v5, s3
	global_load_u16 v7, v[19:20], off
	s_wait_loadcnt 0x0
	v_lshlrev_b32_e32 v7, 16, v7
.LBB185_12:                             ;   in Loop: Header=BB185_8 Depth=2
	s_wait_alu 0xfffe
	s_or_b32 exec_lo, exec_lo, s5
	s_and_saveexec_b32 s3, vcc_lo
	s_cbranch_execz .LBB185_7
; %bb.13:                               ;   in Loop: Header=BB185_8 Depth=2
	v_add_co_u32 v4, vcc_lo, s22, v4
	s_wait_alu 0xfffd
	v_add_co_ci_u32_e64 v5, null, s23, v5, vcc_lo
	global_load_u16 v4, v[4:5], off
	s_wait_loadcnt 0x0
	v_lshlrev_b32_e32 v18, 16, v4
	s_branch .LBB185_7
.LBB185_14:                             ;   in Loop: Header=BB185_4 Depth=1
	s_mov_b32 s4, 0
.LBB185_15:                             ;   in Loop: Header=BB185_4 Depth=1
	s_wait_alu 0xfffe
	s_and_not1_b32 vcc_lo, exec_lo, s4
	s_wait_alu 0xfffe
	s_cbranch_vccnz .LBB185_23
; %bb.16:                               ;   in Loop: Header=BB185_4 Depth=1
	v_mov_b32_e32 v17, 0
	s_and_not1_b32 vcc_lo, exec_lo, s34
	s_wait_alu 0xfffe
	s_cbranch_vccnz .LBB185_23
; %bb.17:                               ;   in Loop: Header=BB185_4 Depth=1
	s_mov_b32 s4, 0
	s_branch .LBB185_19
.LBB185_18:                             ;   in Loop: Header=BB185_19 Depth=2
	s_wait_alu 0xfffe
	s_or_b32 exec_lo, exec_lo, s3
	s_add_co_i32 s4, s4, s35
	v_mul_f32_e32 v4, v6, v7
	s_wait_alu 0xfffe
	s_ashr_i32 s5, s4, 31
	s_wait_alu 0xfffe
	v_cmp_le_i64_e64 s3, s[10:11], s[4:5]
	s_wait_kmcnt 0x0
	v_fmac_f32_e32 v17, s37, v4
	s_and_b32 vcc_lo, exec_lo, s3
	s_wait_alu 0xfffe
	s_cbranch_vccnz .LBB185_23
.LBB185_19:                             ;   Parent Loop BB185_4 Depth=1
                                        ; =>  This Inner Loop Header: Depth=2
	s_wait_alu 0xfffe
	v_add_nc_u32_e32 v4, s4, v0
	v_mov_b32_e32 v6, 0
	s_delay_alu instid0(VALU_DEP_2) | instskip(NEXT) | instid1(VALU_DEP_1)
	v_ashrrev_i32_e32 v5, 31, v4
	v_cmp_gt_i64_e32 vcc_lo, s[10:11], v[4:5]
	v_lshlrev_b64_e32 v[4:5], 1, v[4:5]
	s_and_saveexec_b32 s5, vcc_lo
	s_cbranch_execz .LBB185_21
; %bb.20:                               ;   in Loop: Header=BB185_19 Depth=2
	s_delay_alu instid0(VALU_DEP_1) | instskip(SKIP_1) | instid1(VALU_DEP_2)
	v_add_co_u32 v6, s3, s20, v4
	s_wait_alu 0xf1ff
	v_add_co_ci_u32_e64 v7, null, s21, v5, s3
	global_load_u16 v6, v[6:7], off
	s_wait_loadcnt 0x0
	v_lshlrev_b32_e32 v6, 16, v6
.LBB185_21:                             ;   in Loop: Header=BB185_19 Depth=2
	s_wait_alu 0xfffe
	s_or_b32 exec_lo, exec_lo, s5
	v_mov_b32_e32 v7, 0
	s_and_saveexec_b32 s3, vcc_lo
	s_cbranch_execz .LBB185_18
; %bb.22:                               ;   in Loop: Header=BB185_19 Depth=2
	v_add_co_u32 v4, vcc_lo, s22, v4
	s_wait_alu 0xfffd
	v_add_co_ci_u32_e64 v5, null, s23, v5, vcc_lo
	global_load_u16 v4, v[4:5], off
	s_wait_loadcnt 0x0
	v_lshlrev_b32_e32 v7, 16, v4
	s_branch .LBB185_18
.LBB185_23:                             ;   in Loop: Header=BB185_4 Depth=1
	s_and_not1_b32 vcc_lo, exec_lo, s31
	s_wait_alu 0xfffe
	s_cbranch_vccnz .LBB185_26
; %bb.24:                               ;   in Loop: Header=BB185_4 Depth=1
	s_mov_b32 s3, s29
.LBB185_25:                             ;   Parent Loop BB185_4 Depth=1
                                        ; =>  This Inner Loop Header: Depth=2
	s_wait_alu 0xfffe
	s_lshr_b32 s4, s3, 1
	s_cmp_lt_u32 s3, 4
	s_wait_alu 0xfffe
	v_xor_b32_e32 v4, s4, v12
	s_mov_b32 s3, s4
	s_delay_alu instid0(VALU_DEP_1) | instskip(SKIP_2) | instid1(VALU_DEP_1)
	v_cmp_gt_i32_e32 vcc_lo, 32, v4
	s_wait_alu 0xfffd
	v_cndmask_b32_e32 v4, v12, v4, vcc_lo
	v_lshlrev_b32_e32 v4, 2, v4
	ds_bpermute_b32 v4, v4, v17
	s_wait_dscnt 0x0
	v_add_f32_e32 v17, v17, v4
	s_cbranch_scc0 .LBB185_25
.LBB185_26:                             ;   in Loop: Header=BB185_4 Depth=1
	s_and_not1_b32 vcc_lo, exec_lo, s33
	s_mov_b32 s5, s28
	s_wait_alu 0xfffe
	s_cbranch_vccnz .LBB185_38
.LBB185_27:                             ;   Parent Loop BB185_4 Depth=1
                                        ; =>  This Inner Loop Header: Depth=2
	s_wait_alu 0xfffe
	s_lshr_b32 s38, s5, 1
	s_and_b32 s4, s5, 0xfffe
	s_wait_alu 0xfffe
	v_cmp_le_u32_e64 s3, s38, v10
	v_cmp_gt_u32_e64 s4, s4, v10
	v_cmp_gt_u32_e32 vcc_lo, s38, v10
	s_and_b32 s4, s3, s4
	s_wait_alu 0xfffe
	s_and_saveexec_b32 s3, s4
	s_cbranch_execz .LBB185_29
; %bb.28:                               ;   in Loop: Header=BB185_27 Depth=2
	v_subrev_nc_u32_e32 v4, s38, v10
	s_delay_alu instid0(VALU_DEP_1) | instskip(NEXT) | instid1(VALU_DEP_1)
	v_mad_u32_u24 v4, v4, s29, v9
	v_lshl_add_u32 v4, v4, 3, 0
	ds_store_b32 v4, v17 offset:4
.LBB185_29:                             ;   in Loop: Header=BB185_27 Depth=2
	s_wait_alu 0xfffe
	s_or_b32 exec_lo, exec_lo, s3
	s_wait_dscnt 0x0
	s_barrier_signal -1
	s_barrier_wait -1
	global_inv scope:SCOPE_SE
	s_and_saveexec_b32 s3, vcc_lo
	s_cbranch_execz .LBB185_31
; %bb.30:                               ;   in Loop: Header=BB185_27 Depth=2
	ds_load_b32 v4, v14 offset:4
	s_wait_dscnt 0x0
	v_add_f32_e32 v17, v17, v4
.LBB185_31:                             ;   in Loop: Header=BB185_27 Depth=2
	s_wait_alu 0xfffe
	s_or_b32 exec_lo, exec_lo, s3
	s_cmp_lt_u32 s5, 4
	s_wait_loadcnt 0x0
	s_barrier_signal -1
	s_barrier_wait -1
	global_inv scope:SCOPE_SE
	s_cbranch_scc1 .LBB185_33
; %bb.32:                               ;   in Loop: Header=BB185_27 Depth=2
	s_mov_b32 s5, s38
	s_branch .LBB185_27
.LBB185_33:                             ;   in Loop: Header=BB185_4 Depth=1
	s_and_saveexec_b32 s3, s0
; %bb.34:                               ;   in Loop: Header=BB185_4 Depth=1
	ds_store_b32 v16, v17 offset:4
; %bb.35:                               ;   in Loop: Header=BB185_4 Depth=1
	s_wait_alu 0xfffe
	s_or_b32 exec_lo, exec_lo, s3
	s_wait_loadcnt_dscnt 0x0
	s_barrier_signal -1
	s_barrier_wait -1
	global_inv scope:SCOPE_SE
	s_and_saveexec_b32 s3, s1
; %bb.36:                               ;   in Loop: Header=BB185_4 Depth=1
	ds_load_b32 v17, v16 offset:4
; %bb.37:                               ;   in Loop: Header=BB185_4 Depth=1
	s_wait_alu 0xfffe
	s_or_b32 exec_lo, exec_lo, s3
.LBB185_38:                             ;   in Loop: Header=BB185_4 Depth=1
	s_wait_kmcnt 0x0
	v_mul_f32_e32 v18, s37, v15
	s_and_not1_b32 vcc_lo, exec_lo, s30
	s_add_nc_u64 s[4:5], s[14:15], s[24:25]
	s_wait_alu 0xfffe
	s_cbranch_vccnz .LBB185_43
; %bb.39:                               ;   in Loop: Header=BB185_4 Depth=1
	s_and_saveexec_b32 s24, s2
	s_cbranch_execz .LBB185_42
; %bb.40:                               ;   in Loop: Header=BB185_4 Depth=1
	v_dual_mov_b32 v19, s37 :: v_dual_mov_b32 v4, v13
	v_dual_mov_b32 v7, v1 :: v_dual_mov_b32 v6, v0
	s_mov_b32 s25, 0
.LBB185_41:                             ;   Parent Loop BB185_4 Depth=1
                                        ; =>  This Inner Loop Header: Depth=2
	s_delay_alu instid0(VALU_DEP_1) | instskip(NEXT) | instid1(VALU_DEP_1)
	v_lshlrev_b64_e32 v[20:21], 1, v[6:7]
	v_add_co_u32 v5, vcc_lo, s20, v20
	s_wait_alu 0xfffd
	s_delay_alu instid0(VALU_DEP_2)
	v_add_co_ci_u32_e64 v6, null, s21, v21, vcc_lo
	v_add_co_u32 v22, vcc_lo, s22, v20
	s_wait_alu 0xfffd
	v_add_co_ci_u32_e64 v23, null, s23, v21, vcc_lo
	v_add_co_u32 v24, vcc_lo, s12, v20
	s_wait_alu 0xfffd
	v_add_co_ci_u32_e64 v25, null, s13, v21, vcc_lo
	global_load_u16 v5, v[5:6], off
	global_load_u16 v6, v[22:23], off
	;; [unrolled: 1-line block ×3, first 2 shown]
	v_add_co_u32 v20, s3, s4, v20
	s_wait_alu 0xf1ff
	v_add_co_ci_u32_e64 v21, null, s5, v21, s3
	s_wait_loadcnt 0x1
	v_lshlrev_b32_e32 v6, 16, v6
	v_lshlrev_b32_e32 v5, 16, v5
	s_wait_loadcnt 0x0
	s_delay_alu instid0(VALU_DEP_2) | instskip(NEXT) | instid1(VALU_DEP_2)
	v_dual_mul_f32 v6, v8, v6 :: v_dual_lshlrev_b32 v7, 16, v7
	v_mul_f32_e32 v5, v19, v5
	s_wait_dscnt 0x0
	s_delay_alu instid0(VALU_DEP_1) | instskip(NEXT) | instid1(VALU_DEP_1)
	v_mul_f32_e32 v5, v5, v17
	v_fma_f32 v5, v6, v7, -v5
	s_delay_alu instid0(VALU_DEP_1) | instskip(NEXT) | instid1(VALU_DEP_1)
	v_mul_f32_e32 v22, v18, v5
	v_bfe_u32 v5, v22, 16, 1
	v_cmp_o_f32_e64 s3, v22, v22
	s_delay_alu instid0(VALU_DEP_2) | instskip(SKIP_1) | instid1(VALU_DEP_1)
	v_add3_u32 v23, v22, v5, 0x7fff
	v_ashrrev_i32_e32 v5, 31, v4
	v_dual_mov_b32 v7, v5 :: v_dual_mov_b32 v6, v4
	v_cmp_le_i64_e32 vcc_lo, s[10:11], v[4:5]
	s_delay_alu instid0(VALU_DEP_4) | instskip(SKIP_2) | instid1(VALU_DEP_2)
	v_lshrrev_b32_e32 v5, 16, v23
	v_add_nc_u32_e32 v4, s35, v4
	s_wait_alu 0xf1ff
	v_cndmask_b32_e64 v5, 0x7fc0, v5, s3
	s_or_b32 s25, vcc_lo, s25
	global_store_b16 v[20:21], v5, off
	s_and_not1_b32 exec_lo, exec_lo, s25
	s_cbranch_execnz .LBB185_41
.LBB185_42:                             ;   in Loop: Header=BB185_4 Depth=1
	s_or_b32 exec_lo, exec_lo, s24
	s_cbranch_execnz .LBB185_3
	s_branch .LBB185_44
.LBB185_43:                             ;   in Loop: Header=BB185_4 Depth=1
.LBB185_44:                             ;   in Loop: Header=BB185_4 Depth=1
	s_and_saveexec_b32 s24, s2
	s_cbranch_execz .LBB185_2
; %bb.45:                               ;   in Loop: Header=BB185_4 Depth=1
	v_mov_b32_e32 v5, v3
	v_mov_b32_e32 v7, v1
	v_dual_mov_b32 v19, s37 :: v_dual_mov_b32 v4, v2
	v_mov_b32_e32 v6, v0
	s_mov_b32 s25, 0
.LBB185_46:                             ;   Parent Loop BB185_4 Depth=1
                                        ; =>  This Inner Loop Header: Depth=2
	s_delay_alu instid0(VALU_DEP_1) | instskip(NEXT) | instid1(VALU_DEP_1)
	v_lshlrev_b64_e32 v[20:21], 1, v[6:7]
	v_add_co_u32 v6, vcc_lo, s22, v20
	s_wait_alu 0xfffd
	s_delay_alu instid0(VALU_DEP_2)
	v_add_co_ci_u32_e64 v7, null, s23, v21, vcc_lo
	v_add_co_u32 v22, vcc_lo, s20, v20
	s_wait_alu 0xfffd
	v_add_co_ci_u32_e64 v23, null, s21, v21, vcc_lo
	global_load_u16 v6, v[6:7], off
	global_load_u16 v7, v[22:23], off
	v_add_co_u32 v4, vcc_lo, v4, s35
	s_wait_alu 0xfffd
	v_add_co_ci_u32_e64 v5, null, s36, v5, vcc_lo
	v_add_co_u32 v20, s3, s4, v20
	s_wait_alu 0xf1ff
	v_add_co_ci_u32_e64 v21, null, s5, v21, s3
	s_delay_alu instid0(VALU_DEP_3) | instskip(SKIP_3) | instid1(VALU_DEP_1)
	v_cmp_le_i64_e32 vcc_lo, s[10:11], v[4:5]
	s_or_b32 s25, vcc_lo, s25
	s_wait_loadcnt 0x0
	v_lshlrev_b32_e32 v7, 16, v7
	v_dual_mul_f32 v7, v19, v7 :: v_dual_lshlrev_b32 v6, 16, v6
	s_delay_alu instid0(VALU_DEP_1) | instskip(SKIP_1) | instid1(VALU_DEP_1)
	v_mul_f32_e32 v6, v8, v6
	s_wait_dscnt 0x0
	v_fma_f32 v6, -v17, v7, v6
	s_delay_alu instid0(VALU_DEP_1) | instskip(NEXT) | instid1(VALU_DEP_1)
	v_mul_f32_e32 v6, v18, v6
	v_bfe_u32 v7, v6, 16, 1
	v_cmp_o_f32_e64 s3, v6, v6
	s_delay_alu instid0(VALU_DEP_2) | instskip(SKIP_2) | instid1(VALU_DEP_3)
	v_add3_u32 v22, v6, v7, 0x7fff
	v_ashrrev_i32_e32 v7, 31, v4
	v_mov_b32_e32 v6, v4
	v_lshrrev_b32_e32 v22, 16, v22
	s_wait_alu 0xf1ff
	s_delay_alu instid0(VALU_DEP_1)
	v_cndmask_b32_e64 v22, 0x7fc0, v22, s3
	global_store_b16 v[20:21], v22, off
	s_and_not1_b32 exec_lo, exec_lo, s25
	s_cbranch_execnz .LBB185_46
	s_branch .LBB185_2
.LBB185_47:
	s_endpgm
	.section	.rodata,"a",@progbits
	.p2align	6, 0x0
	.amdhsa_kernel _ZN2at6native12_GLOBAL__N_118cuComputeGradInputIN3c108BFloat16EfLb1EEEvPKT_S7_llPKT0_SA_S7_PS5_
		.amdhsa_group_segment_fixed_size 0
		.amdhsa_private_segment_fixed_size 0
		.amdhsa_kernarg_size 320
		.amdhsa_user_sgpr_count 2
		.amdhsa_user_sgpr_dispatch_ptr 0
		.amdhsa_user_sgpr_queue_ptr 0
		.amdhsa_user_sgpr_kernarg_segment_ptr 1
		.amdhsa_user_sgpr_dispatch_id 0
		.amdhsa_user_sgpr_private_segment_size 0
		.amdhsa_wavefront_size32 1
		.amdhsa_uses_dynamic_stack 0
		.amdhsa_enable_private_segment 0
		.amdhsa_system_sgpr_workgroup_id_x 1
		.amdhsa_system_sgpr_workgroup_id_y 1
		.amdhsa_system_sgpr_workgroup_id_z 0
		.amdhsa_system_sgpr_workgroup_info 0
		.amdhsa_system_vgpr_workitem_id 1
		.amdhsa_next_free_vgpr 26
		.amdhsa_next_free_sgpr 39
		.amdhsa_reserve_vcc 1
		.amdhsa_float_round_mode_32 0
		.amdhsa_float_round_mode_16_64 0
		.amdhsa_float_denorm_mode_32 3
		.amdhsa_float_denorm_mode_16_64 3
		.amdhsa_fp16_overflow 0
		.amdhsa_workgroup_processor_mode 1
		.amdhsa_memory_ordered 1
		.amdhsa_forward_progress 1
		.amdhsa_inst_pref_size 17
		.amdhsa_round_robin_scheduling 0
		.amdhsa_exception_fp_ieee_invalid_op 0
		.amdhsa_exception_fp_denorm_src 0
		.amdhsa_exception_fp_ieee_div_zero 0
		.amdhsa_exception_fp_ieee_overflow 0
		.amdhsa_exception_fp_ieee_underflow 0
		.amdhsa_exception_fp_ieee_inexact 0
		.amdhsa_exception_int_div_zero 0
	.end_amdhsa_kernel
	.section	.text._ZN2at6native12_GLOBAL__N_118cuComputeGradInputIN3c108BFloat16EfLb1EEEvPKT_S7_llPKT0_SA_S7_PS5_,"axG",@progbits,_ZN2at6native12_GLOBAL__N_118cuComputeGradInputIN3c108BFloat16EfLb1EEEvPKT_S7_llPKT0_SA_S7_PS5_,comdat
.Lfunc_end185:
	.size	_ZN2at6native12_GLOBAL__N_118cuComputeGradInputIN3c108BFloat16EfLb1EEEvPKT_S7_llPKT0_SA_S7_PS5_, .Lfunc_end185-_ZN2at6native12_GLOBAL__N_118cuComputeGradInputIN3c108BFloat16EfLb1EEEvPKT_S7_llPKT0_SA_S7_PS5_
                                        ; -- End function
	.set _ZN2at6native12_GLOBAL__N_118cuComputeGradInputIN3c108BFloat16EfLb1EEEvPKT_S7_llPKT0_SA_S7_PS5_.num_vgpr, 26
	.set _ZN2at6native12_GLOBAL__N_118cuComputeGradInputIN3c108BFloat16EfLb1EEEvPKT_S7_llPKT0_SA_S7_PS5_.num_agpr, 0
	.set _ZN2at6native12_GLOBAL__N_118cuComputeGradInputIN3c108BFloat16EfLb1EEEvPKT_S7_llPKT0_SA_S7_PS5_.numbered_sgpr, 39
	.set _ZN2at6native12_GLOBAL__N_118cuComputeGradInputIN3c108BFloat16EfLb1EEEvPKT_S7_llPKT0_SA_S7_PS5_.num_named_barrier, 0
	.set _ZN2at6native12_GLOBAL__N_118cuComputeGradInputIN3c108BFloat16EfLb1EEEvPKT_S7_llPKT0_SA_S7_PS5_.private_seg_size, 0
	.set _ZN2at6native12_GLOBAL__N_118cuComputeGradInputIN3c108BFloat16EfLb1EEEvPKT_S7_llPKT0_SA_S7_PS5_.uses_vcc, 1
	.set _ZN2at6native12_GLOBAL__N_118cuComputeGradInputIN3c108BFloat16EfLb1EEEvPKT_S7_llPKT0_SA_S7_PS5_.uses_flat_scratch, 0
	.set _ZN2at6native12_GLOBAL__N_118cuComputeGradInputIN3c108BFloat16EfLb1EEEvPKT_S7_llPKT0_SA_S7_PS5_.has_dyn_sized_stack, 0
	.set _ZN2at6native12_GLOBAL__N_118cuComputeGradInputIN3c108BFloat16EfLb1EEEvPKT_S7_llPKT0_SA_S7_PS5_.has_recursion, 0
	.set _ZN2at6native12_GLOBAL__N_118cuComputeGradInputIN3c108BFloat16EfLb1EEEvPKT_S7_llPKT0_SA_S7_PS5_.has_indirect_call, 0
	.section	.AMDGPU.csdata,"",@progbits
; Kernel info:
; codeLenInByte = 2112
; TotalNumSgprs: 41
; NumVgprs: 26
; ScratchSize: 0
; MemoryBound: 0
; FloatMode: 240
; IeeeMode: 1
; LDSByteSize: 0 bytes/workgroup (compile time only)
; SGPRBlocks: 0
; VGPRBlocks: 3
; NumSGPRsForWavesPerEU: 41
; NumVGPRsForWavesPerEU: 26
; Occupancy: 16
; WaveLimiterHint : 0
; COMPUTE_PGM_RSRC2:SCRATCH_EN: 0
; COMPUTE_PGM_RSRC2:USER_SGPR: 2
; COMPUTE_PGM_RSRC2:TRAP_HANDLER: 0
; COMPUTE_PGM_RSRC2:TGID_X_EN: 1
; COMPUTE_PGM_RSRC2:TGID_Y_EN: 1
; COMPUTE_PGM_RSRC2:TGID_Z_EN: 0
; COMPUTE_PGM_RSRC2:TIDIG_COMP_CNT: 1
	.section	.text._ZN2at6native12_GLOBAL__N_128layer_norm_grad_input_kernelIN3c108BFloat16EfLb1EEEvPKT_S7_PKT0_SA_S7_PS5_i,"axG",@progbits,_ZN2at6native12_GLOBAL__N_128layer_norm_grad_input_kernelIN3c108BFloat16EfLb1EEEvPKT_S7_PKT0_SA_S7_PS5_i,comdat
	.globl	_ZN2at6native12_GLOBAL__N_128layer_norm_grad_input_kernelIN3c108BFloat16EfLb1EEEvPKT_S7_PKT0_SA_S7_PS5_i ; -- Begin function _ZN2at6native12_GLOBAL__N_128layer_norm_grad_input_kernelIN3c108BFloat16EfLb1EEEvPKT_S7_PKT0_SA_S7_PS5_i
	.p2align	8
	.type	_ZN2at6native12_GLOBAL__N_128layer_norm_grad_input_kernelIN3c108BFloat16EfLb1EEEvPKT_S7_PKT0_SA_S7_PS5_i,@function
_ZN2at6native12_GLOBAL__N_128layer_norm_grad_input_kernelIN3c108BFloat16EfLb1EEEvPKT_S7_PKT0_SA_S7_PS5_i: ; @_ZN2at6native12_GLOBAL__N_128layer_norm_grad_input_kernelIN3c108BFloat16EfLb1EEEvPKT_S7_PKT0_SA_S7_PS5_i
; %bb.0:
	s_clause 0x1
	s_load_b128 s[4:7], s[0:1], 0x18
	s_load_b32 s12, s[0:1], 0x30
	s_mov_b32 s2, ttmp9
	s_mov_b32 s3, 0
	s_load_b128 s[8:11], s[0:1], 0x0
	s_lshl_b64 s[14:15], s[2:3], 2
	v_lshlrev_b32_e32 v1, 2, v0
	v_mov_b32_e32 v9, 0
	s_delay_alu instid0(VALU_DEP_2)
	v_or_b32_e32 v2, 3, v1
	s_wait_kmcnt 0x0
	s_add_nc_u64 s[4:5], s[4:5], s[14:15]
	s_ashr_i32 s13, s12, 31
	s_load_b32 s18, s[4:5], 0x0
	s_mul_u64 s[4:5], s[12:13], s[2:3]
	s_mov_b32 s2, exec_lo
	s_lshl_b64 s[16:17], s[4:5], 1
	s_delay_alu instid0(SALU_CYCLE_1)
	s_add_nc_u64 s[4:5], s[10:11], s[16:17]
	s_add_nc_u64 s[14:15], s[8:9], s[16:17]
	v_cmpx_gt_u32_e64 s12, v2
	s_cbranch_execz .LBB186_12
; %bb.1:
	s_load_b32 s19, s[0:1], 0x44
	s_cmp_lg_u64 s[6:7], 0
	v_dual_mov_b32 v2, 0 :: v_dual_mov_b32 v9, 0
	s_cselect_b32 s13, -1, 0
	s_wait_kmcnt 0x0
	s_and_b32 s19, s19, 0xffff
	s_delay_alu instid0(SALU_CYCLE_1)
	s_lshl_b32 s19, s19, 2
	s_branch .LBB186_3
.LBB186_2:                              ;   in Loop: Header=BB186_3 Depth=1
	global_load_u16 v5, v[5:6], off offset:6
	global_load_u16 v3, v[3:4], off offset:6
	s_wait_loadcnt 0x4
	v_lshlrev_b32_e32 v7, 16, v16
	s_delay_alu instid0(VALU_DEP_1) | instskip(SKIP_1) | instid1(VALU_DEP_1)
	v_dual_mul_f32 v7, v10, v7 :: v_dual_lshlrev_b32 v4, 16, v13
	s_wait_loadcnt 0x1
	v_dual_mul_f32 v4, v11, v4 :: v_dual_lshlrev_b32 v5, 16, v5
	v_lshlrev_b32_e32 v6, 16, v12
	s_wait_loadcnt 0x0
	v_lshlrev_b32_e32 v3, 16, v3
	s_delay_alu instid0(VALU_DEP_2) | instskip(SKIP_1) | instid1(VALU_DEP_2)
	v_dual_mul_f32 v5, v14, v5 :: v_dual_mul_f32 v4, v4, v6
	v_lshlrev_b32_e32 v6, 16, v15
	v_mul_f32_e32 v3, v5, v3
	s_delay_alu instid0(VALU_DEP_2) | instskip(NEXT) | instid1(VALU_DEP_1)
	v_dual_fmac_f32 v9, s18, v4 :: v_dual_mul_f32 v4, v7, v6
	v_dual_fmac_f32 v9, s18, v4 :: v_dual_lshlrev_b32 v8, 16, v19
	s_delay_alu instid0(VALU_DEP_1) | instskip(NEXT) | instid1(VALU_DEP_1)
	v_dual_mul_f32 v7, v17, v8 :: v_dual_lshlrev_b32 v6, 16, v18
	v_dual_mul_f32 v4, v7, v6 :: v_dual_add_nc_u32 v1, s19, v1
	s_delay_alu instid0(VALU_DEP_1) | instskip(NEXT) | instid1(VALU_DEP_1)
	v_dual_fmac_f32 v9, s18, v4 :: v_dual_add_nc_u32 v6, 3, v1
	v_cmp_le_u32_e32 vcc_lo, s12, v6
	s_delay_alu instid0(VALU_DEP_2) | instskip(SKIP_1) | instid1(SALU_CYCLE_1)
	v_fmac_f32_e32 v9, s18, v3
	s_or_b32 s3, vcc_lo, s3
	s_and_not1_b32 exec_lo, exec_lo, s3
	s_cbranch_execz .LBB186_11
.LBB186_3:                              ; =>This Inner Loop Header: Depth=1
	v_lshlrev_b64_e32 v[7:8], 1, v[1:2]
	v_dual_mov_b32 v10, 1.0 :: v_dual_mov_b32 v11, 1.0
	s_wait_alu 0xfffe
	s_and_b32 vcc_lo, exec_lo, s13
	s_wait_alu 0xfffe
	s_cbranch_vccz .LBB186_5
; %bb.4:                                ;   in Loop: Header=BB186_3 Depth=1
	v_add_co_u32 v3, vcc_lo, s6, v7
	s_wait_alu 0xfffd
	v_add_co_ci_u32_e64 v4, null, s7, v8, vcc_lo
	global_load_u16 v3, v[3:4], off
	s_wait_loadcnt 0x0
	v_lshlrev_b32_e32 v11, 16, v3
.LBB186_5:                              ;   in Loop: Header=BB186_3 Depth=1
	v_add_co_u32 v3, vcc_lo, s4, v7
	s_wait_alu 0xfffd
	v_add_co_ci_u32_e64 v4, null, s5, v8, vcc_lo
	v_add_co_u32 v5, vcc_lo, s14, v7
	s_wait_alu 0xfffd
	v_add_co_ci_u32_e64 v6, null, s15, v8, vcc_lo
	global_load_u16 v12, v[3:4], off
	global_load_u16 v13, v[5:6], off
	s_and_not1_b32 vcc_lo, exec_lo, s13
	s_wait_alu 0xfffe
	s_cbranch_vccnz .LBB186_7
; %bb.6:                                ;   in Loop: Header=BB186_3 Depth=1
	v_add_co_u32 v14, vcc_lo, s6, v7
	s_wait_alu 0xfffd
	v_add_co_ci_u32_e64 v15, null, s7, v8, vcc_lo
	global_load_u16 v10, v[14:15], off offset:2
	s_wait_loadcnt 0x0
	v_lshlrev_b32_e32 v10, 16, v10
.LBB186_7:                              ;   in Loop: Header=BB186_3 Depth=1
	global_load_u16 v15, v[3:4], off offset:2
	global_load_u16 v16, v[5:6], off offset:2
	v_dual_mov_b32 v14, 1.0 :: v_dual_mov_b32 v17, 1.0
	s_and_not1_b32 vcc_lo, exec_lo, s13
	s_wait_alu 0xfffe
	s_cbranch_vccnz .LBB186_9
; %bb.8:                                ;   in Loop: Header=BB186_3 Depth=1
	v_add_co_u32 v17, vcc_lo, s6, v7
	s_wait_alu 0xfffd
	v_add_co_ci_u32_e64 v18, null, s7, v8, vcc_lo
	global_load_u16 v17, v[17:18], off offset:4
	s_wait_loadcnt 0x0
	v_lshlrev_b32_e32 v17, 16, v17
.LBB186_9:                              ;   in Loop: Header=BB186_3 Depth=1
	global_load_u16 v18, v[3:4], off offset:4
	global_load_u16 v19, v[5:6], off offset:4
	s_and_not1_b32 vcc_lo, exec_lo, s13
	s_wait_alu 0xfffe
	s_cbranch_vccnz .LBB186_2
; %bb.10:                               ;   in Loop: Header=BB186_3 Depth=1
	v_add_co_u32 v7, vcc_lo, s6, v7
	s_wait_alu 0xfffd
	v_add_co_ci_u32_e64 v8, null, s7, v8, vcc_lo
	global_load_u16 v7, v[7:8], off offset:6
	s_wait_loadcnt 0x0
	v_lshlrev_b32_e32 v14, 16, v7
	s_branch .LBB186_2
.LBB186_11:
	s_or_b32 exec_lo, exec_lo, s3
.LBB186_12:
	s_delay_alu instid0(SALU_CYCLE_1) | instskip(NEXT) | instid1(SALU_CYCLE_1)
	s_or_b32 exec_lo, exec_lo, s2
	s_mov_b32 s3, exec_lo
	v_cmpx_gt_u32_e64 s12, v1
	s_cbranch_execz .LBB186_19
; %bb.13:
	v_mov_b32_e32 v2, 0
	s_cmp_lg_u64 s[6:7], 0
	s_delay_alu instid0(VALU_DEP_1) | instskip(NEXT) | instid1(VALU_DEP_1)
	v_lshlrev_b64_e32 v[2:3], 1, v[1:2]
	v_add_co_u32 v6, vcc_lo, s16, v2
	s_wait_alu 0xfffd
	s_delay_alu instid0(VALU_DEP_2)
	v_add_co_ci_u32_e64 v7, null, s17, v3, vcc_lo
	v_add_co_u32 v2, vcc_lo, s6, v2
	s_wait_alu 0xfffd
	v_add_co_ci_u32_e64 v3, null, s7, v3, vcc_lo
	v_add_co_u32 v4, vcc_lo, s10, v6
	s_wait_alu 0xfffd
	;; [unrolled: 3-line block ×3, first 2 shown]
	v_add_co_ci_u32_e64 v7, null, s9, v7, vcc_lo
	s_cselect_b32 s8, -1, 0
	s_mov_b32 s9, 0
	s_branch .LBB186_16
.LBB186_14:                             ;   in Loop: Header=BB186_16 Depth=1
	global_load_u16 v8, v[2:3], off
	s_wait_loadcnt 0x0
	v_lshlrev_b32_e32 v8, 16, v8
.LBB186_15:                             ;   in Loop: Header=BB186_16 Depth=1
	global_load_u16 v10, v[6:7], off
	global_load_u16 v11, v[4:5], off
	v_add_co_u32 v2, vcc_lo, v2, 2
	s_wait_alu 0xfffd
	v_add_co_ci_u32_e64 v3, null, 0, v3, vcc_lo
	v_add_co_u32 v4, vcc_lo, v4, 2
	s_wait_alu 0xfffd
	v_add_co_ci_u32_e64 v5, null, 0, v5, vcc_lo
	v_add_co_u32 v6, s2, v6, 2
	s_wait_alu 0xf1ff
	v_add_co_ci_u32_e64 v7, null, 0, v7, s2
	s_wait_loadcnt 0x1
	v_lshlrev_b32_e32 v10, 16, v10
	v_add_nc_u32_e32 v1, 1, v1
	s_wait_loadcnt 0x0
	s_delay_alu instid0(VALU_DEP_2) | instskip(NEXT) | instid1(VALU_DEP_2)
	v_dual_mul_f32 v8, v8, v10 :: v_dual_lshlrev_b32 v11, 16, v11
	v_cmp_le_u32_e32 vcc_lo, s12, v1
	s_delay_alu instid0(VALU_DEP_2) | instskip(SKIP_2) | instid1(VALU_DEP_1)
	v_mul_f32_e32 v8, v8, v11
	s_or_b32 s9, vcc_lo, s9
	s_wait_kmcnt 0x0
	v_fmac_f32_e32 v9, s18, v8
	s_wait_alu 0xfffe
	s_and_not1_b32 exec_lo, exec_lo, s9
	s_cbranch_execz .LBB186_18
.LBB186_16:                             ; =>This Inner Loop Header: Depth=1
	s_wait_alu 0xfffe
	s_and_not1_b32 vcc_lo, exec_lo, s8
	s_wait_alu 0xfffe
	s_cbranch_vccz .LBB186_14
; %bb.17:                               ;   in Loop: Header=BB186_16 Depth=1
	v_mov_b32_e32 v8, 1.0
	s_branch .LBB186_15
.LBB186_18:
	s_or_b32 exec_lo, exec_lo, s9
.LBB186_19:
	s_delay_alu instid0(SALU_CYCLE_1) | instskip(SKIP_4) | instid1(VALU_DEP_1)
	s_or_b32 exec_lo, exec_lo, s3
	v_mbcnt_lo_u32_b32 v5, -1, 0
	s_mov_b32 s2, exec_lo
	s_barrier_signal -1
	s_barrier_wait -1
	v_lshl_or_b32 v1, v5, 2, 64
	v_cmp_gt_u32_e32 vcc_lo, 24, v5
	global_inv scope:SCOPE_SE
	ds_bpermute_b32 v3, v1, v9
	s_wait_alu 0xfffd
	v_cndmask_b32_e64 v2, 0, 8, vcc_lo
	v_cmp_gt_u32_e32 vcc_lo, 28, v5
	s_delay_alu instid0(VALU_DEP_2)
	v_add_lshl_u32 v2, v2, v5, 2
	s_wait_dscnt 0x0
	v_add_f32_e32 v4, v9, v3
	s_wait_alu 0xfffd
	v_cndmask_b32_e64 v3, 0, 4, vcc_lo
	v_cmp_gt_u32_e32 vcc_lo, 30, v5
	ds_bpermute_b32 v6, v2, v4
	v_add_lshl_u32 v3, v3, v5, 2
	s_wait_dscnt 0x0
	v_add_f32_e32 v6, v4, v6
	s_wait_alu 0xfffd
	v_cndmask_b32_e64 v4, 0, 2, vcc_lo
	v_cmp_ne_u32_e32 vcc_lo, 31, v5
	ds_bpermute_b32 v7, v3, v6
	v_add_lshl_u32 v4, v4, v5, 2
	s_wait_alu 0xfffd
	v_add_co_ci_u32_e64 v5, null, 0, v5, vcc_lo
	s_wait_dscnt 0x0
	s_delay_alu instid0(VALU_DEP_1)
	v_dual_add_f32 v6, v6, v7 :: v_dual_lshlrev_b32 v5, 2, v5
	ds_bpermute_b32 v7, v4, v6
	s_wait_dscnt 0x0
	v_dual_add_f32 v7, v6, v7 :: v_dual_and_b32 v6, 31, v0
	ds_bpermute_b32 v8, v5, v7
	v_cmpx_eq_u32_e32 0, v6
	s_cbranch_execz .LBB186_21
; %bb.20:
	v_lshrrev_b32_e32 v9, 3, v0
	s_wait_dscnt 0x0
	v_add_f32_e32 v7, v7, v8
	s_delay_alu instid0(VALU_DEP_2)
	v_add_nc_u32_e32 v9, 0, v9
	ds_store_b32 v9, v7
.LBB186_21:
	s_wait_alu 0xfffe
	s_or_b32 exec_lo, exec_lo, s2
	s_wait_loadcnt_dscnt 0x0
	s_barrier_signal -1
	s_barrier_wait -1
	global_inv scope:SCOPE_SE
	s_load_b32 s2, s[0:1], 0x44
	v_mov_b32_e32 v7, 0
	s_wait_kmcnt 0x0
	s_bfe_u32 s3, s2, 0xb0005
	s_wait_alu 0xfffe
	v_cmp_gt_u32_e32 vcc_lo, s3, v0
	s_and_saveexec_b32 s3, vcc_lo
; %bb.22:
	v_lshl_add_u32 v6, v6, 2, 0
	ds_load_b32 v7, v6
; %bb.23:
	s_wait_alu 0xfffe
	s_or_b32 exec_lo, exec_lo, s3
	s_delay_alu instid0(SALU_CYCLE_1)
	s_mov_b32 s3, exec_lo
	v_cmpx_gt_u32_e32 32, v0
	s_cbranch_execz .LBB186_25
; %bb.24:
	s_wait_dscnt 0x0
	ds_bpermute_b32 v1, v1, v7
	s_wait_dscnt 0x0
	v_add_f32_e32 v1, v7, v1
	ds_bpermute_b32 v2, v2, v1
	s_wait_dscnt 0x0
	v_add_f32_e32 v1, v1, v2
	;; [unrolled: 3-line block ×5, first 2 shown]
.LBB186_25:
	s_wait_alu 0xfffe
	s_or_b32 exec_lo, exec_lo, s3
	s_delay_alu instid0(SALU_CYCLE_1)
	s_mov_b32 s3, exec_lo
	v_cmpx_eq_u32_e32 0, v0
	s_cbranch_execz .LBB186_27
; %bb.26:
	v_mov_b32_e32 v1, 0
	s_wait_dscnt 0x0
	ds_store_b32 v1, v7 offset:4
.LBB186_27:
	s_wait_alu 0xfffe
	s_or_b32 exec_lo, exec_lo, s3
	s_wait_loadcnt_dscnt 0x0
	s_barrier_signal -1
	s_barrier_wait -1
	global_inv scope:SCOPE_SE
	s_mov_b32 s3, exec_lo
	v_cmpx_gt_i32_e64 s12, v0
	s_cbranch_execz .LBB186_33
; %bb.28:
	s_cvt_f32_i32 s8, s12
	s_load_b64 s[20:21], s[0:1], 0x28
	s_and_b32 s1, 0xffff, s2
	s_cmp_lg_u64 s[6:7], 0
	v_div_scale_f32 v1, null, s8, s8, 1.0
	v_div_scale_f32 v4, vcc_lo, 1.0, s8, 1.0
	s_cselect_b32 s9, -1, 0
	v_rcp_f32_e32 v2, v1
	v_xor_b32_e32 v1, 0x80000000, v1
	s_mov_b32 s10, 0
	s_delay_alu instid0(TRANS32_DEP_1) | instid1(VALU_DEP_1)
	v_fma_f32 v3, v1, v2, 1.0
	s_wait_kmcnt 0x0
	s_add_nc_u64 s[2:3], s[20:21], s[16:17]
	s_delay_alu instid0(VALU_DEP_1) | instskip(NEXT) | instid1(VALU_DEP_1)
	v_fmac_f32_e32 v2, v3, v2
	v_mul_f32_e32 v5, v4, v2
	s_delay_alu instid0(VALU_DEP_1) | instskip(NEXT) | instid1(VALU_DEP_1)
	v_fma_f32 v3, v1, v5, v4
	v_fmac_f32_e32 v5, v3, v2
	s_delay_alu instid0(VALU_DEP_1) | instskip(SKIP_3) | instid1(VALU_DEP_1)
	v_dual_mov_b32 v3, 0 :: v_dual_fmac_f32 v4, v1, v5
	ds_load_b32 v3, v3 offset:4
	s_wait_alu 0xfffd
	v_div_fmas_f32 v1, v4, v2, v5
	v_div_fixup_f32 v1, v1, s8, 1.0
	s_delay_alu instid0(VALU_DEP_1)
	v_mul_f32_e32 v4, s18, v1
	s_branch .LBB186_31
.LBB186_29:                             ;   in Loop: Header=BB186_31 Depth=1
	v_add_co_u32 v7, vcc_lo, s6, v1
	s_wait_alu 0xfffd
	v_add_co_ci_u32_e64 v8, null, s7, v2, vcc_lo
	global_load_u16 v7, v[7:8], off
	s_wait_loadcnt 0x0
	v_lshlrev_b32_e32 v7, 16, v7
.LBB186_30:                             ;   in Loop: Header=BB186_31 Depth=1
	s_wait_loadcnt 0x1
	v_lshlrev_b32_e32 v5, 16, v5
	s_delay_alu instid0(VALU_DEP_2) | instskip(SKIP_1) | instid1(VALU_DEP_2)
	v_dual_mul_f32 v7, s8, v7 :: v_dual_add_nc_u32 v0, s1, v0
	s_wait_loadcnt 0x0
	v_dual_mul_f32 v5, s18, v5 :: v_dual_lshlrev_b32 v6, 16, v6
	s_delay_alu instid0(VALU_DEP_2) | instskip(SKIP_1) | instid1(VALU_DEP_2)
	v_cmp_le_i32_e32 vcc_lo, s12, v0
	s_wait_dscnt 0x0
	v_mul_f32_e32 v5, v3, v5
	s_or_b32 s10, vcc_lo, s10
	s_delay_alu instid0(VALU_DEP_1) | instskip(NEXT) | instid1(VALU_DEP_1)
	v_fma_f32 v5, v7, v6, -v5
	v_mul_f32_e32 v5, v4, v5
	s_delay_alu instid0(VALU_DEP_1) | instskip(SKIP_1) | instid1(VALU_DEP_2)
	v_bfe_u32 v6, v5, 16, 1
	v_cmp_o_f32_e64 s0, v5, v5
	v_add3_u32 v6, v5, v6, 0x7fff
	s_delay_alu instid0(VALU_DEP_1) | instskip(SKIP_1) | instid1(VALU_DEP_1)
	v_lshrrev_b32_e32 v6, 16, v6
	s_wait_alu 0xf1ff
	v_cndmask_b32_e64 v5, 0x7fc0, v6, s0
	v_add_co_u32 v1, s0, s2, v1
	s_wait_alu 0xf1ff
	v_add_co_ci_u32_e64 v2, null, s3, v2, s0
	global_store_b16 v[1:2], v5, off
	s_wait_alu 0xfffe
	s_and_not1_b32 exec_lo, exec_lo, s10
	s_cbranch_execz .LBB186_33
.LBB186_31:                             ; =>This Inner Loop Header: Depth=1
	v_ashrrev_i32_e32 v1, 31, v0
	s_delay_alu instid0(VALU_DEP_1) | instskip(NEXT) | instid1(VALU_DEP_1)
	v_lshlrev_b64_e32 v[1:2], 1, v[0:1]
	v_add_co_u32 v5, vcc_lo, s4, v1
	s_wait_alu 0xfffd
	s_delay_alu instid0(VALU_DEP_2)
	v_add_co_ci_u32_e64 v6, null, s5, v2, vcc_lo
	v_add_co_u32 v7, vcc_lo, s14, v1
	s_wait_alu 0xfffd
	v_add_co_ci_u32_e64 v8, null, s15, v2, vcc_lo
	global_load_u16 v5, v[5:6], off
	global_load_u16 v6, v[7:8], off
	s_wait_alu 0xfffe
	s_and_not1_b32 vcc_lo, exec_lo, s9
	s_wait_alu 0xfffe
	s_cbranch_vccz .LBB186_29
; %bb.32:                               ;   in Loop: Header=BB186_31 Depth=1
	v_mov_b32_e32 v7, 1.0
	s_branch .LBB186_30
.LBB186_33:
	s_endpgm
	.section	.rodata,"a",@progbits
	.p2align	6, 0x0
	.amdhsa_kernel _ZN2at6native12_GLOBAL__N_128layer_norm_grad_input_kernelIN3c108BFloat16EfLb1EEEvPKT_S7_PKT0_SA_S7_PS5_i
		.amdhsa_group_segment_fixed_size 0
		.amdhsa_private_segment_fixed_size 0
		.amdhsa_kernarg_size 312
		.amdhsa_user_sgpr_count 2
		.amdhsa_user_sgpr_dispatch_ptr 0
		.amdhsa_user_sgpr_queue_ptr 0
		.amdhsa_user_sgpr_kernarg_segment_ptr 1
		.amdhsa_user_sgpr_dispatch_id 0
		.amdhsa_user_sgpr_private_segment_size 0
		.amdhsa_wavefront_size32 1
		.amdhsa_uses_dynamic_stack 0
		.amdhsa_enable_private_segment 0
		.amdhsa_system_sgpr_workgroup_id_x 1
		.amdhsa_system_sgpr_workgroup_id_y 0
		.amdhsa_system_sgpr_workgroup_id_z 0
		.amdhsa_system_sgpr_workgroup_info 0
		.amdhsa_system_vgpr_workitem_id 0
		.amdhsa_next_free_vgpr 20
		.amdhsa_next_free_sgpr 22
		.amdhsa_reserve_vcc 1
		.amdhsa_float_round_mode_32 0
		.amdhsa_float_round_mode_16_64 0
		.amdhsa_float_denorm_mode_32 3
		.amdhsa_float_denorm_mode_16_64 3
		.amdhsa_fp16_overflow 0
		.amdhsa_workgroup_processor_mode 1
		.amdhsa_memory_ordered 1
		.amdhsa_forward_progress 1
		.amdhsa_inst_pref_size 16
		.amdhsa_round_robin_scheduling 0
		.amdhsa_exception_fp_ieee_invalid_op 0
		.amdhsa_exception_fp_denorm_src 0
		.amdhsa_exception_fp_ieee_div_zero 0
		.amdhsa_exception_fp_ieee_overflow 0
		.amdhsa_exception_fp_ieee_underflow 0
		.amdhsa_exception_fp_ieee_inexact 0
		.amdhsa_exception_int_div_zero 0
	.end_amdhsa_kernel
	.section	.text._ZN2at6native12_GLOBAL__N_128layer_norm_grad_input_kernelIN3c108BFloat16EfLb1EEEvPKT_S7_PKT0_SA_S7_PS5_i,"axG",@progbits,_ZN2at6native12_GLOBAL__N_128layer_norm_grad_input_kernelIN3c108BFloat16EfLb1EEEvPKT_S7_PKT0_SA_S7_PS5_i,comdat
.Lfunc_end186:
	.size	_ZN2at6native12_GLOBAL__N_128layer_norm_grad_input_kernelIN3c108BFloat16EfLb1EEEvPKT_S7_PKT0_SA_S7_PS5_i, .Lfunc_end186-_ZN2at6native12_GLOBAL__N_128layer_norm_grad_input_kernelIN3c108BFloat16EfLb1EEEvPKT_S7_PKT0_SA_S7_PS5_i
                                        ; -- End function
	.set _ZN2at6native12_GLOBAL__N_128layer_norm_grad_input_kernelIN3c108BFloat16EfLb1EEEvPKT_S7_PKT0_SA_S7_PS5_i.num_vgpr, 20
	.set _ZN2at6native12_GLOBAL__N_128layer_norm_grad_input_kernelIN3c108BFloat16EfLb1EEEvPKT_S7_PKT0_SA_S7_PS5_i.num_agpr, 0
	.set _ZN2at6native12_GLOBAL__N_128layer_norm_grad_input_kernelIN3c108BFloat16EfLb1EEEvPKT_S7_PKT0_SA_S7_PS5_i.numbered_sgpr, 22
	.set _ZN2at6native12_GLOBAL__N_128layer_norm_grad_input_kernelIN3c108BFloat16EfLb1EEEvPKT_S7_PKT0_SA_S7_PS5_i.num_named_barrier, 0
	.set _ZN2at6native12_GLOBAL__N_128layer_norm_grad_input_kernelIN3c108BFloat16EfLb1EEEvPKT_S7_PKT0_SA_S7_PS5_i.private_seg_size, 0
	.set _ZN2at6native12_GLOBAL__N_128layer_norm_grad_input_kernelIN3c108BFloat16EfLb1EEEvPKT_S7_PKT0_SA_S7_PS5_i.uses_vcc, 1
	.set _ZN2at6native12_GLOBAL__N_128layer_norm_grad_input_kernelIN3c108BFloat16EfLb1EEEvPKT_S7_PKT0_SA_S7_PS5_i.uses_flat_scratch, 0
	.set _ZN2at6native12_GLOBAL__N_128layer_norm_grad_input_kernelIN3c108BFloat16EfLb1EEEvPKT_S7_PKT0_SA_S7_PS5_i.has_dyn_sized_stack, 0
	.set _ZN2at6native12_GLOBAL__N_128layer_norm_grad_input_kernelIN3c108BFloat16EfLb1EEEvPKT_S7_PKT0_SA_S7_PS5_i.has_recursion, 0
	.set _ZN2at6native12_GLOBAL__N_128layer_norm_grad_input_kernelIN3c108BFloat16EfLb1EEEvPKT_S7_PKT0_SA_S7_PS5_i.has_indirect_call, 0
	.section	.AMDGPU.csdata,"",@progbits
; Kernel info:
; codeLenInByte = 2024
; TotalNumSgprs: 24
; NumVgprs: 20
; ScratchSize: 0
; MemoryBound: 0
; FloatMode: 240
; IeeeMode: 1
; LDSByteSize: 0 bytes/workgroup (compile time only)
; SGPRBlocks: 0
; VGPRBlocks: 2
; NumSGPRsForWavesPerEU: 24
; NumVGPRsForWavesPerEU: 20
; Occupancy: 16
; WaveLimiterHint : 0
; COMPUTE_PGM_RSRC2:SCRATCH_EN: 0
; COMPUTE_PGM_RSRC2:USER_SGPR: 2
; COMPUTE_PGM_RSRC2:TRAP_HANDLER: 0
; COMPUTE_PGM_RSRC2:TGID_X_EN: 1
; COMPUTE_PGM_RSRC2:TGID_Y_EN: 0
; COMPUTE_PGM_RSRC2:TGID_Z_EN: 0
; COMPUTE_PGM_RSRC2:TIDIG_COMP_CNT: 0
	.section	.text._ZN2at6native12_GLOBAL__N_133GammaBetaBackwardSimpleCUDAKernelIN3c108BFloat16EfLb1EEEvllPKT_S7_PKT0_SA_PS5_SB_,"axG",@progbits,_ZN2at6native12_GLOBAL__N_133GammaBetaBackwardSimpleCUDAKernelIN3c108BFloat16EfLb1EEEvllPKT_S7_PKT0_SA_PS5_SB_,comdat
	.globl	_ZN2at6native12_GLOBAL__N_133GammaBetaBackwardSimpleCUDAKernelIN3c108BFloat16EfLb1EEEvllPKT_S7_PKT0_SA_PS5_SB_ ; -- Begin function _ZN2at6native12_GLOBAL__N_133GammaBetaBackwardSimpleCUDAKernelIN3c108BFloat16EfLb1EEEvllPKT_S7_PKT0_SA_PS5_SB_
	.p2align	8
	.type	_ZN2at6native12_GLOBAL__N_133GammaBetaBackwardSimpleCUDAKernelIN3c108BFloat16EfLb1EEEvllPKT_S7_PKT0_SA_PS5_SB_,@function
_ZN2at6native12_GLOBAL__N_133GammaBetaBackwardSimpleCUDAKernelIN3c108BFloat16EfLb1EEEvllPKT_S7_PKT0_SA_PS5_SB_: ; @_ZN2at6native12_GLOBAL__N_133GammaBetaBackwardSimpleCUDAKernelIN3c108BFloat16EfLb1EEEvllPKT_S7_PKT0_SA_PS5_SB_
; %bb.0:
	s_clause 0x1
	s_load_b32 s2, s[0:1], 0x4c
	s_load_b256 s[4:11], s[0:1], 0x0
	v_mov_b32_e32 v1, 0
	s_wait_kmcnt 0x0
	s_and_b32 s2, s2, 0xffff
	s_delay_alu instid0(VALU_DEP_1) | instid1(SALU_CYCLE_1)
	v_mad_co_u64_u32 v[2:3], null, s2, ttmp9, v[0:1]
	s_mov_b32 s2, exec_lo
	v_cmpx_gt_i64_e64 s[6:7], v[2:3]
	s_cbranch_execz .LBB187_8
; %bb.1:
	s_load_b128 s[0:3], s[0:1], 0x28
	v_cmp_lt_i64_e64 s12, s[4:5], 1
	v_lshlrev_b64_e32 v[2:3], 1, v[2:3]
	s_and_b32 vcc_lo, exec_lo, s12
	s_cbranch_vccnz .LBB187_6
; %bb.2:
	s_delay_alu instid0(VALU_DEP_1) | instskip(NEXT) | instid1(VALU_DEP_2)
	v_mov_b32_e32 v5, v3
	v_dual_mov_b32 v1, 0 :: v_dual_mov_b32 v4, v2
	s_wait_kmcnt 0x0
	s_cmp_lg_u64 s[2:3], 0
	s_cselect_b32 s12, -1, 0
	s_lshl_b64 s[6:7], s[6:7], 1
	s_branch .LBB187_4
.LBB187_3:                              ;   in Loop: Header=BB187_4 Depth=1
	v_add_co_u32 v4, vcc_lo, v4, s6
	s_delay_alu instid0(VALU_DEP_2)
	v_add_f32_e32 v1, v1, v0
	s_wait_alu 0xfffd
	v_add_co_ci_u32_e64 v5, null, s7, v5, vcc_lo
	s_add_nc_u64 s[4:5], s[4:5], -1
	s_add_nc_u64 s[0:1], s[0:1], 4
	s_wait_alu 0xfffe
	s_cmp_eq_u64 s[4:5], 0
	s_cbranch_scc1 .LBB187_6
.LBB187_4:                              ; =>This Inner Loop Header: Depth=1
	v_mov_b32_e32 v0, 0
	s_and_not1_b32 vcc_lo, exec_lo, s12
	s_wait_alu 0xfffe
	s_cbranch_vccnz .LBB187_3
; %bb.5:                                ;   in Loop: Header=BB187_4 Depth=1
	v_add_co_u32 v6, vcc_lo, s10, v4
	s_wait_alu 0xfffd
	v_add_co_ci_u32_e64 v7, null, s11, v5, vcc_lo
	v_add_co_u32 v8, vcc_lo, s8, v4
	s_wait_alu 0xfffd
	v_add_co_ci_u32_e64 v9, null, s9, v5, vcc_lo
	global_load_u16 v0, v[6:7], off
	global_load_u16 v6, v[8:9], off
	s_load_b32 s13, s[0:1], 0x0
	s_wait_loadcnt 0x1
	v_lshlrev_b32_e32 v0, 16, v0
	s_wait_loadcnt 0x0
	v_lshlrev_b32_e32 v6, 16, v6
	s_delay_alu instid0(VALU_DEP_1) | instskip(SKIP_1) | instid1(VALU_DEP_1)
	v_mul_f32_e32 v0, v6, v0
	s_wait_kmcnt 0x0
	v_mul_f32_e32 v0, s13, v0
	s_branch .LBB187_3
.LBB187_6:
	s_wait_kmcnt 0x0
	s_cmp_lg_u64 s[2:3], 0
	s_cbranch_scc0 .LBB187_8
; %bb.7:
	v_bfe_u32 v0, v1, 16, 1
	v_cmp_o_f32_e32 vcc_lo, v1, v1
	s_delay_alu instid0(VALU_DEP_2) | instskip(NEXT) | instid1(VALU_DEP_1)
	v_add3_u32 v0, v1, v0, 0x7fff
	v_lshrrev_b32_e32 v0, 16, v0
	s_wait_alu 0xfffd
	s_delay_alu instid0(VALU_DEP_1)
	v_cndmask_b32_e32 v4, 0x7fc0, v0, vcc_lo
	v_add_co_u32 v0, vcc_lo, s2, v2
	s_wait_alu 0xfffd
	v_add_co_ci_u32_e64 v1, null, s3, v3, vcc_lo
	global_store_b16 v[0:1], v4, off
.LBB187_8:
	s_endpgm
	.section	.rodata,"a",@progbits
	.p2align	6, 0x0
	.amdhsa_kernel _ZN2at6native12_GLOBAL__N_133GammaBetaBackwardSimpleCUDAKernelIN3c108BFloat16EfLb1EEEvllPKT_S7_PKT0_SA_PS5_SB_
		.amdhsa_group_segment_fixed_size 0
		.amdhsa_private_segment_fixed_size 0
		.amdhsa_kernarg_size 320
		.amdhsa_user_sgpr_count 2
		.amdhsa_user_sgpr_dispatch_ptr 0
		.amdhsa_user_sgpr_queue_ptr 0
		.amdhsa_user_sgpr_kernarg_segment_ptr 1
		.amdhsa_user_sgpr_dispatch_id 0
		.amdhsa_user_sgpr_private_segment_size 0
		.amdhsa_wavefront_size32 1
		.amdhsa_uses_dynamic_stack 0
		.amdhsa_enable_private_segment 0
		.amdhsa_system_sgpr_workgroup_id_x 1
		.amdhsa_system_sgpr_workgroup_id_y 0
		.amdhsa_system_sgpr_workgroup_id_z 0
		.amdhsa_system_sgpr_workgroup_info 0
		.amdhsa_system_vgpr_workitem_id 0
		.amdhsa_next_free_vgpr 10
		.amdhsa_next_free_sgpr 14
		.amdhsa_reserve_vcc 1
		.amdhsa_float_round_mode_32 0
		.amdhsa_float_round_mode_16_64 0
		.amdhsa_float_denorm_mode_32 3
		.amdhsa_float_denorm_mode_16_64 3
		.amdhsa_fp16_overflow 0
		.amdhsa_workgroup_processor_mode 1
		.amdhsa_memory_ordered 1
		.amdhsa_forward_progress 1
		.amdhsa_inst_pref_size 4
		.amdhsa_round_robin_scheduling 0
		.amdhsa_exception_fp_ieee_invalid_op 0
		.amdhsa_exception_fp_denorm_src 0
		.amdhsa_exception_fp_ieee_div_zero 0
		.amdhsa_exception_fp_ieee_overflow 0
		.amdhsa_exception_fp_ieee_underflow 0
		.amdhsa_exception_fp_ieee_inexact 0
		.amdhsa_exception_int_div_zero 0
	.end_amdhsa_kernel
	.section	.text._ZN2at6native12_GLOBAL__N_133GammaBetaBackwardSimpleCUDAKernelIN3c108BFloat16EfLb1EEEvllPKT_S7_PKT0_SA_PS5_SB_,"axG",@progbits,_ZN2at6native12_GLOBAL__N_133GammaBetaBackwardSimpleCUDAKernelIN3c108BFloat16EfLb1EEEvllPKT_S7_PKT0_SA_PS5_SB_,comdat
.Lfunc_end187:
	.size	_ZN2at6native12_GLOBAL__N_133GammaBetaBackwardSimpleCUDAKernelIN3c108BFloat16EfLb1EEEvllPKT_S7_PKT0_SA_PS5_SB_, .Lfunc_end187-_ZN2at6native12_GLOBAL__N_133GammaBetaBackwardSimpleCUDAKernelIN3c108BFloat16EfLb1EEEvllPKT_S7_PKT0_SA_PS5_SB_
                                        ; -- End function
	.set _ZN2at6native12_GLOBAL__N_133GammaBetaBackwardSimpleCUDAKernelIN3c108BFloat16EfLb1EEEvllPKT_S7_PKT0_SA_PS5_SB_.num_vgpr, 10
	.set _ZN2at6native12_GLOBAL__N_133GammaBetaBackwardSimpleCUDAKernelIN3c108BFloat16EfLb1EEEvllPKT_S7_PKT0_SA_PS5_SB_.num_agpr, 0
	.set _ZN2at6native12_GLOBAL__N_133GammaBetaBackwardSimpleCUDAKernelIN3c108BFloat16EfLb1EEEvllPKT_S7_PKT0_SA_PS5_SB_.numbered_sgpr, 14
	.set _ZN2at6native12_GLOBAL__N_133GammaBetaBackwardSimpleCUDAKernelIN3c108BFloat16EfLb1EEEvllPKT_S7_PKT0_SA_PS5_SB_.num_named_barrier, 0
	.set _ZN2at6native12_GLOBAL__N_133GammaBetaBackwardSimpleCUDAKernelIN3c108BFloat16EfLb1EEEvllPKT_S7_PKT0_SA_PS5_SB_.private_seg_size, 0
	.set _ZN2at6native12_GLOBAL__N_133GammaBetaBackwardSimpleCUDAKernelIN3c108BFloat16EfLb1EEEvllPKT_S7_PKT0_SA_PS5_SB_.uses_vcc, 1
	.set _ZN2at6native12_GLOBAL__N_133GammaBetaBackwardSimpleCUDAKernelIN3c108BFloat16EfLb1EEEvllPKT_S7_PKT0_SA_PS5_SB_.uses_flat_scratch, 0
	.set _ZN2at6native12_GLOBAL__N_133GammaBetaBackwardSimpleCUDAKernelIN3c108BFloat16EfLb1EEEvllPKT_S7_PKT0_SA_PS5_SB_.has_dyn_sized_stack, 0
	.set _ZN2at6native12_GLOBAL__N_133GammaBetaBackwardSimpleCUDAKernelIN3c108BFloat16EfLb1EEEvllPKT_S7_PKT0_SA_PS5_SB_.has_recursion, 0
	.set _ZN2at6native12_GLOBAL__N_133GammaBetaBackwardSimpleCUDAKernelIN3c108BFloat16EfLb1EEEvllPKT_S7_PKT0_SA_PS5_SB_.has_indirect_call, 0
	.section	.AMDGPU.csdata,"",@progbits
; Kernel info:
; codeLenInByte = 396
; TotalNumSgprs: 16
; NumVgprs: 10
; ScratchSize: 0
; MemoryBound: 0
; FloatMode: 240
; IeeeMode: 1
; LDSByteSize: 0 bytes/workgroup (compile time only)
; SGPRBlocks: 0
; VGPRBlocks: 1
; NumSGPRsForWavesPerEU: 16
; NumVGPRsForWavesPerEU: 10
; Occupancy: 16
; WaveLimiterHint : 0
; COMPUTE_PGM_RSRC2:SCRATCH_EN: 0
; COMPUTE_PGM_RSRC2:USER_SGPR: 2
; COMPUTE_PGM_RSRC2:TRAP_HANDLER: 0
; COMPUTE_PGM_RSRC2:TGID_X_EN: 1
; COMPUTE_PGM_RSRC2:TGID_Y_EN: 0
; COMPUTE_PGM_RSRC2:TGID_Z_EN: 0
; COMPUTE_PGM_RSRC2:TIDIG_COMP_CNT: 0
	.section	.text._ZN2at6native12_GLOBAL__N_135GammaBetaBackwardCUDAKernelTemplateIN3c108BFloat16EfLj64ELj1ELj32ELb1ELb1ELb1EEEvllPKT_S7_PKT0_SA_PS5_SB_,"axG",@progbits,_ZN2at6native12_GLOBAL__N_135GammaBetaBackwardCUDAKernelTemplateIN3c108BFloat16EfLj64ELj1ELj32ELb1ELb1ELb1EEEvllPKT_S7_PKT0_SA_PS5_SB_,comdat
	.globl	_ZN2at6native12_GLOBAL__N_135GammaBetaBackwardCUDAKernelTemplateIN3c108BFloat16EfLj64ELj1ELj32ELb1ELb1ELb1EEEvllPKT_S7_PKT0_SA_PS5_SB_ ; -- Begin function _ZN2at6native12_GLOBAL__N_135GammaBetaBackwardCUDAKernelTemplateIN3c108BFloat16EfLj64ELj1ELj32ELb1ELb1ELb1EEEvllPKT_S7_PKT0_SA_PS5_SB_
	.p2align	8
	.type	_ZN2at6native12_GLOBAL__N_135GammaBetaBackwardCUDAKernelTemplateIN3c108BFloat16EfLj64ELj1ELj32ELb1ELb1ELb1EEEvllPKT_S7_PKT0_SA_PS5_SB_,@function
_ZN2at6native12_GLOBAL__N_135GammaBetaBackwardCUDAKernelTemplateIN3c108BFloat16EfLj64ELj1ELj32ELb1ELb1ELb1EEEvllPKT_S7_PKT0_SA_PS5_SB_: ; @_ZN2at6native12_GLOBAL__N_135GammaBetaBackwardCUDAKernelTemplateIN3c108BFloat16EfLj64ELj1ELj32ELb1ELb1ELb1EEEvllPKT_S7_PKT0_SA_PS5_SB_
; %bb.0:
	s_clause 0x1
	s_load_b128 s[4:7], s[0:1], 0x0
	s_load_b64 s[2:3], s[0:1], 0x30
	s_lshl_b32 s12, ttmp7, 5
	s_mov_b32 s13, 0
	v_mov_b32_e32 v24, 0
	v_bfe_u32 v1, v0, 10, 10
	v_and_b32_e32 v0, 0x3ff, v0
	s_wait_kmcnt 0x0
	v_cmp_le_i64_e64 s8, s[4:5], s[12:13]
	s_and_b32 vcc_lo, exec_lo, s8
	s_cbranch_vccnz .LBB188_5
; %bb.1:
	s_clause 0x3
	s_load_b32 s14, s[0:1], 0x4c
	s_load_b32 s15, s[0:1], 0x44
	s_load_b128 s[8:11], s[0:1], 0x10
	s_load_b64 s[16:17], s[0:1], 0x28
	v_dual_mov_b32 v3, 0 :: v_dual_lshlrev_b32 v4, 5, v1
	v_lshl_or_b32 v2, ttmp9, 6, v0
	v_dual_mov_b32 v8, 4 :: v_dual_mov_b32 v9, 8
	v_dual_mov_b32 v10, 12 :: v_dual_mov_b32 v11, 16
	;; [unrolled: 1-line block ×7, first 2 shown]
	s_wait_kmcnt 0x0
	s_and_b32 s14, s14, 0xffff
	v_dual_mov_b32 v22, 60 :: v_dual_mov_b32 v23, 64
	v_mad_u32_u24 v5, v1, s14, v0
	v_add_co_u32 v39, s14, v4, s12
	s_wait_alu 0xf1ff
	v_add_co_ci_u32_e64 v40, null, 0, 0, s14
	s_delay_alu instid0(VALU_DEP_3) | instskip(NEXT) | instid1(VALU_DEP_3)
	v_dual_mov_b32 v25, 0x44 :: v_dual_and_b32 v24, 31, v5
	v_mul_lo_u32 v6, s7, v39
	s_delay_alu instid0(VALU_DEP_3)
	v_mul_lo_u32 v7, s6, v40
	v_mad_co_u64_u32 v[4:5], null, s6, v39, 0
	s_lshl_b32 s14, s15, 5
	s_mov_b32 s15, s13
	v_mov_b32_e32 v26, 0x48
	v_mov_b32_e32 v27, 0x4c
	;; [unrolled: 1-line block ×4, first 2 shown]
	v_add3_u32 v5, v5, v7, v6
	v_mov_b32_e32 v30, 0x58
	v_mov_b32_e32 v31, 0x5c
	;; [unrolled: 1-line block ×4, first 2 shown]
	v_lshlrev_b64_e32 v[6:7], 1, v[4:5]
	v_add_co_u32 v4, vcc_lo, v39, v24
	s_delay_alu instid0(VALU_DEP_1) | instskip(SKIP_3) | instid1(VALU_DEP_4)
	v_add_co_ci_u32_e64 v5, null, 0, v40, vcc_lo
	v_lshlrev_b64_e32 v[39:40], 1, v[2:3]
	v_mov_b32_e32 v34, 0x68
	v_mov_b32_e32 v35, 0x6c
	v_lshlrev_b64_e32 v[41:42], 2, v[4:5]
	v_mov_b32_e32 v36, 0x70
	v_mov_b32_e32 v37, 0x74
	v_add_co_u32 v39, vcc_lo, v6, v39
	s_wait_alu 0xfffd
	v_add_co_ci_u32_e64 v40, null, v7, v40, vcc_lo
	v_add_co_u32 v6, vcc_lo, s16, v41
	v_mov_b32_e32 v38, 0x78
	v_mov_b32_e32 v2, 0x7c
	s_wait_alu 0xfffd
	v_add_co_ci_u32_e64 v7, null, s17, v42, vcc_lo
	v_mov_b32_e32 v24, 0
	s_wait_alu 0xfffe
	s_mul_u64 s[18:19], s[6:7], s[14:15]
	s_lshl_b64 s[20:21], s[6:7], 1
	s_lshl_b64 s[16:17], s[18:19], 1
	;; [unrolled: 1-line block ×3, first 2 shown]
	s_branch .LBB188_3
.LBB188_2:                              ;   in Loop: Header=BB188_3 Depth=1
	s_or_b32 exec_lo, exec_lo, s22
	v_add_co_u32 v42, vcc_lo, s8, v39
	s_wait_alu 0xfffd
	v_add_co_ci_u32_e64 v43, null, s9, v40, vcc_lo
	v_add_co_u32 v44, vcc_lo, s10, v39
	s_wait_alu 0xfffd
	v_add_co_ci_u32_e64 v45, null, s11, v40, vcc_lo
	global_load_u16 v52, v[42:43], off
	global_load_u16 v53, v[44:45], off
	v_add_co_u32 v42, vcc_lo, v42, s20
	s_wait_alu 0xfffd
	v_add_co_ci_u32_e64 v43, null, s21, v43, vcc_lo
	v_add_co_u32 v44, vcc_lo, v44, s20
	s_wait_alu 0xfffd
	v_add_co_ci_u32_e64 v45, null, s21, v45, vcc_lo
	global_load_u16 v54, v[42:43], off
	global_load_u16 v55, v[44:45], off
	;; [unrolled: 8-line block ×4, first 2 shown]
	v_add_co_u32 v42, vcc_lo, v42, s20
	s_wait_alu 0xfffd
	v_add_co_ci_u32_e64 v43, null, s21, v43, vcc_lo
	v_add_co_u32 v44, vcc_lo, v44, s20
	s_wait_alu 0xfffd
	v_add_co_ci_u32_e64 v45, null, s21, v45, vcc_lo
	global_load_u16 v60, v[42:43], off
	v_add_co_u32 v42, vcc_lo, v42, s20
	s_wait_alu 0xfffd
	v_add_co_ci_u32_e64 v43, null, s21, v43, vcc_lo
	v_add_co_u32 v46, vcc_lo, v44, s20
	s_wait_alu 0xfffd
	v_add_co_ci_u32_e64 v47, null, s21, v45, vcc_lo
	v_add_co_u32 v48, vcc_lo, v42, s20
	s_wait_alu 0xfffd
	v_add_co_ci_u32_e64 v49, null, s21, v43, vcc_lo
	v_add_co_u32 v50, vcc_lo, v46, s20
	s_wait_alu 0xfffd
	v_add_co_ci_u32_e64 v51, null, s21, v47, vcc_lo
	global_load_u16 v61, v[44:45], off
	global_load_u16 v62, v[42:43], off
	global_load_u16 v63, v[46:47], off
	global_load_u16 v64, v[48:49], off
	global_load_u16 v65, v[50:51], off
	v_add_co_u32 v42, vcc_lo, v48, s20
	s_wait_alu 0xfffd
	v_add_co_ci_u32_e64 v43, null, s21, v49, vcc_lo
	v_add_co_u32 v44, vcc_lo, v50, s20
	s_wait_alu 0xfffd
	v_add_co_ci_u32_e64 v45, null, s21, v51, vcc_lo
	global_load_u16 v66, v[42:43], off
	v_add_co_u32 v42, vcc_lo, v42, s20
	s_wait_alu 0xfffd
	v_add_co_ci_u32_e64 v43, null, s21, v43, vcc_lo
	v_add_co_u32 v46, vcc_lo, v44, s20
	s_wait_alu 0xfffd
	v_add_co_ci_u32_e64 v47, null, s21, v45, vcc_lo
	v_add_co_u32 v48, vcc_lo, v42, s20
	s_wait_alu 0xfffd
	v_add_co_ci_u32_e64 v49, null, s21, v43, vcc_lo
	v_add_co_u32 v50, vcc_lo, v46, s20
	s_wait_alu 0xfffd
	v_add_co_ci_u32_e64 v51, null, s21, v47, vcc_lo
	global_load_u16 v67, v[44:45], off
	global_load_u16 v68, v[42:43], off
	global_load_u16 v69, v[46:47], off
	global_load_u16 v70, v[48:49], off
	global_load_u16 v71, v[50:51], off
	;; [unrolled: 24-line block ×6, first 2 shown]
	v_add_co_u32 v42, vcc_lo, v48, s20
	s_wait_alu 0xfffd
	v_add_co_ci_u32_e64 v43, null, s21, v49, vcc_lo
	v_add_co_u32 v44, vcc_lo, v50, s20
	s_wait_alu 0xfffd
	v_add_co_ci_u32_e64 v45, null, s21, v51, vcc_lo
	global_load_u16 v48, v[42:43], off
	v_add_co_u32 v42, vcc_lo, v42, s20
	global_load_u16 v49, v[44:45], off
	s_wait_alu 0xfffd
	v_add_co_ci_u32_e64 v43, null, s21, v43, vcc_lo
	v_add_co_u32 v46, vcc_lo, v44, s20
	s_wait_alu 0xfffd
	v_add_co_ci_u32_e64 v47, null, s21, v45, vcc_lo
	v_add_co_u32 v44, vcc_lo, v42, s20
	s_wait_alu 0xfffd
	v_add_co_ci_u32_e64 v45, null, s21, v43, vcc_lo
	global_load_u16 v51, v[46:47], off
	global_load_u16 v50, v[42:43], off
	s_add_nc_u64 s[12:13], s[12:13], s[14:15]
	s_wait_alu 0xfffe
	v_cmp_lt_i64_e64 s22, s[12:13], s[4:5]
	s_wait_loadcnt 0x2f
	v_lshlrev_b32_e32 v42, 16, v52
	s_wait_loadcnt 0x2e
	v_lshlrev_b32_e32 v43, 16, v53
	global_load_u16 v52, v[44:45], off
	v_mul_f32_e32 v42, v42, v43
	ds_bpermute_b32 v43, v3, v41
	s_wait_dscnt 0x0
	v_fmac_f32_e32 v24, v42, v43
	v_add_co_u32 v42, vcc_lo, v46, s20
	s_wait_alu 0xfffd
	v_add_co_ci_u32_e64 v43, null, s21, v47, vcc_lo
	v_add_co_u32 v46, vcc_lo, v44, s20
	s_wait_alu 0xfffd
	v_add_co_ci_u32_e64 v47, null, s21, v45, vcc_lo
	s_wait_loadcnt 0x2d
	v_lshlrev_b32_e32 v45, 16, v55
	global_load_u16 v53, v[42:43], off
	s_wait_loadcnt 0x4
	v_lshlrev_b32_e32 v49, 16, v49
	v_lshlrev_b32_e32 v44, 16, v54
	global_load_u16 v54, v[46:47], off
	v_mul_f32_e32 v44, v44, v45
	ds_bpermute_b32 v45, v8, v41
	s_wait_loadcnt_dscnt 0x400
	v_dual_fmac_f32 v24, v44, v45 :: v_dual_lshlrev_b32 v51, 16, v51
	v_add_co_u32 v44, vcc_lo, v42, s20
	s_wait_alu 0xfffd
	v_add_co_ci_u32_e64 v45, null, s21, v43, vcc_lo
	v_add_co_u32 v42, vcc_lo, v46, s20
	s_wait_alu 0xfffd
	v_add_co_ci_u32_e64 v43, null, s21, v47, vcc_lo
	v_lshlrev_b32_e32 v46, 16, v56
	v_lshlrev_b32_e32 v47, 16, v57
	global_load_u16 v55, v[44:45], off
	global_load_u16 v56, v[42:43], off
	v_mul_f32_e32 v46, v46, v47
	ds_bpermute_b32 v47, v9, v41
	s_wait_dscnt 0x0
	v_fmac_f32_e32 v24, v46, v47
	v_add_co_u32 v46, vcc_lo, v44, s20
	s_wait_alu 0xfffd
	v_add_co_ci_u32_e64 v47, null, s21, v45, vcc_lo
	v_add_co_u32 v44, vcc_lo, v42, s20
	s_wait_alu 0xfffd
	v_add_co_ci_u32_e64 v45, null, s21, v43, vcc_lo
	v_lshlrev_b32_e32 v42, 16, v58
	v_lshlrev_b32_e32 v43, 16, v59
	global_load_u16 v57, v[46:47], off
	global_load_u16 v58, v[44:45], off
	v_mul_f32_e32 v42, v42, v43
	ds_bpermute_b32 v43, v10, v41
	s_wait_dscnt 0x0
	v_fmac_f32_e32 v24, v42, v43
	;; [unrolled: 14-line block ×4, first 2 shown]
	v_add_co_u32 v46, vcc_lo, v44, s20
	s_wait_alu 0xfffd
	v_add_co_ci_u32_e64 v47, null, s21, v45, vcc_lo
	v_add_co_u32 v44, vcc_lo, v42, s20
	s_wait_alu 0xfffd
	v_add_co_ci_u32_e64 v45, null, s21, v43, vcc_lo
	v_lshlrev_b32_e32 v42, 16, v64
	v_lshlrev_b32_e32 v43, 16, v65
	global_load_u16 v63, v[46:47], off
	v_lshlrev_b32_e32 v65, 16, v69
	v_dual_mul_f32 v42, v42, v43 :: v_dual_lshlrev_b32 v69, 16, v72
	ds_bpermute_b32 v43, v13, v41
	s_wait_dscnt 0x0
	v_fmac_f32_e32 v24, v42, v43
	v_add_co_u32 v42, vcc_lo, v46, s20
	s_wait_alu 0xfffd
	v_add_co_ci_u32_e64 v43, null, s21, v47, vcc_lo
	s_delay_alu instid0(VALU_DEP_2) | instskip(SKIP_1) | instid1(VALU_DEP_2)
	v_add_co_u32 v46, vcc_lo, v42, s20
	s_wait_alu 0xfffd
	v_add_co_ci_u32_e64 v47, null, s21, v43, vcc_lo
	global_load_u16 v64, v[42:43], off
	v_add_co_u32 v42, vcc_lo, v44, s20
	s_wait_alu 0xfffd
	v_add_co_ci_u32_e64 v43, null, s21, v45, vcc_lo
	global_load_u16 v44, v[44:45], off
	global_load_u16 v45, v[46:47], off
	;; [unrolled: 1-line block ×3, first 2 shown]
	ds_bpermute_b32 v43, v14, v41
	v_lshlrev_b32_e32 v46, 16, v66
	v_lshlrev_b32_e32 v47, 16, v67
	ds_bpermute_b32 v66, v17, v41
	v_lshlrev_b32_e32 v67, 16, v70
	v_add_co_u32 v39, vcc_lo, v39, s16
	v_mul_f32_e32 v46, v46, v47
	ds_bpermute_b32 v47, v15, v41
	s_wait_alu 0xfffd
	v_add_co_ci_u32_e64 v40, null, s17, v40, vcc_lo
	v_add_co_u32 v6, vcc_lo, v6, s18
	s_wait_alu 0xfffd
	v_add_co_ci_u32_e64 v7, null, s19, v7, vcc_lo
	v_add_co_u32 v4, vcc_lo, v4, s14
	s_wait_alu 0xfffd
	v_add_co_ci_u32_e64 v5, null, 0, v5, vcc_lo
	s_and_b32 vcc_lo, exec_lo, s22
	s_wait_dscnt 0x2
	v_fmac_f32_e32 v24, v46, v43
	ds_bpermute_b32 v43, v16, v41
	v_lshlrev_b32_e32 v46, 16, v68
	ds_bpermute_b32 v68, v18, v41
	v_dual_mul_f32 v46, v46, v65 :: v_dual_lshlrev_b32 v65, 16, v71
	s_wait_dscnt 0x2
	s_delay_alu instid0(VALU_DEP_1) | instskip(NEXT) | instid1(VALU_DEP_2)
	v_fmac_f32_e32 v24, v46, v47
	v_mul_f32_e32 v46, v67, v65
	v_lshlrev_b32_e32 v47, 16, v73
	ds_bpermute_b32 v65, v19, v41
	s_wait_dscnt 0x2
	v_dual_fmac_f32 v24, v46, v43 :: v_dual_lshlrev_b32 v67, 16, v74
	v_mul_f32_e32 v43, v69, v47
	v_lshlrev_b32_e32 v46, 16, v75
	ds_bpermute_b32 v47, v20, v41
	v_dual_fmac_f32 v24, v43, v66 :: v_dual_lshlrev_b32 v69, 16, v76
	v_dual_mul_f32 v43, v67, v46 :: v_dual_lshlrev_b32 v46, 16, v77
	ds_bpermute_b32 v66, v21, v41
	s_wait_dscnt 0x3
	v_dual_fmac_f32 v24, v43, v68 :: v_dual_lshlrev_b32 v67, 16, v78
	v_dual_mul_f32 v43, v69, v46 :: v_dual_lshlrev_b32 v46, 16, v79
	ds_bpermute_b32 v68, v22, v41
	s_wait_dscnt 0x3
	;; [unrolled: 4-line block ×10, first 2 shown]
	v_fmac_f32_e32 v24, v43, v65
	v_dual_mul_f32 v43, v67, v46 :: v_dual_lshlrev_b32 v46, 16, v48
	ds_bpermute_b32 v48, v32, v41
	s_wait_dscnt 0x3
	v_dual_fmac_f32 v24, v43, v47 :: v_dual_mul_f32 v43, v46, v49
	s_wait_loadcnt 0x10
	v_lshlrev_b32_e32 v46, 16, v50
	ds_bpermute_b32 v47, v33, v41
	s_wait_loadcnt 0xe
	v_lshlrev_b32_e32 v49, 16, v53
	ds_bpermute_b32 v50, v34, v41
	s_wait_dscnt 0x4
	v_dual_fmac_f32 v24, v43, v66 :: v_dual_mul_f32 v43, v46, v51
	v_lshlrev_b32_e32 v46, 16, v52
	s_wait_dscnt 0x3
	s_delay_alu instid0(VALU_DEP_1)
	v_dual_fmac_f32 v24, v43, v68 :: v_dual_mul_f32 v43, v46, v49
	s_wait_loadcnt 0xd
	v_lshlrev_b32_e32 v46, 16, v54
	ds_bpermute_b32 v49, v35, v41
	s_wait_dscnt 0x3
	v_fmac_f32_e32 v24, v43, v48
	ds_bpermute_b32 v48, v36, v41
	s_wait_loadcnt 0xc
	v_lshlrev_b32_e32 v51, 16, v55
	s_wait_loadcnt 0xb
	s_delay_alu instid0(VALU_DEP_1)
	v_dual_mul_f32 v43, v46, v51 :: v_dual_lshlrev_b32 v46, 16, v56
	s_wait_loadcnt 0xa
	v_lshlrev_b32_e32 v52, 16, v57
	s_wait_loadcnt 0x8
	v_lshlrev_b32_e32 v51, 16, v59
	s_wait_dscnt 0x3
	s_delay_alu instid0(VALU_DEP_2)
	v_dual_fmac_f32 v24, v43, v47 :: v_dual_mul_f32 v43, v46, v52
	v_lshlrev_b32_e32 v46, 16, v58
	ds_bpermute_b32 v47, v37, v41
	s_wait_dscnt 0x3
	v_dual_fmac_f32 v24, v43, v50 :: v_dual_mul_f32 v43, v46, v51
	s_wait_loadcnt 0x7
	v_lshlrev_b32_e32 v46, 16, v60
	ds_bpermute_b32 v50, v38, v41
	ds_bpermute_b32 v41, v2, v41
	s_wait_loadcnt 0x6
	v_lshlrev_b32_e32 v52, 16, v61
	s_wait_loadcnt_dscnt 0x404
	v_dual_fmac_f32 v24, v43, v49 :: v_dual_lshlrev_b32 v51, 16, v63
	s_delay_alu instid0(VALU_DEP_2) | instskip(SKIP_1) | instid1(VALU_DEP_1)
	v_dual_mul_f32 v43, v46, v52 :: v_dual_lshlrev_b32 v46, 16, v62
	s_wait_dscnt 0x3
	v_dual_fmac_f32 v24, v43, v48 :: v_dual_mul_f32 v43, v46, v51
	s_wait_loadcnt_dscnt 0x302
	s_delay_alu instid0(VALU_DEP_1) | instskip(SKIP_3) | instid1(VALU_DEP_1)
	v_dual_fmac_f32 v24, v43, v47 :: v_dual_lshlrev_b32 v49, 16, v64
	s_wait_loadcnt 0x2
	v_lshlrev_b32_e32 v44, 16, v44
	s_wait_loadcnt 0x0
	v_dual_mul_f32 v43, v44, v49 :: v_dual_lshlrev_b32 v42, 16, v42
	s_wait_dscnt 0x1
	s_delay_alu instid0(VALU_DEP_1) | instskip(NEXT) | instid1(VALU_DEP_1)
	v_dual_fmac_f32 v24, v43, v50 :: v_dual_lshlrev_b32 v45, 16, v45
	v_mul_f32_e32 v42, v42, v45
	s_wait_dscnt 0x0
	s_delay_alu instid0(VALU_DEP_1)
	v_fmac_f32_e32 v24, v42, v41
	s_wait_alu 0xfffe
	s_cbranch_vccz .LBB188_5
.LBB188_3:                              ; =>This Inner Loop Header: Depth=1
	v_mov_b32_e32 v41, 0
	s_mov_b32 s22, exec_lo
	v_cmpx_gt_i64_e64 s[4:5], v[4:5]
	s_cbranch_execz .LBB188_2
; %bb.4:                                ;   in Loop: Header=BB188_3 Depth=1
	global_load_b32 v41, v[6:7], off
	s_branch .LBB188_2
.LBB188_5:
	s_cmp_eq_u64 s[2:3], 0
	s_cbranch_scc1 .LBB188_7
; %bb.6:
	s_load_u16 s0, s[0:1], 0x4e
	v_mov_b32_e32 v2, 0
	s_mov_b32 s4, ttmp9
	s_mov_b32 s5, 0
	v_lshlrev_b32_e32 v0, 1, v0
	s_wait_kmcnt 0x0
	v_mad_co_u64_u32 v[1:2], null, s0, ttmp7, v[1:2]
	s_wait_alu 0xfffe
	s_lshl_b64 s[0:1], s[4:5], 7
	s_delay_alu instid0(VALU_DEP_1) | instskip(NEXT) | instid1(VALU_DEP_2)
	v_mul_lo_u32 v3, v2, s6
	v_mul_lo_u32 v4, v1, s7
	v_mad_co_u64_u32 v[1:2], null, v1, s6, 0
	s_delay_alu instid0(VALU_DEP_1) | instskip(SKIP_1) | instid1(VALU_DEP_2)
	v_add3_u32 v2, v2, v4, v3
	v_bfe_u32 v3, v24, 16, 1
	v_lshlrev_b64_e32 v[1:2], 1, v[1:2]
	s_delay_alu instid0(VALU_DEP_2) | instskip(NEXT) | instid1(VALU_DEP_1)
	v_add3_u32 v3, v24, v3, 0x7fff
	v_lshrrev_b32_e32 v3, 16, v3
	s_delay_alu instid0(VALU_DEP_3) | instskip(SKIP_1) | instid1(VALU_DEP_4)
	v_add_co_u32 v1, vcc_lo, s2, v1
	s_wait_alu 0xfffd
	v_add_co_ci_u32_e64 v2, null, s3, v2, vcc_lo
	s_wait_alu 0xfffe
	s_delay_alu instid0(VALU_DEP_2) | instskip(SKIP_1) | instid1(VALU_DEP_2)
	v_add_co_u32 v1, vcc_lo, v1, s0
	s_wait_alu 0xfffd
	v_add_co_ci_u32_e64 v2, null, s1, v2, vcc_lo
	v_cmp_o_f32_e32 vcc_lo, v24, v24
	s_wait_alu 0xfffd
	v_cndmask_b32_e32 v3, 0x7fc0, v3, vcc_lo
	v_add_co_u32 v0, vcc_lo, v1, v0
	s_wait_alu 0xfffd
	v_add_co_ci_u32_e64 v1, null, 0, v2, vcc_lo
	global_store_b16 v[0:1], v3, off
.LBB188_7:
	s_endpgm
	.section	.rodata,"a",@progbits
	.p2align	6, 0x0
	.amdhsa_kernel _ZN2at6native12_GLOBAL__N_135GammaBetaBackwardCUDAKernelTemplateIN3c108BFloat16EfLj64ELj1ELj32ELb1ELb1ELb1EEEvllPKT_S7_PKT0_SA_PS5_SB_
		.amdhsa_group_segment_fixed_size 0
		.amdhsa_private_segment_fixed_size 0
		.amdhsa_kernarg_size 320
		.amdhsa_user_sgpr_count 2
		.amdhsa_user_sgpr_dispatch_ptr 0
		.amdhsa_user_sgpr_queue_ptr 0
		.amdhsa_user_sgpr_kernarg_segment_ptr 1
		.amdhsa_user_sgpr_dispatch_id 0
		.amdhsa_user_sgpr_private_segment_size 0
		.amdhsa_wavefront_size32 1
		.amdhsa_uses_dynamic_stack 0
		.amdhsa_enable_private_segment 0
		.amdhsa_system_sgpr_workgroup_id_x 1
		.amdhsa_system_sgpr_workgroup_id_y 1
		.amdhsa_system_sgpr_workgroup_id_z 0
		.amdhsa_system_sgpr_workgroup_info 0
		.amdhsa_system_vgpr_workitem_id 1
		.amdhsa_next_free_vgpr 96
		.amdhsa_next_free_sgpr 23
		.amdhsa_reserve_vcc 1
		.amdhsa_float_round_mode_32 0
		.amdhsa_float_round_mode_16_64 0
		.amdhsa_float_denorm_mode_32 3
		.amdhsa_float_denorm_mode_16_64 3
		.amdhsa_fp16_overflow 0
		.amdhsa_workgroup_processor_mode 1
		.amdhsa_memory_ordered 1
		.amdhsa_forward_progress 1
		.amdhsa_inst_pref_size 31
		.amdhsa_round_robin_scheduling 0
		.amdhsa_exception_fp_ieee_invalid_op 0
		.amdhsa_exception_fp_denorm_src 0
		.amdhsa_exception_fp_ieee_div_zero 0
		.amdhsa_exception_fp_ieee_overflow 0
		.amdhsa_exception_fp_ieee_underflow 0
		.amdhsa_exception_fp_ieee_inexact 0
		.amdhsa_exception_int_div_zero 0
	.end_amdhsa_kernel
	.section	.text._ZN2at6native12_GLOBAL__N_135GammaBetaBackwardCUDAKernelTemplateIN3c108BFloat16EfLj64ELj1ELj32ELb1ELb1ELb1EEEvllPKT_S7_PKT0_SA_PS5_SB_,"axG",@progbits,_ZN2at6native12_GLOBAL__N_135GammaBetaBackwardCUDAKernelTemplateIN3c108BFloat16EfLj64ELj1ELj32ELb1ELb1ELb1EEEvllPKT_S7_PKT0_SA_PS5_SB_,comdat
.Lfunc_end188:
	.size	_ZN2at6native12_GLOBAL__N_135GammaBetaBackwardCUDAKernelTemplateIN3c108BFloat16EfLj64ELj1ELj32ELb1ELb1ELb1EEEvllPKT_S7_PKT0_SA_PS5_SB_, .Lfunc_end188-_ZN2at6native12_GLOBAL__N_135GammaBetaBackwardCUDAKernelTemplateIN3c108BFloat16EfLj64ELj1ELj32ELb1ELb1ELb1EEEvllPKT_S7_PKT0_SA_PS5_SB_
                                        ; -- End function
	.set _ZN2at6native12_GLOBAL__N_135GammaBetaBackwardCUDAKernelTemplateIN3c108BFloat16EfLj64ELj1ELj32ELb1ELb1ELb1EEEvllPKT_S7_PKT0_SA_PS5_SB_.num_vgpr, 96
	.set _ZN2at6native12_GLOBAL__N_135GammaBetaBackwardCUDAKernelTemplateIN3c108BFloat16EfLj64ELj1ELj32ELb1ELb1ELb1EEEvllPKT_S7_PKT0_SA_PS5_SB_.num_agpr, 0
	.set _ZN2at6native12_GLOBAL__N_135GammaBetaBackwardCUDAKernelTemplateIN3c108BFloat16EfLj64ELj1ELj32ELb1ELb1ELb1EEEvllPKT_S7_PKT0_SA_PS5_SB_.numbered_sgpr, 23
	.set _ZN2at6native12_GLOBAL__N_135GammaBetaBackwardCUDAKernelTemplateIN3c108BFloat16EfLj64ELj1ELj32ELb1ELb1ELb1EEEvllPKT_S7_PKT0_SA_PS5_SB_.num_named_barrier, 0
	.set _ZN2at6native12_GLOBAL__N_135GammaBetaBackwardCUDAKernelTemplateIN3c108BFloat16EfLj64ELj1ELj32ELb1ELb1ELb1EEEvllPKT_S7_PKT0_SA_PS5_SB_.private_seg_size, 0
	.set _ZN2at6native12_GLOBAL__N_135GammaBetaBackwardCUDAKernelTemplateIN3c108BFloat16EfLj64ELj1ELj32ELb1ELb1ELb1EEEvllPKT_S7_PKT0_SA_PS5_SB_.uses_vcc, 1
	.set _ZN2at6native12_GLOBAL__N_135GammaBetaBackwardCUDAKernelTemplateIN3c108BFloat16EfLj64ELj1ELj32ELb1ELb1ELb1EEEvllPKT_S7_PKT0_SA_PS5_SB_.uses_flat_scratch, 0
	.set _ZN2at6native12_GLOBAL__N_135GammaBetaBackwardCUDAKernelTemplateIN3c108BFloat16EfLj64ELj1ELj32ELb1ELb1ELb1EEEvllPKT_S7_PKT0_SA_PS5_SB_.has_dyn_sized_stack, 0
	.set _ZN2at6native12_GLOBAL__N_135GammaBetaBackwardCUDAKernelTemplateIN3c108BFloat16EfLj64ELj1ELj32ELb1ELb1ELb1EEEvllPKT_S7_PKT0_SA_PS5_SB_.has_recursion, 0
	.set _ZN2at6native12_GLOBAL__N_135GammaBetaBackwardCUDAKernelTemplateIN3c108BFloat16EfLj64ELj1ELj32ELb1ELb1ELb1EEEvllPKT_S7_PKT0_SA_PS5_SB_.has_indirect_call, 0
	.section	.AMDGPU.csdata,"",@progbits
; Kernel info:
; codeLenInByte = 3888
; TotalNumSgprs: 25
; NumVgprs: 96
; ScratchSize: 0
; MemoryBound: 0
; FloatMode: 240
; IeeeMode: 1
; LDSByteSize: 0 bytes/workgroup (compile time only)
; SGPRBlocks: 0
; VGPRBlocks: 11
; NumSGPRsForWavesPerEU: 25
; NumVGPRsForWavesPerEU: 96
; Occupancy: 16
; WaveLimiterHint : 0
; COMPUTE_PGM_RSRC2:SCRATCH_EN: 0
; COMPUTE_PGM_RSRC2:USER_SGPR: 2
; COMPUTE_PGM_RSRC2:TRAP_HANDLER: 0
; COMPUTE_PGM_RSRC2:TGID_X_EN: 1
; COMPUTE_PGM_RSRC2:TGID_Y_EN: 1
; COMPUTE_PGM_RSRC2:TGID_Z_EN: 0
; COMPUTE_PGM_RSRC2:TIDIG_COMP_CNT: 1
	.section	.text._ZN2at6native12_GLOBAL__N_135GammaBetaBackwardCUDAKernelTemplateIN3c108BFloat16EfLj64ELj1ELj32ELb1ELb0ELb1EEEvllPKT_S7_PKT0_SA_PS5_SB_,"axG",@progbits,_ZN2at6native12_GLOBAL__N_135GammaBetaBackwardCUDAKernelTemplateIN3c108BFloat16EfLj64ELj1ELj32ELb1ELb0ELb1EEEvllPKT_S7_PKT0_SA_PS5_SB_,comdat
	.globl	_ZN2at6native12_GLOBAL__N_135GammaBetaBackwardCUDAKernelTemplateIN3c108BFloat16EfLj64ELj1ELj32ELb1ELb0ELb1EEEvllPKT_S7_PKT0_SA_PS5_SB_ ; -- Begin function _ZN2at6native12_GLOBAL__N_135GammaBetaBackwardCUDAKernelTemplateIN3c108BFloat16EfLj64ELj1ELj32ELb1ELb0ELb1EEEvllPKT_S7_PKT0_SA_PS5_SB_
	.p2align	8
	.type	_ZN2at6native12_GLOBAL__N_135GammaBetaBackwardCUDAKernelTemplateIN3c108BFloat16EfLj64ELj1ELj32ELb1ELb0ELb1EEEvllPKT_S7_PKT0_SA_PS5_SB_,@function
_ZN2at6native12_GLOBAL__N_135GammaBetaBackwardCUDAKernelTemplateIN3c108BFloat16EfLj64ELj1ELj32ELb1ELb0ELb1EEEvllPKT_S7_PKT0_SA_PS5_SB_: ; @_ZN2at6native12_GLOBAL__N_135GammaBetaBackwardCUDAKernelTemplateIN3c108BFloat16EfLj64ELj1ELj32ELb1ELb0ELb1EEEvllPKT_S7_PKT0_SA_PS5_SB_
; %bb.0:
	s_clause 0x1
	s_load_b256 s[4:11], s[0:1], 0x0
	s_load_b64 s[12:13], s[0:1], 0x28
	s_lshl_b32 s28, ttmp9, 6
	s_mov_b32 s15, 0
	s_or_b32 s14, s28, 63
	v_mov_b32_e32 v208, v0
	s_wait_kmcnt 0x0
	v_cmp_le_i64_e64 s2, s[6:7], s[14:15]
	s_lshl_b32 s14, ttmp7, 5
	s_wait_alu 0xfffe
	v_cmp_gt_i64_e64 s29, s[4:5], s[14:15]
	s_and_b32 vcc_lo, exec_lo, s2
	v_cndmask_b32_e64 v0, 0, 1, s29
	s_delay_alu instid0(VALU_DEP_1)
	v_cmp_ne_u32_e64 s2, 1, v0
	s_cbranch_vccz .LBB189_141
; %bb.1:
	v_mov_b32_e32 v202, 0
	s_and_b32 vcc_lo, exec_lo, s2
	s_cbranch_vccnz .LBB189_142
; %bb.2:
	v_bfe_u32 v38, v208, 10, 10
	v_dual_mov_b32 v1, 0 :: v_dual_and_b32 v40, 0x3ff, v208
	s_load_b32 s3, s[0:1], 0x44
	s_mov_b32 s17, 0
	s_delay_alu instid0(VALU_DEP_2) | instskip(NEXT) | instid1(VALU_DEP_2)
	v_lshlrev_b32_e32 v39, 5, v38
	v_dual_mov_b32 v7, v1 :: v_dual_add_nc_u32 v6, s28, v40
	s_mov_b32 s21, s17
	v_mov_b32_e32 v41, v1
	s_delay_alu instid0(VALU_DEP_3) | instskip(NEXT) | instid1(VALU_DEP_1)
	v_add_co_u32 v4, s2, v39, s14
	v_add_co_ci_u32_e64 v5, null, 0, 0, s2
	v_cmp_gt_i64_e64 s2, s[6:7], v[6:7]
	s_delay_alu instid0(VALU_DEP_3) | instskip(SKIP_1) | instid1(VALU_DEP_4)
	v_mul_lo_u32 v0, s7, v4
	v_mad_co_u64_u32 v[2:3], null, s6, v4, 0
	v_mul_lo_u32 v8, s6, v5
	v_lshlrev_b64_e32 v[34:35], 1, v[6:7]
	v_mov_b32_e32 v169, 0
	s_add_nc_u64 s[18:19], s[0:1], 64
	s_mov_b64 s[24:25], 31
	s_wait_kmcnt 0x0
	s_lshl_b32 s20, s3, 5
	s_mov_b64 s[26:27], s[14:15]
	s_mul_u64 s[22:23], s[6:7], s[20:21]
	v_add3_u32 v3, v3, v8, v0
	v_add_co_u32 v0, vcc_lo, v4, 31
	s_delay_alu instid0(VALU_DEP_1) | instskip(NEXT) | instid1(VALU_DEP_3)
	v_add_co_ci_u32_e64 v8, null, 0, v5, vcc_lo
	v_lshlrev_b64_e32 v[6:7], 1, v[2:3]
	s_delay_alu instid0(VALU_DEP_3) | instskip(SKIP_1) | instid1(VALU_DEP_3)
	v_mul_lo_u32 v12, s7, v0
	s_lshl_b64 s[22:23], s[22:23], 1
	v_mul_lo_u32 v13, s6, v8
	v_mad_co_u64_u32 v[8:9], null, s6, v0, 0
	v_add_co_u32 v0, vcc_lo, v4, 30
	s_wait_alu 0xfffd
	v_add_co_ci_u32_e64 v10, null, 0, v5, vcc_lo
	v_add_co_u32 v42, vcc_lo, s8, v6
	s_delay_alu instid0(VALU_DEP_3) | instskip(NEXT) | instid1(VALU_DEP_3)
	v_mul_lo_u32 v14, s7, v0
	v_mul_lo_u32 v15, s6, v10
	v_mad_co_u64_u32 v[10:11], null, s6, v0, 0
	s_wait_alu 0xfffd
	v_add_co_ci_u32_e64 v43, null, s9, v7, vcc_lo
	v_add_co_u32 v44, vcc_lo, s10, v6
	s_wait_alu 0xfffd
	v_add_co_ci_u32_e64 v45, null, s11, v7, vcc_lo
	v_add_co_u32 v0, vcc_lo, v4, 29
	v_add3_u32 v9, v9, v13, v12
	v_add3_u32 v11, v11, v15, v14
	s_wait_alu 0xfffd
	v_add_co_ci_u32_e64 v12, null, 0, v5, vcc_lo
	v_mul_lo_u32 v13, s7, v0
	v_lshlrev_b64_e32 v[6:7], 1, v[8:9]
	v_lshlrev_b64_e32 v[8:9], 1, v[10:11]
	s_delay_alu instid0(VALU_DEP_4) | instskip(SKIP_1) | instid1(VALU_DEP_4)
	v_mul_lo_u32 v12, s6, v12
	v_mad_co_u64_u32 v[10:11], null, s6, v0, 0
	v_add_co_u32 v46, vcc_lo, s8, v6
	s_wait_alu 0xfffd
	v_add_co_ci_u32_e64 v47, null, s9, v7, vcc_lo
	v_add_co_u32 v48, vcc_lo, s10, v6
	s_delay_alu instid0(VALU_DEP_4)
	v_add3_u32 v11, v11, v12, v13
	s_wait_alu 0xfffd
	v_add_co_ci_u32_e64 v49, null, s11, v7, vcc_lo
	v_add_co_u32 v50, vcc_lo, s8, v8
	s_wait_alu 0xfffd
	v_add_co_ci_u32_e64 v51, null, s9, v9, vcc_lo
	v_add_co_u32 v0, vcc_lo, v4, 28
	v_add_co_u32 v52, s3, s10, v8
	v_lshlrev_b64_e32 v[6:7], 1, v[10:11]
	s_wait_alu 0xfffd
	v_add_co_ci_u32_e64 v8, null, 0, v5, vcc_lo
	v_add_co_u32 v10, vcc_lo, v4, 27
	s_wait_alu 0xfffd
	v_add_co_ci_u32_e64 v11, null, 0, v5, vcc_lo
	s_wait_alu 0xf1ff
	v_add_co_ci_u32_e64 v53, null, s11, v9, s3
	v_mul_lo_u32 v12, s7, v0
	v_mul_lo_u32 v13, s6, v8
	v_mad_co_u64_u32 v[8:9], null, s6, v0, 0
	v_mul_lo_u32 v0, s7, v10
	v_mul_lo_u32 v14, s6, v11
	v_mad_co_u64_u32 v[10:11], null, s6, v10, 0
	v_add_co_u32 v54, vcc_lo, s8, v6
	s_wait_alu 0xfffd
	v_add_co_ci_u32_e64 v55, null, s9, v7, vcc_lo
	v_add_co_u32 v56, vcc_lo, s10, v6
	s_wait_alu 0xfffd
	v_add_co_ci_u32_e64 v57, null, s11, v7, vcc_lo
	v_add3_u32 v11, v11, v14, v0
	v_add_co_u32 v0, vcc_lo, v4, 26
	v_add3_u32 v9, v9, v13, v12
	s_wait_alu 0xfffd
	v_add_co_ci_u32_e64 v12, null, 0, v5, vcc_lo
	s_delay_alu instid0(VALU_DEP_3) | instskip(NEXT) | instid1(VALU_DEP_3)
	v_mul_lo_u32 v13, s7, v0
	v_lshlrev_b64_e32 v[6:7], 1, v[8:9]
	v_lshlrev_b64_e32 v[8:9], 1, v[10:11]
	s_delay_alu instid0(VALU_DEP_4) | instskip(SKIP_1) | instid1(VALU_DEP_4)
	v_mul_lo_u32 v12, s6, v12
	v_mad_co_u64_u32 v[10:11], null, s6, v0, 0
	v_add_co_u32 v58, vcc_lo, s8, v6
	s_wait_alu 0xfffd
	v_add_co_ci_u32_e64 v59, null, s9, v7, vcc_lo
	v_add_co_u32 v60, vcc_lo, s10, v6
	s_delay_alu instid0(VALU_DEP_4)
	v_add3_u32 v11, v11, v12, v13
	s_wait_alu 0xfffd
	v_add_co_ci_u32_e64 v61, null, s11, v7, vcc_lo
	v_add_co_u32 v62, vcc_lo, s8, v8
	s_wait_alu 0xfffd
	v_add_co_ci_u32_e64 v63, null, s9, v9, vcc_lo
	v_add_co_u32 v0, vcc_lo, v4, 25
	v_add_co_u32 v64, s3, s10, v8
	v_lshlrev_b64_e32 v[6:7], 1, v[10:11]
	s_wait_alu 0xfffd
	v_add_co_ci_u32_e64 v8, null, 0, v5, vcc_lo
	v_add_co_u32 v10, vcc_lo, v4, 24
	s_wait_alu 0xfffd
	v_add_co_ci_u32_e64 v11, null, 0, v5, vcc_lo
	s_wait_alu 0xf1ff
	v_add_co_ci_u32_e64 v65, null, s11, v9, s3
	v_mul_lo_u32 v12, s7, v0
	v_mul_lo_u32 v13, s6, v8
	v_mad_co_u64_u32 v[8:9], null, s6, v0, 0
	v_mul_lo_u32 v0, s7, v10
	v_mul_lo_u32 v14, s6, v11
	v_mad_co_u64_u32 v[10:11], null, s6, v10, 0
	v_add_co_u32 v66, vcc_lo, s8, v6
	s_wait_alu 0xfffd
	v_add_co_ci_u32_e64 v67, null, s9, v7, vcc_lo
	v_add_co_u32 v68, vcc_lo, s10, v6
	s_wait_alu 0xfffd
	v_add_co_ci_u32_e64 v69, null, s11, v7, vcc_lo
	v_add3_u32 v11, v11, v14, v0
	v_add_co_u32 v0, vcc_lo, v4, 23
	v_add3_u32 v9, v9, v13, v12
	s_wait_alu 0xfffd
	v_add_co_ci_u32_e64 v12, null, 0, v5, vcc_lo
	s_delay_alu instid0(VALU_DEP_3) | instskip(NEXT) | instid1(VALU_DEP_3)
	v_mul_lo_u32 v13, s7, v0
	v_lshlrev_b64_e32 v[6:7], 1, v[8:9]
	v_lshlrev_b64_e32 v[8:9], 1, v[10:11]
	s_delay_alu instid0(VALU_DEP_4) | instskip(SKIP_1) | instid1(VALU_DEP_4)
	v_mul_lo_u32 v12, s6, v12
	v_mad_co_u64_u32 v[10:11], null, s6, v0, 0
	v_add_co_u32 v70, vcc_lo, s8, v6
	s_wait_alu 0xfffd
	v_add_co_ci_u32_e64 v71, null, s9, v7, vcc_lo
	v_add_co_u32 v72, vcc_lo, s10, v6
	s_delay_alu instid0(VALU_DEP_4)
	v_add3_u32 v11, v11, v12, v13
	s_wait_alu 0xfffd
	v_add_co_ci_u32_e64 v73, null, s11, v7, vcc_lo
	v_add_co_u32 v74, vcc_lo, s8, v8
	s_wait_alu 0xfffd
	v_add_co_ci_u32_e64 v75, null, s9, v9, vcc_lo
	v_add_co_u32 v0, vcc_lo, v4, 22
	v_add_co_u32 v76, s3, s10, v8
	v_lshlrev_b64_e32 v[6:7], 1, v[10:11]
	s_wait_alu 0xfffd
	v_add_co_ci_u32_e64 v8, null, 0, v5, vcc_lo
	v_add_co_u32 v10, vcc_lo, v4, 21
	s_wait_alu 0xfffd
	v_add_co_ci_u32_e64 v11, null, 0, v5, vcc_lo
	s_wait_alu 0xf1ff
	v_add_co_ci_u32_e64 v77, null, s11, v9, s3
	v_mul_lo_u32 v12, s7, v0
	v_mul_lo_u32 v13, s6, v8
	v_mad_co_u64_u32 v[8:9], null, s6, v0, 0
	v_mul_lo_u32 v0, s7, v10
	v_mul_lo_u32 v14, s6, v11
	v_mad_co_u64_u32 v[10:11], null, s6, v10, 0
	v_add_co_u32 v78, vcc_lo, s8, v6
	s_wait_alu 0xfffd
	v_add_co_ci_u32_e64 v79, null, s9, v7, vcc_lo
	v_add_co_u32 v80, vcc_lo, s10, v6
	s_wait_alu 0xfffd
	v_add_co_ci_u32_e64 v81, null, s11, v7, vcc_lo
	v_add3_u32 v11, v11, v14, v0
	v_add_co_u32 v0, vcc_lo, v4, 20
	v_add3_u32 v9, v9, v13, v12
	s_wait_alu 0xfffd
	v_add_co_ci_u32_e64 v12, null, 0, v5, vcc_lo
	s_delay_alu instid0(VALU_DEP_3) | instskip(NEXT) | instid1(VALU_DEP_3)
	v_mul_lo_u32 v13, s7, v0
	v_lshlrev_b64_e32 v[6:7], 1, v[8:9]
	v_lshlrev_b64_e32 v[8:9], 1, v[10:11]
	s_delay_alu instid0(VALU_DEP_4) | instskip(SKIP_1) | instid1(VALU_DEP_4)
	v_mul_lo_u32 v12, s6, v12
	v_mad_co_u64_u32 v[10:11], null, s6, v0, 0
	v_add_co_u32 v82, vcc_lo, s8, v6
	s_wait_alu 0xfffd
	v_add_co_ci_u32_e64 v83, null, s9, v7, vcc_lo
	v_add_co_u32 v84, vcc_lo, s10, v6
	s_delay_alu instid0(VALU_DEP_4)
	v_add3_u32 v11, v11, v12, v13
	s_wait_alu 0xfffd
	v_add_co_ci_u32_e64 v85, null, s11, v7, vcc_lo
	v_add_co_u32 v86, vcc_lo, s8, v8
	s_wait_alu 0xfffd
	v_add_co_ci_u32_e64 v87, null, s9, v9, vcc_lo
	v_add_co_u32 v0, vcc_lo, v4, 19
	v_add_co_u32 v88, s3, s10, v8
	v_lshlrev_b64_e32 v[6:7], 1, v[10:11]
	s_wait_alu 0xfffd
	v_add_co_ci_u32_e64 v8, null, 0, v5, vcc_lo
	v_add_co_u32 v10, vcc_lo, v4, 18
	s_wait_alu 0xfffd
	v_add_co_ci_u32_e64 v11, null, 0, v5, vcc_lo
	s_wait_alu 0xf1ff
	v_add_co_ci_u32_e64 v89, null, s11, v9, s3
	v_mul_lo_u32 v12, s7, v0
	v_mul_lo_u32 v13, s6, v8
	v_mad_co_u64_u32 v[8:9], null, s6, v0, 0
	v_mul_lo_u32 v0, s7, v10
	v_mul_lo_u32 v14, s6, v11
	v_mad_co_u64_u32 v[10:11], null, s6, v10, 0
	v_add_co_u32 v90, vcc_lo, s8, v6
	s_wait_alu 0xfffd
	v_add_co_ci_u32_e64 v91, null, s9, v7, vcc_lo
	v_add_co_u32 v92, vcc_lo, s10, v6
	v_add3_u32 v9, v9, v13, v12
	s_wait_alu 0xfffd
	v_add_co_ci_u32_e64 v93, null, s11, v7, vcc_lo
	v_add_co_u32 v12, vcc_lo, v4, 17
	v_add3_u32 v11, v11, v14, v0
	s_wait_alu 0xfffd
	v_add_co_ci_u32_e64 v13, null, 0, v5, vcc_lo
	v_lshlrev_b64_e32 v[6:7], 1, v[8:9]
	v_mul_lo_u32 v14, s7, v12
	v_lshlrev_b64_e32 v[8:9], 1, v[10:11]
	s_delay_alu instid0(VALU_DEP_4)
	v_mul_lo_u32 v13, s6, v13
	v_mad_co_u64_u32 v[10:11], null, s6, v12, 0
	v_add_co_u32 v0, vcc_lo, s8, v6
	s_wait_alu 0xfffd
	v_add_co_ci_u32_e64 v94, null, s9, v7, vcc_lo
	v_add_co_u32 v95, vcc_lo, s10, v6
	s_delay_alu instid0(VALU_DEP_4)
	v_add3_u32 v11, v11, v13, v14
	s_wait_alu 0xfffd
	v_add_co_ci_u32_e64 v96, null, s11, v7, vcc_lo
	v_add_co_u32 v97, vcc_lo, s8, v8
	s_wait_alu 0xfffd
	v_add_co_ci_u32_e64 v98, null, s9, v9, vcc_lo
	v_add_co_u32 v12, vcc_lo, v4, 16
	v_add_co_u32 v99, s3, s10, v8
	v_lshlrev_b64_e32 v[6:7], 1, v[10:11]
	s_wait_alu 0xfffd
	v_add_co_ci_u32_e64 v8, null, 0, v5, vcc_lo
	v_add_co_u32 v10, vcc_lo, v4, 15
	s_wait_alu 0xfffd
	v_add_co_ci_u32_e64 v11, null, 0, v5, vcc_lo
	s_wait_alu 0xf1ff
	v_add_co_ci_u32_e64 v100, null, s11, v9, s3
	v_mul_lo_u32 v13, s7, v12
	v_mul_lo_u32 v14, s6, v8
	v_mad_co_u64_u32 v[8:9], null, s6, v12, 0
	v_mul_lo_u32 v12, s7, v10
	v_mul_lo_u32 v15, s6, v11
	v_mad_co_u64_u32 v[10:11], null, s6, v10, 0
	v_add_co_u32 v101, vcc_lo, s8, v6
	s_wait_alu 0xfffd
	v_add_co_ci_u32_e64 v102, null, s9, v7, vcc_lo
	v_add_co_u32 v103, vcc_lo, s10, v6
	s_wait_alu 0xfffd
	v_add_co_ci_u32_e64 v104, null, s11, v7, vcc_lo
	v_add3_u32 v11, v11, v15, v12
	v_add_co_u32 v12, vcc_lo, v4, 14
	v_add3_u32 v9, v9, v14, v13
	s_wait_alu 0xfffd
	v_add_co_ci_u32_e64 v13, null, 0, v5, vcc_lo
	s_delay_alu instid0(VALU_DEP_3) | instskip(NEXT) | instid1(VALU_DEP_3)
	v_mul_lo_u32 v14, s7, v12
	v_lshlrev_b64_e32 v[6:7], 1, v[8:9]
	v_lshlrev_b64_e32 v[8:9], 1, v[10:11]
	s_delay_alu instid0(VALU_DEP_4) | instskip(SKIP_1) | instid1(VALU_DEP_4)
	v_mul_lo_u32 v13, s6, v13
	v_mad_co_u64_u32 v[10:11], null, s6, v12, 0
	v_add_co_u32 v105, vcc_lo, s8, v6
	s_wait_alu 0xfffd
	v_add_co_ci_u32_e64 v106, null, s9, v7, vcc_lo
	v_add_co_u32 v107, vcc_lo, s10, v6
	s_delay_alu instid0(VALU_DEP_4)
	v_add3_u32 v11, v11, v13, v14
	s_wait_alu 0xfffd
	v_add_co_ci_u32_e64 v108, null, s11, v7, vcc_lo
	v_add_co_u32 v109, vcc_lo, s8, v8
	s_wait_alu 0xfffd
	v_add_co_ci_u32_e64 v110, null, s9, v9, vcc_lo
	v_add_co_u32 v12, vcc_lo, v4, 13
	v_add_co_u32 v111, s3, s10, v8
	v_lshlrev_b64_e32 v[6:7], 1, v[10:11]
	s_wait_alu 0xfffd
	v_add_co_ci_u32_e64 v8, null, 0, v5, vcc_lo
	v_add_co_u32 v10, vcc_lo, v4, 12
	s_wait_alu 0xfffd
	v_add_co_ci_u32_e64 v11, null, 0, v5, vcc_lo
	s_wait_alu 0xf1ff
	v_add_co_ci_u32_e64 v112, null, s11, v9, s3
	v_mul_lo_u32 v13, s7, v12
	v_mul_lo_u32 v14, s6, v8
	v_mad_co_u64_u32 v[8:9], null, s6, v12, 0
	v_mul_lo_u32 v12, s7, v10
	v_mul_lo_u32 v15, s6, v11
	v_mad_co_u64_u32 v[10:11], null, s6, v10, 0
	v_add_co_u32 v113, vcc_lo, s8, v6
	s_wait_alu 0xfffd
	v_add_co_ci_u32_e64 v114, null, s9, v7, vcc_lo
	v_add_co_u32 v115, vcc_lo, s10, v6
	s_wait_alu 0xfffd
	v_add_co_ci_u32_e64 v116, null, s11, v7, vcc_lo
	v_add3_u32 v11, v11, v15, v12
	v_add_co_u32 v12, vcc_lo, v4, 11
	v_add3_u32 v9, v9, v14, v13
	s_wait_alu 0xfffd
	v_add_co_ci_u32_e64 v13, null, 0, v5, vcc_lo
	s_delay_alu instid0(VALU_DEP_3) | instskip(NEXT) | instid1(VALU_DEP_3)
	v_mul_lo_u32 v14, s7, v12
	v_lshlrev_b64_e32 v[6:7], 1, v[8:9]
	v_lshlrev_b64_e32 v[8:9], 1, v[10:11]
	s_delay_alu instid0(VALU_DEP_4) | instskip(SKIP_1) | instid1(VALU_DEP_4)
	v_mul_lo_u32 v13, s6, v13
	v_mad_co_u64_u32 v[10:11], null, s6, v12, 0
	v_add_co_u32 v117, vcc_lo, s8, v6
	s_wait_alu 0xfffd
	v_add_co_ci_u32_e64 v118, null, s9, v7, vcc_lo
	v_add_co_u32 v119, vcc_lo, s10, v6
	s_delay_alu instid0(VALU_DEP_4)
	v_add3_u32 v11, v11, v13, v14
	s_wait_alu 0xfffd
	v_add_co_ci_u32_e64 v120, null, s11, v7, vcc_lo
	v_add_co_u32 v121, vcc_lo, s8, v8
	s_wait_alu 0xfffd
	v_add_co_ci_u32_e64 v122, null, s9, v9, vcc_lo
	v_add_co_u32 v12, vcc_lo, v4, 10
	v_add_co_u32 v123, s3, s10, v8
	v_lshlrev_b64_e32 v[6:7], 1, v[10:11]
	s_wait_alu 0xfffd
	v_add_co_ci_u32_e64 v8, null, 0, v5, vcc_lo
	v_add_co_u32 v10, vcc_lo, v4, 9
	s_wait_alu 0xfffd
	v_add_co_ci_u32_e64 v11, null, 0, v5, vcc_lo
	s_wait_alu 0xf1ff
	v_add_co_ci_u32_e64 v124, null, s11, v9, s3
	v_mul_lo_u32 v13, s7, v12
	v_mul_lo_u32 v14, s6, v8
	v_mad_co_u64_u32 v[8:9], null, s6, v12, 0
	v_mul_lo_u32 v12, s7, v10
	v_mul_lo_u32 v15, s6, v11
	v_mad_co_u64_u32 v[10:11], null, s6, v10, 0
	v_add_co_u32 v125, vcc_lo, s8, v6
	s_wait_alu 0xfffd
	v_add_co_ci_u32_e64 v126, null, s9, v7, vcc_lo
	v_add_co_u32 v127, vcc_lo, s10, v6
	v_add3_u32 v9, v9, v14, v13
	s_wait_alu 0xfffd
	v_add_co_ci_u32_e64 v128, null, s11, v7, vcc_lo
	v_add3_u32 v11, v11, v15, v12
	v_add_co_u32 v12, vcc_lo, v4, 8
	s_wait_alu 0xfffd
	v_add_co_ci_u32_e64 v13, null, 0, v5, vcc_lo
	v_lshlrev_b64_e32 v[6:7], 1, v[8:9]
	v_lshlrev_b64_e32 v[8:9], 1, v[10:11]
	v_mul_lo_u32 v14, s7, v12
	s_delay_alu instid0(VALU_DEP_4)
	v_mul_lo_u32 v13, s6, v13
	v_mad_co_u64_u32 v[10:11], null, s6, v12, 0
	v_add_co_u32 v129, vcc_lo, s8, v6
	s_wait_alu 0xfffd
	v_add_co_ci_u32_e64 v130, null, s9, v7, vcc_lo
	v_add_co_u32 v131, vcc_lo, s10, v6
	s_wait_alu 0xfffd
	v_add_co_ci_u32_e64 v132, null, s11, v7, vcc_lo
	v_add_co_u32 v133, vcc_lo, s8, v8
	v_add3_u32 v11, v11, v13, v14
	s_wait_alu 0xfffd
	v_add_co_ci_u32_e64 v134, null, s9, v9, vcc_lo
	v_add_co_u32 v12, vcc_lo, v4, 7
	v_add_co_u32 v135, s3, s10, v8
	s_wait_alu 0xfffd
	v_add_co_ci_u32_e64 v8, null, 0, v5, vcc_lo
	v_lshlrev_b64_e32 v[6:7], 1, v[10:11]
	v_add_co_u32 v10, vcc_lo, v4, 6
	s_wait_alu 0xfffd
	v_add_co_ci_u32_e64 v11, null, 0, v5, vcc_lo
	s_wait_alu 0xf1ff
	v_add_co_ci_u32_e64 v136, null, s11, v9, s3
	v_mul_lo_u32 v13, s7, v12
	v_mul_lo_u32 v14, s6, v8
	v_mad_co_u64_u32 v[8:9], null, s6, v12, 0
	v_mul_lo_u32 v12, s7, v10
	v_mul_lo_u32 v15, s6, v11
	v_mad_co_u64_u32 v[10:11], null, s6, v10, 0
	v_add_co_u32 v137, vcc_lo, s8, v6
	v_add3_u32 v9, v9, v14, v13
	s_wait_alu 0xfffd
	v_add_co_ci_u32_e64 v138, null, s9, v7, vcc_lo
	v_add_co_u32 v139, vcc_lo, s10, v6
	s_wait_alu 0xfffd
	v_add_co_ci_u32_e64 v140, null, s11, v7, vcc_lo
	v_add3_u32 v11, v11, v15, v12
	v_add_co_u32 v12, vcc_lo, v4, 5
	v_lshlrev_b64_e32 v[6:7], 1, v[8:9]
	s_wait_alu 0xfffd
	v_add_co_ci_u32_e64 v13, null, 0, v5, vcc_lo
	v_lshlrev_b64_e32 v[8:9], 1, v[10:11]
	v_mul_lo_u32 v14, s7, v12
	v_mad_co_u64_u32 v[10:11], null, s6, v12, 0
	v_add_co_u32 v141, vcc_lo, s8, v6
	v_mul_lo_u32 v13, s6, v13
	s_wait_alu 0xfffd
	v_add_co_ci_u32_e64 v142, null, s9, v7, vcc_lo
	v_add_co_u32 v143, vcc_lo, s10, v6
	s_wait_alu 0xfffd
	v_add_co_ci_u32_e64 v144, null, s11, v7, vcc_lo
	v_add_co_u32 v145, vcc_lo, s8, v8
	s_wait_alu 0xfffd
	v_add_co_ci_u32_e64 v146, null, s9, v9, vcc_lo
	v_add_co_u32 v12, vcc_lo, v4, 4
	v_add3_u32 v11, v11, v13, v14
	v_add_co_u32 v147, s3, s10, v8
	s_wait_alu 0xfffd
	v_add_co_ci_u32_e64 v8, null, 0, v5, vcc_lo
	s_wait_alu 0xf1ff
	v_add_co_ci_u32_e64 v148, null, s11, v9, s3
	v_lshlrev_b64_e32 v[6:7], 1, v[10:11]
	v_mul_lo_u32 v13, s7, v12
	v_add_co_u32 v10, vcc_lo, v4, 3
	v_mul_lo_u32 v14, s6, v8
	v_mad_co_u64_u32 v[8:9], null, s6, v12, 0
	s_wait_alu 0xfffd
	v_add_co_ci_u32_e64 v11, null, 0, v5, vcc_lo
	v_mul_lo_u32 v12, s7, v10
	v_add_co_u32 v149, vcc_lo, s8, v6
	s_delay_alu instid0(VALU_DEP_3)
	v_mul_lo_u32 v15, s6, v11
	v_mad_co_u64_u32 v[10:11], null, s6, v10, 0
	v_add3_u32 v9, v9, v14, v13
	s_wait_alu 0xfffd
	v_add_co_ci_u32_e64 v150, null, s9, v7, vcc_lo
	v_add_co_u32 v151, vcc_lo, s10, v6
	s_wait_alu 0xfffd
	v_add_co_ci_u32_e64 v152, null, s11, v7, vcc_lo
	v_lshlrev_b64_e32 v[6:7], 1, v[8:9]
	v_add_co_u32 v8, vcc_lo, v4, 2
	v_add3_u32 v11, v11, v15, v12
	s_wait_alu 0xfffd
	v_add_co_ci_u32_e64 v9, null, 0, v5, vcc_lo
	s_delay_alu instid0(VALU_DEP_4) | instskip(NEXT) | instid1(VALU_DEP_3)
	v_add_co_u32 v153, vcc_lo, s8, v6
	v_lshlrev_b64_e32 v[4:5], 1, v[10:11]
	v_mul_lo_u32 v10, s7, v8
	s_delay_alu instid0(VALU_DEP_4)
	v_mul_lo_u32 v11, s6, v9
	v_mad_co_u64_u32 v[8:9], null, s6, v8, 0
	s_wait_alu 0xfffd
	v_add_co_ci_u32_e64 v154, null, s9, v7, vcc_lo
	v_add_co_u32 v155, vcc_lo, s10, v6
	s_wait_alu 0xfffd
	v_add_co_ci_u32_e64 v156, null, s11, v7, vcc_lo
	v_add_co_u32 v157, vcc_lo, s8, v4
	s_wait_alu 0xfffd
	v_add_co_ci_u32_e64 v158, null, s9, v5, vcc_lo
	v_add3_u32 v9, v9, v11, v10
	v_add_co_u32 v159, vcc_lo, s10, v4
	s_wait_alu 0xfffd
	v_add_co_ci_u32_e64 v160, null, s11, v5, vcc_lo
	v_add_co_u32 v2, vcc_lo, v2, s6
	s_wait_alu 0xfffd
	v_add_co_ci_u32_e64 v3, null, s7, v3, vcc_lo
	v_lshlrev_b64_e32 v[4:5], 1, v[8:9]
	s_delay_alu instid0(VALU_DEP_2) | instskip(NEXT) | instid1(VALU_DEP_2)
	v_lshlrev_b64_e32 v[2:3], 1, v[2:3]
	v_add_co_u32 v161, vcc_lo, s8, v4
	s_wait_alu 0xfffd
	s_delay_alu instid0(VALU_DEP_3)
	v_add_co_ci_u32_e64 v162, null, s9, v5, vcc_lo
	v_add_co_u32 v163, vcc_lo, s10, v4
	s_wait_alu 0xfffd
	v_add_co_ci_u32_e64 v164, null, s11, v5, vcc_lo
	v_add_co_u32 v165, vcc_lo, s8, v2
	s_wait_alu 0xfffd
	;; [unrolled: 3-line block ×3, first 2 shown]
	v_add_co_ci_u32_e64 v168, null, s11, v3, vcc_lo
.LBB189_3:                              ; =>This Inner Loop Header: Depth=1
	s_add_nc_u64 s[30:31], s[14:15], s[24:25]
	v_add_co_u32 v36, vcc_lo, s14, v39
	s_wait_alu 0xfffe
	v_cmp_ge_i64_e64 s3, s[30:31], s[4:5]
	s_wait_alu 0xfffd
	v_add_co_ci_u32_e64 v37, null, 0, v41, vcc_lo
                                        ; implicit-def: $vgpr2_vgpr3_vgpr4_vgpr5_vgpr6_vgpr7_vgpr8_vgpr9_vgpr10_vgpr11_vgpr12_vgpr13_vgpr14_vgpr15_vgpr16_vgpr17_vgpr18_vgpr19_vgpr20_vgpr21_vgpr22_vgpr23_vgpr24_vgpr25_vgpr26_vgpr27_vgpr28_vgpr29_vgpr30_vgpr31_vgpr32_vgpr33
                                        ; implicit-def: $vgpr202
                                        ; implicit-def: $vgpr196
                                        ; implicit-def: $vgpr2
	s_and_b32 vcc_lo, exec_lo, s3
	s_mov_b32 s3, -1
	s_wait_alu 0xfffe
	s_cbranch_vccz .LBB189_71
; %bb.4:                                ;   in Loop: Header=BB189_3 Depth=1
	s_load_b32 s3, s[18:19], 0xc
	v_dual_mov_b32 v170, 0 :: v_dual_mov_b32 v171, 0
	s_wait_kmcnt 0x0
	s_and_b32 s3, s3, 0xffff
	s_wait_alu 0xfffe
	v_mad_u32_u24 v2, v38, s3, v40
	s_mov_b32 s3, exec_lo
	s_delay_alu instid0(VALU_DEP_1) | instskip(NEXT) | instid1(VALU_DEP_1)
	v_and_b32_e32 v2, 31, v2
	v_add_co_u32 v2, vcc_lo, v36, v2
	s_wait_alu 0xfffd
	v_add_co_ci_u32_e64 v3, null, 0, v37, vcc_lo
	s_delay_alu instid0(VALU_DEP_1)
	v_cmpx_gt_i64_e64 s[4:5], v[2:3]
	s_cbranch_execz .LBB189_6
; %bb.5:                                ;   in Loop: Header=BB189_3 Depth=1
	v_lshlrev_b64_e32 v[2:3], 2, v[2:3]
	s_delay_alu instid0(VALU_DEP_1) | instskip(SKIP_1) | instid1(VALU_DEP_2)
	v_add_co_u32 v2, vcc_lo, s12, v2
	s_wait_alu 0xfffd
	v_add_co_ci_u32_e64 v3, null, s13, v3, vcc_lo
	global_load_b32 v170, v[2:3], off
.LBB189_6:                              ;   in Loop: Header=BB189_3 Depth=1
	s_wait_alu 0xfffe
	s_or_b32 exec_lo, exec_lo, s3
	v_mov_b32_e32 v32, v1
	v_cmp_gt_i64_e32 vcc_lo, s[4:5], v[36:37]
	v_dual_mov_b32 v2, v1 :: v_dual_mov_b32 v3, v1
	v_dual_mov_b32 v4, v1 :: v_dual_mov_b32 v5, v1
	;; [unrolled: 1-line block ×15, first 2 shown]
	v_mov_b32_e32 v33, v32
	s_delay_alu instid0(VALU_DEP_2) | instskip(NEXT) | instid1(VALU_DEP_3)
	v_mov_b32_e32 v32, v31
	v_mov_b32_e32 v31, v30
	;; [unrolled: 1-line block ×31, first 2 shown]
	s_and_b32 s16, s2, vcc_lo
	s_delay_alu instid0(SALU_CYCLE_1)
	s_and_saveexec_b32 s3, s16
	s_cbranch_execz .LBB189_8
; %bb.7:                                ;   in Loop: Header=BB189_3 Depth=1
	v_add_co_u32 v2, vcc_lo, v42, v34
	s_wait_alu 0xfffd
	v_add_co_ci_u32_e64 v3, null, v43, v35, vcc_lo
	v_add_co_u32 v4, vcc_lo, v44, v34
	s_wait_alu 0xfffd
	v_add_co_ci_u32_e64 v5, null, v45, v35, vcc_lo
	global_load_u16 v2, v[2:3], off
	global_load_u16 v171, v[4:5], off
	v_dual_mov_b32 v3, v1 :: v_dual_mov_b32 v4, v1
	v_dual_mov_b32 v5, v1 :: v_dual_mov_b32 v6, v1
	;; [unrolled: 1-line block ×15, first 2 shown]
	s_wait_loadcnt 0x1
	v_dual_mov_b32 v33, v1 :: v_dual_lshlrev_b32 v2, 16, v2
	s_wait_loadcnt 0x0
	v_lshlrev_b32_e32 v171, 16, v171
.LBB189_8:                              ;   in Loop: Header=BB189_3 Depth=1
	s_wait_alu 0xfffe
	s_or_b32 exec_lo, exec_lo, s3
	v_add_co_u32 v172, vcc_lo, v36, 1
	s_wait_alu 0xfffd
	v_add_co_ci_u32_e64 v173, null, 0, v37, vcc_lo
	s_delay_alu instid0(VALU_DEP_1) | instskip(SKIP_2) | instid1(SALU_CYCLE_1)
	v_cmp_gt_i64_e32 vcc_lo, s[4:5], v[172:173]
	v_dual_mov_b32 v172, 0 :: v_dual_mov_b32 v173, 0
	s_and_b32 s16, s2, vcc_lo
	s_and_saveexec_b32 s3, s16
	s_cbranch_execz .LBB189_10
; %bb.9:                                ;   in Loop: Header=BB189_3 Depth=1
	v_add_co_u32 v173, vcc_lo, v165, v34
	s_wait_alu 0xfffd
	v_add_co_ci_u32_e64 v174, null, v166, v35, vcc_lo
	v_add_co_u32 v175, vcc_lo, v167, v34
	s_wait_alu 0xfffd
	v_add_co_ci_u32_e64 v176, null, v168, v35, vcc_lo
	global_load_u16 v3, v[173:174], off
	global_load_u16 v173, v[175:176], off
	s_wait_loadcnt 0x1
	v_lshlrev_b32_e32 v3, 16, v3
	s_wait_loadcnt 0x0
	v_lshlrev_b32_e32 v173, 16, v173
.LBB189_10:                             ;   in Loop: Header=BB189_3 Depth=1
	s_wait_alu 0xfffe
	s_or_b32 exec_lo, exec_lo, s3
	v_add_co_u32 v174, vcc_lo, v36, 2
	s_wait_alu 0xfffd
	v_add_co_ci_u32_e64 v175, null, 0, v37, vcc_lo
	s_delay_alu instid0(VALU_DEP_1) | instskip(SKIP_1) | instid1(SALU_CYCLE_1)
	v_cmp_gt_i64_e32 vcc_lo, s[4:5], v[174:175]
	s_and_b32 s16, s2, vcc_lo
	s_and_saveexec_b32 s3, s16
	s_cbranch_execz .LBB189_12
; %bb.11:                               ;   in Loop: Header=BB189_3 Depth=1
	v_add_co_u32 v174, vcc_lo, v161, v34
	s_wait_alu 0xfffd
	v_add_co_ci_u32_e64 v175, null, v162, v35, vcc_lo
	v_add_co_u32 v176, vcc_lo, v163, v34
	s_wait_alu 0xfffd
	v_add_co_ci_u32_e64 v177, null, v164, v35, vcc_lo
	global_load_u16 v4, v[174:175], off
	global_load_u16 v172, v[176:177], off
	s_wait_loadcnt 0x1
	v_lshlrev_b32_e32 v4, 16, v4
	s_wait_loadcnt 0x0
	v_lshlrev_b32_e32 v172, 16, v172
.LBB189_12:                             ;   in Loop: Header=BB189_3 Depth=1
	s_wait_alu 0xfffe
	s_or_b32 exec_lo, exec_lo, s3
	v_add_co_u32 v174, vcc_lo, v36, 3
	s_wait_alu 0xfffd
	v_add_co_ci_u32_e64 v175, null, 0, v37, vcc_lo
	s_delay_alu instid0(VALU_DEP_1) | instskip(SKIP_2) | instid1(SALU_CYCLE_1)
	v_cmp_gt_i64_e32 vcc_lo, s[4:5], v[174:175]
	v_dual_mov_b32 v174, 0 :: v_dual_mov_b32 v175, 0
	s_and_b32 s16, s2, vcc_lo
	s_and_saveexec_b32 s3, s16
	s_cbranch_execz .LBB189_14
; %bb.13:                               ;   in Loop: Header=BB189_3 Depth=1
	v_add_co_u32 v175, vcc_lo, v157, v34
	s_wait_alu 0xfffd
	v_add_co_ci_u32_e64 v176, null, v158, v35, vcc_lo
	v_add_co_u32 v177, vcc_lo, v159, v34
	s_wait_alu 0xfffd
	v_add_co_ci_u32_e64 v178, null, v160, v35, vcc_lo
	global_load_u16 v5, v[175:176], off
	global_load_u16 v175, v[177:178], off
	s_wait_loadcnt 0x1
	v_lshlrev_b32_e32 v5, 16, v5
	s_wait_loadcnt 0x0
	v_lshlrev_b32_e32 v175, 16, v175
.LBB189_14:                             ;   in Loop: Header=BB189_3 Depth=1
	s_wait_alu 0xfffe
	s_or_b32 exec_lo, exec_lo, s3
	v_add_co_u32 v176, vcc_lo, v36, 4
	s_wait_alu 0xfffd
	v_add_co_ci_u32_e64 v177, null, 0, v37, vcc_lo
	s_delay_alu instid0(VALU_DEP_1) | instskip(SKIP_1) | instid1(SALU_CYCLE_1)
	v_cmp_gt_i64_e32 vcc_lo, s[4:5], v[176:177]
	s_and_b32 s16, s2, vcc_lo
	s_and_saveexec_b32 s3, s16
	s_cbranch_execz .LBB189_16
; %bb.15:                               ;   in Loop: Header=BB189_3 Depth=1
	v_add_co_u32 v176, vcc_lo, v153, v34
	s_wait_alu 0xfffd
	v_add_co_ci_u32_e64 v177, null, v154, v35, vcc_lo
	v_add_co_u32 v178, vcc_lo, v155, v34
	s_wait_alu 0xfffd
	v_add_co_ci_u32_e64 v179, null, v156, v35, vcc_lo
	global_load_u16 v6, v[176:177], off
	global_load_u16 v174, v[178:179], off
	s_wait_loadcnt 0x1
	v_lshlrev_b32_e32 v6, 16, v6
	s_wait_loadcnt 0x0
	v_lshlrev_b32_e32 v174, 16, v174
.LBB189_16:                             ;   in Loop: Header=BB189_3 Depth=1
	s_wait_alu 0xfffe
	s_or_b32 exec_lo, exec_lo, s3
	v_add_co_u32 v176, vcc_lo, v36, 5
	s_wait_alu 0xfffd
	v_add_co_ci_u32_e64 v177, null, 0, v37, vcc_lo
	s_delay_alu instid0(VALU_DEP_1) | instskip(SKIP_2) | instid1(SALU_CYCLE_1)
	v_cmp_gt_i64_e32 vcc_lo, s[4:5], v[176:177]
	v_dual_mov_b32 v176, 0 :: v_dual_mov_b32 v177, 0
	s_and_b32 s16, s2, vcc_lo
	s_and_saveexec_b32 s3, s16
	s_cbranch_execz .LBB189_18
; %bb.17:                               ;   in Loop: Header=BB189_3 Depth=1
	v_add_co_u32 v177, vcc_lo, v149, v34
	s_wait_alu 0xfffd
	v_add_co_ci_u32_e64 v178, null, v150, v35, vcc_lo
	v_add_co_u32 v179, vcc_lo, v151, v34
	s_wait_alu 0xfffd
	v_add_co_ci_u32_e64 v180, null, v152, v35, vcc_lo
	global_load_u16 v7, v[177:178], off
	global_load_u16 v177, v[179:180], off
	s_wait_loadcnt 0x1
	v_lshlrev_b32_e32 v7, 16, v7
	s_wait_loadcnt 0x0
	v_lshlrev_b32_e32 v177, 16, v177
.LBB189_18:                             ;   in Loop: Header=BB189_3 Depth=1
	;; [unrolled: 49-line block ×11, first 2 shown]
	s_wait_alu 0xfffe
	s_or_b32 exec_lo, exec_lo, s3
	v_add_co_u32 v196, vcc_lo, v36, 24
	s_wait_alu 0xfffd
	v_add_co_ci_u32_e64 v197, null, 0, v37, vcc_lo
	s_delay_alu instid0(VALU_DEP_1) | instskip(SKIP_1) | instid1(SALU_CYCLE_1)
	v_cmp_gt_i64_e32 vcc_lo, s[4:5], v[196:197]
	s_and_b32 s16, s2, vcc_lo
	s_and_saveexec_b32 s3, s16
	s_cbranch_execz .LBB189_56
; %bb.55:                               ;   in Loop: Header=BB189_3 Depth=1
	v_add_co_u32 v196, vcc_lo, v74, v34
	s_wait_alu 0xfffd
	v_add_co_ci_u32_e64 v197, null, v75, v35, vcc_lo
	v_add_co_u32 v198, vcc_lo, v76, v34
	s_wait_alu 0xfffd
	v_add_co_ci_u32_e64 v199, null, v77, v35, vcc_lo
	global_load_u16 v26, v[196:197], off
	global_load_u16 v194, v[198:199], off
	s_wait_loadcnt 0x1
	v_lshlrev_b32_e32 v26, 16, v26
	s_wait_loadcnt 0x0
	v_lshlrev_b32_e32 v194, 16, v194
.LBB189_56:                             ;   in Loop: Header=BB189_3 Depth=1
	s_wait_alu 0xfffe
	s_or_b32 exec_lo, exec_lo, s3
	v_add_co_u32 v196, vcc_lo, v36, 25
	s_wait_alu 0xfffd
	v_add_co_ci_u32_e64 v197, null, 0, v37, vcc_lo
	v_mov_b32_e32 v198, 0
	s_delay_alu instid0(VALU_DEP_2) | instskip(SKIP_2) | instid1(SALU_CYCLE_1)
	v_cmp_gt_i64_e32 vcc_lo, s[4:5], v[196:197]
	v_mov_b32_e32 v197, 0
	s_and_b32 s16, s2, vcc_lo
	s_and_saveexec_b32 s3, s16
	s_cbranch_execz .LBB189_58
; %bb.57:                               ;   in Loop: Header=BB189_3 Depth=1
	v_add_co_u32 v198, vcc_lo, v70, v34
	s_wait_alu 0xfffd
	v_add_co_ci_u32_e64 v199, null, v71, v35, vcc_lo
	v_add_co_u32 v200, vcc_lo, v72, v34
	s_wait_alu 0xfffd
	v_add_co_ci_u32_e64 v201, null, v73, v35, vcc_lo
	global_load_u16 v27, v[198:199], off
	global_load_u16 v196, v[200:201], off
	s_wait_loadcnt 0x1
	v_lshlrev_b32_e32 v27, 16, v27
	s_wait_loadcnt 0x0
	v_lshlrev_b32_e32 v198, 16, v196
.LBB189_58:                             ;   in Loop: Header=BB189_3 Depth=1
	s_wait_alu 0xfffe
	s_or_b32 exec_lo, exec_lo, s3
	v_add_co_u32 v199, vcc_lo, v36, 26
	s_wait_alu 0xfffd
	v_add_co_ci_u32_e64 v200, null, 0, v37, vcc_lo
	s_delay_alu instid0(VALU_DEP_1) | instskip(SKIP_1) | instid1(SALU_CYCLE_1)
	v_cmp_gt_i64_e32 vcc_lo, s[4:5], v[199:200]
	s_and_b32 s16, s2, vcc_lo
	s_and_saveexec_b32 s3, s16
	s_cbranch_execz .LBB189_60
; %bb.59:                               ;   in Loop: Header=BB189_3 Depth=1
	v_add_co_u32 v196, vcc_lo, v66, v34
	s_wait_alu 0xfffd
	v_add_co_ci_u32_e64 v197, null, v67, v35, vcc_lo
	v_add_co_u32 v199, vcc_lo, v68, v34
	s_wait_alu 0xfffd
	v_add_co_ci_u32_e64 v200, null, v69, v35, vcc_lo
	global_load_u16 v28, v[196:197], off
	global_load_u16 v196, v[199:200], off
	s_wait_loadcnt 0x1
	v_lshlrev_b32_e32 v28, 16, v28
	s_wait_loadcnt 0x0
	v_lshlrev_b32_e32 v197, 16, v196
.LBB189_60:                             ;   in Loop: Header=BB189_3 Depth=1
	s_wait_alu 0xfffe
	s_or_b32 exec_lo, exec_lo, s3
	v_add_co_u32 v199, vcc_lo, v36, 27
	s_wait_alu 0xfffd
	v_add_co_ci_u32_e64 v200, null, 0, v37, vcc_lo
	s_delay_alu instid0(VALU_DEP_1) | instskip(SKIP_2) | instid1(SALU_CYCLE_1)
	v_cmp_gt_i64_e32 vcc_lo, s[4:5], v[199:200]
	v_dual_mov_b32 v199, 0 :: v_dual_mov_b32 v200, 0
	s_and_b32 s16, s2, vcc_lo
	s_and_saveexec_b32 s3, s16
	s_cbranch_execz .LBB189_62
; %bb.61:                               ;   in Loop: Header=BB189_3 Depth=1
	v_add_co_u32 v200, vcc_lo, v62, v34
	s_wait_alu 0xfffd
	v_add_co_ci_u32_e64 v201, null, v63, v35, vcc_lo
	v_add_co_u32 v202, vcc_lo, v64, v34
	s_wait_alu 0xfffd
	v_add_co_ci_u32_e64 v203, null, v65, v35, vcc_lo
	global_load_u16 v29, v[200:201], off
	global_load_u16 v196, v[202:203], off
	s_wait_loadcnt 0x1
	v_lshlrev_b32_e32 v29, 16, v29
	s_wait_loadcnt 0x0
	v_lshlrev_b32_e32 v200, 16, v196
.LBB189_62:                             ;   in Loop: Header=BB189_3 Depth=1
	s_wait_alu 0xfffe
	s_or_b32 exec_lo, exec_lo, s3
	v_add_co_u32 v201, vcc_lo, v36, 28
	s_wait_alu 0xfffd
	v_add_co_ci_u32_e64 v202, null, 0, v37, vcc_lo
	s_delay_alu instid0(VALU_DEP_1) | instskip(SKIP_1) | instid1(SALU_CYCLE_1)
	v_cmp_gt_i64_e32 vcc_lo, s[4:5], v[201:202]
	s_and_b32 s16, s2, vcc_lo
	s_and_saveexec_b32 s3, s16
	s_cbranch_execz .LBB189_64
; %bb.63:                               ;   in Loop: Header=BB189_3 Depth=1
	v_add_co_u32 v201, vcc_lo, v58, v34
	s_wait_alu 0xfffd
	v_add_co_ci_u32_e64 v202, null, v59, v35, vcc_lo
	v_add_co_u32 v203, vcc_lo, v60, v34
	s_wait_alu 0xfffd
	v_add_co_ci_u32_e64 v204, null, v61, v35, vcc_lo
	global_load_u16 v30, v[201:202], off
	global_load_u16 v196, v[203:204], off
	s_wait_loadcnt 0x1
	v_lshlrev_b32_e32 v30, 16, v30
	s_wait_loadcnt 0x0
	v_lshlrev_b32_e32 v199, 16, v196
.LBB189_64:                             ;   in Loop: Header=BB189_3 Depth=1
	s_wait_alu 0xfffe
	s_or_b32 exec_lo, exec_lo, s3
	v_add_co_u32 v201, vcc_lo, v36, 29
	s_wait_alu 0xfffd
	v_add_co_ci_u32_e64 v202, null, 0, v37, vcc_lo
	v_mov_b32_e32 v203, 0
	s_delay_alu instid0(VALU_DEP_2) | instskip(SKIP_2) | instid1(SALU_CYCLE_1)
	v_cmp_gt_i64_e32 vcc_lo, s[4:5], v[201:202]
	v_mov_b32_e32 v201, 0
	s_and_b32 s16, s2, vcc_lo
	s_and_saveexec_b32 s3, s16
	s_cbranch_execz .LBB189_66
; %bb.65:                               ;   in Loop: Header=BB189_3 Depth=1
	v_add_co_u32 v202, vcc_lo, v54, v34
	s_wait_alu 0xfffd
	v_add_co_ci_u32_e64 v203, null, v55, v35, vcc_lo
	v_add_co_u32 v204, vcc_lo, v56, v34
	s_wait_alu 0xfffd
	v_add_co_ci_u32_e64 v205, null, v57, v35, vcc_lo
	global_load_u16 v31, v[202:203], off
	global_load_u16 v196, v[204:205], off
	s_wait_loadcnt 0x1
	v_lshlrev_b32_e32 v31, 16, v31
	s_wait_loadcnt 0x0
	v_lshlrev_b32_e32 v203, 16, v196
.LBB189_66:                             ;   in Loop: Header=BB189_3 Depth=1
	s_wait_alu 0xfffe
	s_or_b32 exec_lo, exec_lo, s3
	v_add_co_u32 v204, vcc_lo, v36, 30
	s_wait_alu 0xfffd
	v_add_co_ci_u32_e64 v205, null, 0, v37, vcc_lo
	s_delay_alu instid0(VALU_DEP_1) | instskip(SKIP_1) | instid1(SALU_CYCLE_1)
	v_cmp_gt_i64_e32 vcc_lo, s[4:5], v[204:205]
	s_and_b32 s16, s2, vcc_lo
	s_and_saveexec_b32 s3, s16
	s_cbranch_execz .LBB189_68
; %bb.67:                               ;   in Loop: Header=BB189_3 Depth=1
	v_add_co_u32 v201, vcc_lo, v50, v34
	s_wait_alu 0xfffd
	v_add_co_ci_u32_e64 v202, null, v51, v35, vcc_lo
	v_add_co_u32 v204, vcc_lo, v52, v34
	s_wait_alu 0xfffd
	v_add_co_ci_u32_e64 v205, null, v53, v35, vcc_lo
	global_load_u16 v32, v[201:202], off
	global_load_u16 v196, v[204:205], off
	s_wait_loadcnt 0x1
	v_lshlrev_b32_e32 v32, 16, v32
	s_wait_loadcnt 0x0
	v_lshlrev_b32_e32 v201, 16, v196
.LBB189_68:                             ;   in Loop: Header=BB189_3 Depth=1
	s_wait_alu 0xfffe
	s_or_b32 exec_lo, exec_lo, s3
	v_add_co_u32 v204, vcc_lo, v36, 31
	s_wait_alu 0xfffd
	v_add_co_ci_u32_e64 v205, null, 0, v37, vcc_lo
	v_mov_b32_e32 v196, 0
	s_delay_alu instid0(VALU_DEP_2) | instskip(SKIP_1) | instid1(SALU_CYCLE_1)
	v_cmp_gt_i64_e32 vcc_lo, s[4:5], v[204:205]
	s_and_b32 s16, s2, vcc_lo
	s_and_saveexec_b32 s3, s16
	s_cbranch_execz .LBB189_70
; %bb.69:                               ;   in Loop: Header=BB189_3 Depth=1
	v_add_co_u32 v204, vcc_lo, v46, v34
	s_wait_alu 0xfffd
	v_add_co_ci_u32_e64 v205, null, v47, v35, vcc_lo
	v_add_co_u32 v206, vcc_lo, v48, v34
	s_wait_alu 0xfffd
	v_add_co_ci_u32_e64 v207, null, v49, v35, vcc_lo
	global_load_u16 v33, v[204:205], off
	global_load_u16 v196, v[206:207], off
	s_wait_loadcnt 0x1
	v_lshlrev_b32_e32 v33, 16, v33
	s_wait_loadcnt 0x0
	v_lshlrev_b32_e32 v196, 16, v196
.LBB189_70:                             ;   in Loop: Header=BB189_3 Depth=1
	s_wait_alu 0xfffe
	s_or_b32 exec_lo, exec_lo, s3
	s_wait_loadcnt 0x0
	ds_bpermute_b32 v202, v1, v170
	ds_bpermute_b32 v204, v1, v170 offset:4
	ds_bpermute_b32 v205, v1, v170 offset:8
	v_dual_mul_f32 v2, v171, v2 :: v_dual_mul_f32 v3, v173, v3
	ds_bpermute_b32 v171, v1, v170 offset:12
	ds_bpermute_b32 v173, v1, v170 offset:16
	s_mov_b32 s3, 0
	s_wait_dscnt 0x4
	v_fma_f32 v202, v2, v202, v169
	v_mul_f32_e32 v2, v172, v4
	ds_bpermute_b32 v4, v1, v170 offset:20
	s_wait_dscnt 0x4
	v_fmac_f32_e32 v202, v3, v204
	v_mul_f32_e32 v3, v175, v5
	ds_bpermute_b32 v5, v1, v170 offset:24
	s_wait_dscnt 0x4
	v_fmac_f32_e32 v202, v2, v205
	;; [unrolled: 4-line block ×6, first 2 shown]
	v_mul_f32_e32 v2, v178, v10
	ds_bpermute_b32 v5, v1, v170 offset:44
	s_wait_dscnt 0x4
	v_dual_fmac_f32 v202, v3, v6 :: v_dual_mul_f32 v3, v181, v11
	ds_bpermute_b32 v6, v1, v170 offset:48
	s_wait_dscnt 0x4
	v_fmac_f32_e32 v202, v2, v7
	v_mul_f32_e32 v2, v180, v12
	ds_bpermute_b32 v7, v1, v170 offset:52
	s_wait_dscnt 0x4
	v_fmac_f32_e32 v202, v3, v8
	v_mul_f32_e32 v3, v183, v13
	ds_bpermute_b32 v8, v1, v170 offset:56
	s_wait_dscnt 0x4
	v_fmac_f32_e32 v202, v2, v4
	v_mul_f32_e32 v2, v182, v14
	ds_bpermute_b32 v4, v1, v170 offset:60
	s_wait_dscnt 0x4
	v_dual_fmac_f32 v202, v3, v5 :: v_dual_mul_f32 v3, v185, v15
	ds_bpermute_b32 v5, v1, v170 offset:64
	s_wait_dscnt 0x4
	v_fmac_f32_e32 v202, v2, v6
	v_mul_f32_e32 v2, v184, v16
	ds_bpermute_b32 v6, v1, v170 offset:68
	s_wait_dscnt 0x4
	v_fmac_f32_e32 v202, v3, v7
	v_mul_f32_e32 v3, v187, v17
	ds_bpermute_b32 v7, v1, v170 offset:72
	s_wait_dscnt 0x4
	v_fmac_f32_e32 v202, v2, v8
	v_mul_f32_e32 v2, v186, v18
	ds_bpermute_b32 v8, v1, v170 offset:76
	s_wait_dscnt 0x4
	v_dual_fmac_f32 v202, v3, v4 :: v_dual_mul_f32 v3, v189, v19
	ds_bpermute_b32 v4, v1, v170 offset:80
	s_wait_dscnt 0x4
	v_fmac_f32_e32 v202, v2, v5
	v_mul_f32_e32 v2, v188, v20
	ds_bpermute_b32 v5, v1, v170 offset:84
	s_wait_dscnt 0x4
	v_fmac_f32_e32 v202, v3, v6
	v_mul_f32_e32 v3, v191, v21
	ds_bpermute_b32 v6, v1, v170 offset:88
	s_wait_dscnt 0x4
	v_fmac_f32_e32 v202, v2, v7
	v_mul_f32_e32 v2, v190, v22
	ds_bpermute_b32 v7, v1, v170 offset:92
	s_wait_dscnt 0x4
	v_dual_fmac_f32 v202, v3, v8 :: v_dual_mul_f32 v3, v193, v23
	ds_bpermute_b32 v8, v1, v170 offset:96
	s_wait_dscnt 0x4
	v_fmac_f32_e32 v202, v2, v4
	v_mul_f32_e32 v2, v192, v24
	ds_bpermute_b32 v4, v1, v170 offset:100
	s_wait_dscnt 0x4
	v_fmac_f32_e32 v202, v3, v5
	v_mul_f32_e32 v3, v195, v25
	ds_bpermute_b32 v5, v1, v170 offset:104
	s_wait_dscnt 0x4
	v_fmac_f32_e32 v202, v2, v6
	v_mul_f32_e32 v2, v194, v26
	ds_bpermute_b32 v6, v1, v170 offset:108
	s_wait_dscnt 0x4
	v_fmac_f32_e32 v202, v3, v7
	v_mul_f32_e32 v3, v198, v27
	ds_bpermute_b32 v7, v1, v170 offset:112
	s_wait_dscnt 0x4
	v_fmac_f32_e32 v202, v2, v8
	v_mul_f32_e32 v2, v197, v28
	ds_bpermute_b32 v8, v1, v170 offset:116
	s_wait_dscnt 0x4
	v_dual_fmac_f32 v202, v3, v4 :: v_dual_mul_f32 v3, v200, v29
	ds_bpermute_b32 v4, v1, v170 offset:120
	s_wait_dscnt 0x4
	v_dual_fmac_f32 v202, v2, v5 :: v_dual_mul_f32 v5, v199, v30
	ds_bpermute_b32 v2, v1, v170 offset:124
	s_wait_dscnt 0x4
	v_fmac_f32_e32 v202, v3, v6
	v_mul_f32_e32 v3, v203, v31
	s_wait_dscnt 0x3
	s_delay_alu instid0(VALU_DEP_2) | instskip(SKIP_1) | instid1(VALU_DEP_1)
	v_fmac_f32_e32 v202, v5, v7
	s_wait_dscnt 0x2
	v_fmac_f32_e32 v202, v3, v8
	v_mul_f32_e32 v3, v201, v32
	s_wait_dscnt 0x1
	s_delay_alu instid0(VALU_DEP_1)
	v_fmac_f32_e32 v202, v3, v4
.LBB189_71:                             ;   in Loop: Header=BB189_3 Depth=1
	s_wait_alu 0xfffe
	s_and_b32 vcc_lo, exec_lo, s3
	s_wait_alu 0xfffe
	s_cbranch_vccz .LBB189_137
; %bb.72:                               ;   in Loop: Header=BB189_3 Depth=1
	s_load_b32 s3, s[18:19], 0x0
	s_wait_kmcnt 0x0
	s_cmp_lt_u32 ttmp9, s3
	s_cselect_b32 s16, 12, 18
	s_delay_alu instid0(SALU_CYCLE_1)
	s_add_nc_u64 s[30:31], s[18:19], s[16:17]
	s_load_u16 s3, s[30:31], 0x0
	s_wait_dscnt 0x0
	s_wait_kmcnt 0x0
	v_mad_u32_u24 v2, v38, s3, v40
	s_mov_b32 s3, exec_lo
	s_delay_alu instid0(VALU_DEP_1) | instskip(NEXT) | instid1(VALU_DEP_1)
	v_and_b32_e32 v2, 31, v2
	v_add_co_u32 v2, vcc_lo, v36, v2
	s_wait_alu 0xfffd
	v_add_co_ci_u32_e64 v3, null, 0, v37, vcc_lo
	v_dual_mov_b32 v37, 0 :: v_dual_mov_b32 v36, 0
	s_delay_alu instid0(VALU_DEP_2)
	v_cmpx_gt_i64_e64 s[4:5], v[2:3]
	s_cbranch_execz .LBB189_74
; %bb.73:                               ;   in Loop: Header=BB189_3 Depth=1
	v_lshlrev_b64_e32 v[2:3], 2, v[2:3]
	s_delay_alu instid0(VALU_DEP_1) | instskip(SKIP_1) | instid1(VALU_DEP_2)
	v_add_co_u32 v2, vcc_lo, s12, v2
	s_wait_alu 0xfffd
	v_add_co_ci_u32_e64 v3, null, s13, v3, vcc_lo
	global_load_b32 v36, v[2:3], off
.LBB189_74:                             ;   in Loop: Header=BB189_3 Depth=1
	s_wait_alu 0xfffe
	s_or_b32 exec_lo, exec_lo, s3
	v_mov_b32_e32 v32, v1
	v_dual_mov_b32 v2, v1 :: v_dual_mov_b32 v3, v1
	v_dual_mov_b32 v4, v1 :: v_dual_mov_b32 v5, v1
	;; [unrolled: 1-line block ×15, first 2 shown]
	v_mov_b32_e32 v33, v32
	s_delay_alu instid0(VALU_DEP_2) | instskip(NEXT) | instid1(VALU_DEP_3)
	v_mov_b32_e32 v32, v31
	v_mov_b32_e32 v31, v30
	v_mov_b32_e32 v30, v29
	v_mov_b32_e32 v29, v28
	v_mov_b32_e32 v28, v27
	v_mov_b32_e32 v27, v26
	v_mov_b32_e32 v26, v25
	v_mov_b32_e32 v25, v24
	v_mov_b32_e32 v24, v23
	v_mov_b32_e32 v23, v22
	v_mov_b32_e32 v22, v21
	v_mov_b32_e32 v21, v20
	v_mov_b32_e32 v20, v19
	v_mov_b32_e32 v19, v18
	v_mov_b32_e32 v18, v17
	v_mov_b32_e32 v17, v16
	v_mov_b32_e32 v16, v15
	v_mov_b32_e32 v15, v14
	v_mov_b32_e32 v14, v13
	v_mov_b32_e32 v13, v12
	v_mov_b32_e32 v12, v11
	v_mov_b32_e32 v11, v10
	v_mov_b32_e32 v10, v9
	v_mov_b32_e32 v9, v8
	v_mov_b32_e32 v8, v7
	v_mov_b32_e32 v7, v6
	v_mov_b32_e32 v6, v5
	v_mov_b32_e32 v5, v4
	v_mov_b32_e32 v4, v3
	v_mov_b32_e32 v3, v2
	v_mov_b32_e32 v2, v1
	s_and_saveexec_b32 s3, s2
	s_cbranch_execz .LBB189_76
; %bb.75:                               ;   in Loop: Header=BB189_3 Depth=1
	v_add_co_u32 v2, vcc_lo, v42, v34
	s_wait_alu 0xfffd
	v_add_co_ci_u32_e64 v3, null, v43, v35, vcc_lo
	v_add_co_u32 v4, vcc_lo, v44, v34
	s_wait_alu 0xfffd
	v_add_co_ci_u32_e64 v5, null, v45, v35, vcc_lo
	global_load_u16 v2, v[2:3], off
	global_load_u16 v37, v[4:5], off
	v_dual_mov_b32 v3, v1 :: v_dual_mov_b32 v4, v1
	v_dual_mov_b32 v5, v1 :: v_dual_mov_b32 v6, v1
	;; [unrolled: 1-line block ×15, first 2 shown]
	s_wait_loadcnt 0x1
	v_dual_mov_b32 v33, v1 :: v_dual_lshlrev_b32 v2, 16, v2
	s_wait_loadcnt 0x0
	v_lshlrev_b32_e32 v37, 16, v37
.LBB189_76:                             ;   in Loop: Header=BB189_3 Depth=1
	s_wait_alu 0xfffe
	s_or_b32 exec_lo, exec_lo, s3
	v_dual_mov_b32 v170, 0 :: v_dual_mov_b32 v171, 0
	s_and_saveexec_b32 s3, s2
	s_cbranch_execz .LBB189_78
; %bb.77:                               ;   in Loop: Header=BB189_3 Depth=1
	v_add_co_u32 v171, vcc_lo, v165, v34
	s_wait_alu 0xfffd
	v_add_co_ci_u32_e64 v172, null, v166, v35, vcc_lo
	v_add_co_u32 v173, vcc_lo, v167, v34
	s_wait_alu 0xfffd
	v_add_co_ci_u32_e64 v174, null, v168, v35, vcc_lo
	global_load_u16 v3, v[171:172], off
	global_load_u16 v171, v[173:174], off
	s_wait_loadcnt 0x1
	v_lshlrev_b32_e32 v3, 16, v3
	s_wait_loadcnt 0x0
	v_lshlrev_b32_e32 v171, 16, v171
.LBB189_78:                             ;   in Loop: Header=BB189_3 Depth=1
	s_wait_alu 0xfffe
	s_or_b32 exec_lo, exec_lo, s3
	s_and_saveexec_b32 s3, s2
	s_cbranch_execz .LBB189_80
; %bb.79:                               ;   in Loop: Header=BB189_3 Depth=1
	v_add_co_u32 v172, vcc_lo, v161, v34
	s_wait_alu 0xfffd
	v_add_co_ci_u32_e64 v173, null, v162, v35, vcc_lo
	v_add_co_u32 v174, vcc_lo, v163, v34
	s_wait_alu 0xfffd
	v_add_co_ci_u32_e64 v175, null, v164, v35, vcc_lo
	global_load_u16 v4, v[172:173], off
	global_load_u16 v170, v[174:175], off
	s_wait_loadcnt 0x1
	v_lshlrev_b32_e32 v4, 16, v4
	s_wait_loadcnt 0x0
	v_lshlrev_b32_e32 v170, 16, v170
.LBB189_80:                             ;   in Loop: Header=BB189_3 Depth=1
	s_wait_alu 0xfffe
	s_or_b32 exec_lo, exec_lo, s3
	v_dual_mov_b32 v172, 0 :: v_dual_mov_b32 v173, 0
	s_and_saveexec_b32 s3, s2
	s_cbranch_execz .LBB189_82
; %bb.81:                               ;   in Loop: Header=BB189_3 Depth=1
	v_add_co_u32 v173, vcc_lo, v157, v34
	s_wait_alu 0xfffd
	v_add_co_ci_u32_e64 v174, null, v158, v35, vcc_lo
	v_add_co_u32 v175, vcc_lo, v159, v34
	s_wait_alu 0xfffd
	v_add_co_ci_u32_e64 v176, null, v160, v35, vcc_lo
	global_load_u16 v5, v[173:174], off
	global_load_u16 v173, v[175:176], off
	s_wait_loadcnt 0x1
	v_lshlrev_b32_e32 v5, 16, v5
	s_wait_loadcnt 0x0
	v_lshlrev_b32_e32 v173, 16, v173
.LBB189_82:                             ;   in Loop: Header=BB189_3 Depth=1
	s_wait_alu 0xfffe
	s_or_b32 exec_lo, exec_lo, s3
	s_and_saveexec_b32 s3, s2
	s_cbranch_execz .LBB189_84
; %bb.83:                               ;   in Loop: Header=BB189_3 Depth=1
	v_add_co_u32 v174, vcc_lo, v153, v34
	s_wait_alu 0xfffd
	v_add_co_ci_u32_e64 v175, null, v154, v35, vcc_lo
	v_add_co_u32 v176, vcc_lo, v155, v34
	s_wait_alu 0xfffd
	v_add_co_ci_u32_e64 v177, null, v156, v35, vcc_lo
	global_load_u16 v6, v[174:175], off
	global_load_u16 v172, v[176:177], off
	s_wait_loadcnt 0x1
	v_lshlrev_b32_e32 v6, 16, v6
	s_wait_loadcnt 0x0
	v_lshlrev_b32_e32 v172, 16, v172
.LBB189_84:                             ;   in Loop: Header=BB189_3 Depth=1
	;; [unrolled: 37-line block ×5, first 2 shown]
	s_wait_alu 0xfffe
	s_or_b32 exec_lo, exec_lo, s3
	v_dual_mov_b32 v180, 0 :: v_dual_mov_b32 v181, 0
	s_and_saveexec_b32 s3, s2
	s_cbranch_execz .LBB189_98
; %bb.97:                               ;   in Loop: Header=BB189_3 Depth=1
	v_add_co_u32 v181, vcc_lo, v125, v34
	s_wait_alu 0xfffd
	v_add_co_ci_u32_e64 v182, null, v126, v35, vcc_lo
	v_add_co_u32 v183, vcc_lo, v127, v34
	s_wait_alu 0xfffd
	v_add_co_ci_u32_e64 v184, null, v128, v35, vcc_lo
	global_load_u16 v13, v[181:182], off
	global_load_u16 v181, v[183:184], off
	s_wait_loadcnt 0x1
	v_lshlrev_b32_e32 v13, 16, v13
	s_wait_loadcnt 0x0
	v_lshlrev_b32_e32 v181, 16, v181
.LBB189_98:                             ;   in Loop: Header=BB189_3 Depth=1
	s_wait_alu 0xfffe
	s_or_b32 exec_lo, exec_lo, s3
	s_and_saveexec_b32 s3, s2
	s_cbranch_execz .LBB189_100
; %bb.99:                               ;   in Loop: Header=BB189_3 Depth=1
	v_add_co_u32 v182, vcc_lo, v121, v34
	s_wait_alu 0xfffd
	v_add_co_ci_u32_e64 v183, null, v122, v35, vcc_lo
	v_add_co_u32 v184, vcc_lo, v123, v34
	s_wait_alu 0xfffd
	v_add_co_ci_u32_e64 v185, null, v124, v35, vcc_lo
	global_load_u16 v14, v[182:183], off
	global_load_u16 v180, v[184:185], off
	s_wait_loadcnt 0x1
	v_lshlrev_b32_e32 v14, 16, v14
	s_wait_loadcnt 0x0
	v_lshlrev_b32_e32 v180, 16, v180
.LBB189_100:                            ;   in Loop: Header=BB189_3 Depth=1
	s_wait_alu 0xfffe
	s_or_b32 exec_lo, exec_lo, s3
	v_dual_mov_b32 v182, 0 :: v_dual_mov_b32 v183, 0
	s_and_saveexec_b32 s3, s2
	s_cbranch_execz .LBB189_102
; %bb.101:                              ;   in Loop: Header=BB189_3 Depth=1
	v_add_co_u32 v183, vcc_lo, v117, v34
	s_wait_alu 0xfffd
	v_add_co_ci_u32_e64 v184, null, v118, v35, vcc_lo
	v_add_co_u32 v185, vcc_lo, v119, v34
	s_wait_alu 0xfffd
	v_add_co_ci_u32_e64 v186, null, v120, v35, vcc_lo
	global_load_u16 v15, v[183:184], off
	global_load_u16 v183, v[185:186], off
	s_wait_loadcnt 0x1
	v_lshlrev_b32_e32 v15, 16, v15
	s_wait_loadcnt 0x0
	v_lshlrev_b32_e32 v183, 16, v183
.LBB189_102:                            ;   in Loop: Header=BB189_3 Depth=1
	s_wait_alu 0xfffe
	s_or_b32 exec_lo, exec_lo, s3
	s_and_saveexec_b32 s3, s2
	s_cbranch_execz .LBB189_104
; %bb.103:                              ;   in Loop: Header=BB189_3 Depth=1
	v_add_co_u32 v184, vcc_lo, v113, v34
	s_wait_alu 0xfffd
	v_add_co_ci_u32_e64 v185, null, v114, v35, vcc_lo
	v_add_co_u32 v186, vcc_lo, v115, v34
	s_wait_alu 0xfffd
	v_add_co_ci_u32_e64 v187, null, v116, v35, vcc_lo
	global_load_u16 v16, v[184:185], off
	global_load_u16 v182, v[186:187], off
	s_wait_loadcnt 0x1
	v_lshlrev_b32_e32 v16, 16, v16
	s_wait_loadcnt 0x0
	v_lshlrev_b32_e32 v182, 16, v182
.LBB189_104:                            ;   in Loop: Header=BB189_3 Depth=1
	s_wait_alu 0xfffe
	s_or_b32 exec_lo, exec_lo, s3
	v_dual_mov_b32 v184, 0 :: v_dual_mov_b32 v185, 0
	s_and_saveexec_b32 s3, s2
	s_cbranch_execz .LBB189_106
; %bb.105:                              ;   in Loop: Header=BB189_3 Depth=1
	v_add_co_u32 v185, vcc_lo, v109, v34
	s_wait_alu 0xfffd
	v_add_co_ci_u32_e64 v186, null, v110, v35, vcc_lo
	v_add_co_u32 v187, vcc_lo, v111, v34
	s_wait_alu 0xfffd
	v_add_co_ci_u32_e64 v188, null, v112, v35, vcc_lo
	global_load_u16 v17, v[185:186], off
	global_load_u16 v185, v[187:188], off
	s_wait_loadcnt 0x1
	v_lshlrev_b32_e32 v17, 16, v17
	s_wait_loadcnt 0x0
	v_lshlrev_b32_e32 v185, 16, v185
.LBB189_106:                            ;   in Loop: Header=BB189_3 Depth=1
	s_wait_alu 0xfffe
	s_or_b32 exec_lo, exec_lo, s3
	s_and_saveexec_b32 s3, s2
	s_cbranch_execz .LBB189_108
; %bb.107:                              ;   in Loop: Header=BB189_3 Depth=1
	v_add_co_u32 v186, vcc_lo, v105, v34
	s_wait_alu 0xfffd
	v_add_co_ci_u32_e64 v187, null, v106, v35, vcc_lo
	v_add_co_u32 v188, vcc_lo, v107, v34
	s_wait_alu 0xfffd
	v_add_co_ci_u32_e64 v189, null, v108, v35, vcc_lo
	global_load_u16 v18, v[186:187], off
	global_load_u16 v184, v[188:189], off
	s_wait_loadcnt 0x1
	v_lshlrev_b32_e32 v18, 16, v18
	s_wait_loadcnt 0x0
	v_lshlrev_b32_e32 v184, 16, v184
.LBB189_108:                            ;   in Loop: Header=BB189_3 Depth=1
	;; [unrolled: 37-line block ×8, first 2 shown]
	s_wait_alu 0xfffe
	s_or_b32 exec_lo, exec_lo, s3
	v_dual_mov_b32 v199, 0 :: v_dual_mov_b32 v200, 0
	s_and_saveexec_b32 s3, s2
	s_cbranch_execnz .LBB189_139
; %bb.133:                              ;   in Loop: Header=BB189_3 Depth=1
	s_wait_alu 0xfffe
	s_or_b32 exec_lo, exec_lo, s3
	s_and_saveexec_b32 s3, s2
	s_cbranch_execnz .LBB189_140
.LBB189_134:                            ;   in Loop: Header=BB189_3 Depth=1
	s_wait_alu 0xfffe
	s_or_b32 exec_lo, exec_lo, s3
	v_mov_b32_e32 v196, 0
	s_and_saveexec_b32 s3, s2
	s_cbranch_execz .LBB189_136
.LBB189_135:                            ;   in Loop: Header=BB189_3 Depth=1
	v_add_co_u32 v201, vcc_lo, v46, v34
	s_wait_alu 0xfffd
	v_add_co_ci_u32_e64 v202, null, v47, v35, vcc_lo
	v_add_co_u32 v203, vcc_lo, v48, v34
	s_wait_alu 0xfffd
	v_add_co_ci_u32_e64 v204, null, v49, v35, vcc_lo
	global_load_u16 v33, v[201:202], off
	global_load_u16 v196, v[203:204], off
	s_wait_loadcnt 0x1
	v_lshlrev_b32_e32 v33, 16, v33
	s_wait_loadcnt 0x0
	v_lshlrev_b32_e32 v196, 16, v196
.LBB189_136:                            ;   in Loop: Header=BB189_3 Depth=1
	s_wait_alu 0xfffe
	s_or_b32 exec_lo, exec_lo, s3
	s_wait_loadcnt 0x0
	ds_bpermute_b32 v201, v1, v36
	ds_bpermute_b32 v202, v1, v36 offset:4
	ds_bpermute_b32 v203, v1, v36 offset:8
	v_dual_mul_f32 v2, v37, v2 :: v_dual_mul_f32 v3, v171, v3
	ds_bpermute_b32 v37, v1, v36 offset:12
	ds_bpermute_b32 v171, v1, v36 offset:16
	s_wait_dscnt 0x4
	v_fmac_f32_e32 v169, v2, v201
	v_mul_f32_e32 v2, v170, v4
	ds_bpermute_b32 v4, v1, v36 offset:20
	s_wait_dscnt 0x4
	v_fmac_f32_e32 v169, v3, v202
	v_mul_f32_e32 v3, v173, v5
	ds_bpermute_b32 v5, v1, v36 offset:24
	s_wait_dscnt 0x4
	v_dual_fmac_f32 v169, v2, v203 :: v_dual_mul_f32 v2, v172, v6
	ds_bpermute_b32 v6, v1, v36 offset:28
	s_wait_dscnt 0x4
	v_fmac_f32_e32 v169, v3, v37
	v_mul_f32_e32 v3, v175, v7
	ds_bpermute_b32 v7, v1, v36 offset:32
	s_wait_dscnt 0x4
	v_fmac_f32_e32 v169, v2, v171
	v_mul_f32_e32 v2, v174, v8
	ds_bpermute_b32 v8, v1, v36 offset:36
	s_wait_dscnt 0x4
	v_fmac_f32_e32 v169, v3, v4
	v_mul_f32_e32 v3, v177, v9
	ds_bpermute_b32 v4, v1, v36 offset:40
	s_wait_dscnt 0x4
	v_dual_fmac_f32 v169, v2, v5 :: v_dual_mul_f32 v2, v176, v10
	ds_bpermute_b32 v5, v1, v36 offset:44
	s_wait_dscnt 0x4
	v_fmac_f32_e32 v169, v3, v6
	v_mul_f32_e32 v3, v179, v11
	;; [unrolled: 15-line block ×5, first 2 shown]
	ds_bpermute_b32 v8, v1, v36 offset:96
	s_wait_dscnt 0x4
	v_fmac_f32_e32 v169, v2, v4
	v_mul_f32_e32 v2, v190, v24
	ds_bpermute_b32 v4, v1, v36 offset:100
	s_wait_dscnt 0x4
	v_fmac_f32_e32 v169, v3, v5
	v_mul_f32_e32 v3, v193, v25
	;; [unrolled: 4-line block ×6, first 2 shown]
	ds_bpermute_b32 v4, v1, v36 offset:120
	s_wait_dscnt 0x4
	v_dual_fmac_f32 v169, v2, v5 :: v_dual_mul_f32 v2, v197, v30
	s_wait_dscnt 0x3
	s_delay_alu instid0(VALU_DEP_1) | instskip(SKIP_2) | instid1(VALU_DEP_2)
	v_fmac_f32_e32 v169, v3, v6
	v_mul_f32_e32 v3, v200, v31
	s_wait_dscnt 0x2
	v_fmac_f32_e32 v169, v2, v7
	ds_bpermute_b32 v2, v1, v36 offset:124
	s_wait_dscnt 0x2
	v_fmac_f32_e32 v169, v3, v8
	v_mul_f32_e32 v3, v199, v32
	s_wait_dscnt 0x1
	s_delay_alu instid0(VALU_DEP_1) | instskip(NEXT) | instid1(VALU_DEP_1)
	v_fmac_f32_e32 v169, v3, v4
	v_mov_b32_e32 v202, v169
.LBB189_137:                            ;   in Loop: Header=BB189_3 Depth=1
	v_add_co_u32 v42, vcc_lo, v42, s22
	s_wait_alu 0xfffd
	v_add_co_ci_u32_e64 v43, null, s23, v43, vcc_lo
	v_add_co_u32 v44, vcc_lo, v44, s22
	s_wait_alu 0xfffd
	v_add_co_ci_u32_e64 v45, null, s23, v45, vcc_lo
	;; [unrolled: 3-line block ×62, first 2 shown]
	v_add_co_u32 v165, vcc_lo, v165, s22
	v_mul_f32_e32 v3, v196, v33
	s_add_nc_u64 s[26:27], s[26:27], s[20:21]
	s_wait_alu 0xfffd
	v_add_co_ci_u32_e64 v166, null, s23, v166, vcc_lo
	v_add_co_u32 v167, vcc_lo, v167, s22
	s_wait_alu 0xfffe
	v_cmp_lt_i64_e64 s3, s[26:27], s[4:5]
	s_wait_alu 0xfffd
	v_add_co_ci_u32_e64 v168, null, s23, v168, vcc_lo
	v_add_co_u32 v39, vcc_lo, v39, s20
	s_wait_dscnt 0x0
	v_fmac_f32_e32 v202, v3, v2
	s_wait_alu 0xfffd
	v_add_co_ci_u32_e64 v41, null, 0, v41, vcc_lo
	s_and_b32 vcc_lo, exec_lo, s3
	s_add_nc_u64 s[24:25], s[24:25], s[20:21]
	s_wait_alu 0xfffe
	s_cbranch_vccz .LBB189_142
; %bb.138:                              ;   in Loop: Header=BB189_3 Depth=1
	v_mov_b32_e32 v169, v202
	s_branch .LBB189_3
.LBB189_139:                            ;   in Loop: Header=BB189_3 Depth=1
	v_add_co_u32 v200, vcc_lo, v54, v34
	s_wait_alu 0xfffd
	v_add_co_ci_u32_e64 v201, null, v55, v35, vcc_lo
	v_add_co_u32 v202, vcc_lo, v56, v34
	s_wait_alu 0xfffd
	v_add_co_ci_u32_e64 v203, null, v57, v35, vcc_lo
	global_load_u16 v31, v[200:201], off
	global_load_u16 v196, v[202:203], off
	s_wait_loadcnt 0x1
	v_lshlrev_b32_e32 v31, 16, v31
	s_wait_loadcnt 0x0
	v_lshlrev_b32_e32 v200, 16, v196
	s_wait_alu 0xfffe
	s_or_b32 exec_lo, exec_lo, s3
	s_and_saveexec_b32 s3, s2
	s_cbranch_execz .LBB189_134
.LBB189_140:                            ;   in Loop: Header=BB189_3 Depth=1
	v_add_co_u32 v201, vcc_lo, v50, v34
	s_wait_alu 0xfffd
	v_add_co_ci_u32_e64 v202, null, v51, v35, vcc_lo
	v_add_co_u32 v203, vcc_lo, v52, v34
	s_wait_alu 0xfffd
	v_add_co_ci_u32_e64 v204, null, v53, v35, vcc_lo
	global_load_u16 v32, v[201:202], off
	global_load_u16 v196, v[203:204], off
	s_wait_loadcnt 0x1
	v_lshlrev_b32_e32 v32, 16, v32
	s_wait_loadcnt 0x0
	v_lshlrev_b32_e32 v199, 16, v196
	s_wait_alu 0xfffe
	s_or_b32 exec_lo, exec_lo, s3
	v_mov_b32_e32 v196, 0
	s_and_saveexec_b32 s3, s2
	s_cbranch_execnz .LBB189_135
	s_branch .LBB189_136
.LBB189_141:
                                        ; implicit-def: $vgpr202
	s_load_b64 s[2:3], s[0:1], 0x30
	s_branch .LBB189_143
.LBB189_142:
	s_load_b64 s[2:3], s[0:1], 0x30
	s_cbranch_execnz .LBB189_220
.LBB189_143:
	v_mov_b32_e32 v202, 0
	s_and_not1_b32 vcc_lo, exec_lo, s29
	s_wait_alu 0xfffe
	s_cbranch_vccnz .LBB189_220
; %bb.144:
	v_bfe_u32 v202, v208, 10, 10
	s_lshl_b64 s[16:17], s[14:15], 1
	s_mov_b64 s[20:21], 31
	s_mov_b64 s[22:23], s[14:15]
	scratch_store_b32 off, v208, off offset:308 ; 4-byte Folded Spill
	v_lshlrev_b32_e32 v1, 6, v202
	v_lshlrev_b32_e32 v220, 5, v202
	scratch_store_b32 off, v202, off offset:300 ; 4-byte Folded Spill
	v_mov_b32_e32 v204, 0
	v_add_co_u32 v3, s16, v1, s16
	s_wait_alu 0xf1ff
	v_add_co_ci_u32_e64 v4, null, 0, s17, s16
	v_add_co_u32 v0, s18, v220, s14
	s_delay_alu instid0(VALU_DEP_3) | instskip(SKIP_1) | instid1(VALU_DEP_3)
	v_add_co_u32 v7, vcc_lo, v3, 2
	s_wait_alu 0xfffd
	v_add_co_ci_u32_e64 v8, null, 0, v4, vcc_lo
	v_add_co_ci_u32_e64 v9, null, 0, 0, s18
	s_delay_alu instid0(VALU_DEP_3) | instskip(SKIP_1) | instid1(VALU_DEP_4)
	v_mad_co_u64_u32 v[13:14], null, s6, v7, s[8:9]
	v_mul_lo_u32 v10, s7, v7
	v_mul_lo_u32 v8, s6, v8
	;; [unrolled: 1-line block ×4, first 2 shown]
	v_mad_co_u64_u32 v[1:2], null, s6, v0, 0
	v_add_co_u32 v11, vcc_lo, v3, 4
	s_wait_alu 0xfffd
	v_add_co_ci_u32_e64 v12, null, 0, v4, vcc_lo
	v_add3_u32 v14, v10, v14, v8
	v_mad_co_u64_u32 v[42:43], null, s6, v7, s[10:11]
	v_add3_u32 v2, v2, v6, v5
	v_add_co_u32 v5, vcc_lo, v3, 6
	scratch_store_b64 off, v[13:14], off    ; 8-byte Folded Spill
	s_wait_alu 0xfffd
	v_add_co_ci_u32_e64 v6, null, 0, v4, vcc_lo
	v_add_co_u32 v14, vcc_lo, v3, 8
	s_wait_alu 0xfffd
	v_add_co_ci_u32_e64 v16, null, 0, v4, vcc_lo
	v_add_co_u32 v17, vcc_lo, v3, 10
	s_delay_alu instid0(VALU_DEP_3) | instskip(NEXT) | instid1(VALU_DEP_3)
	v_mad_co_u64_u32 v[40:41], null, s6, v14, s[8:9]
	v_mul_lo_u32 v16, s6, v16
	v_mul_lo_u32 v7, s7, v14
	v_mad_co_u64_u32 v[50:51], null, s6, v14, s[10:11]
	v_mad_co_u64_u32 v[38:39], null, s6, v5, s[8:9]
	v_mul_lo_u32 v15, s7, v5
	s_wait_alu 0xfffd
	v_add_co_ci_u32_e64 v18, null, 0, v4, vcc_lo
	v_mad_co_u64_u32 v[48:49], null, s6, v5, s[10:11]
	v_add_co_u32 v5, vcc_lo, v3, 12
	v_mul_lo_u32 v6, s6, v6
	v_add3_u32 v43, v10, v43, v8
	s_wait_alu 0xfffd
	v_add_co_ci_u32_e64 v8, null, 0, v4, vcc_lo
	v_mad_co_u64_u32 v[52:53], null, s6, v5, s[8:9]
	v_add3_u32 v41, v7, v41, v16
	v_add3_u32 v51, v7, v51, v16
	v_mul_lo_u32 v7, s7, v5
	v_mad_co_u64_u32 v[56:57], null, s6, v5, s[10:11]
	v_add_co_u32 v5, vcc_lo, v3, 14
	v_add3_u32 v39, v15, v39, v6
	v_add3_u32 v49, v15, v49, v6
	v_mul_lo_u32 v6, s6, v8
	s_wait_alu 0xfffd
	v_add_co_ci_u32_e64 v8, null, 0, v4, vcc_lo
	v_mad_co_u64_u32 v[58:59], null, s6, v5, s[8:9]
	v_mul_lo_u32 v10, s7, v5
	v_mad_co_u64_u32 v[60:61], null, s6, v5, s[10:11]
	v_add_co_u32 v5, vcc_lo, v3, 16
	v_mad_co_u64_u32 v[20:21], null, s6, v11, s[8:9]
	v_mul_lo_u32 v13, s7, v11
	v_mad_co_u64_u32 v[46:47], null, s6, v11, s[10:11]
	s_wait_alu 0xfffd
	v_add_co_ci_u32_e64 v11, null, 0, v4, vcc_lo
	v_add3_u32 v53, v7, v53, v6
	v_add3_u32 v57, v7, v57, v6
	v_mul_lo_u32 v7, s7, v5
	s_delay_alu instid0(VALU_DEP_4)
	v_mul_lo_u32 v6, s6, v11
	v_mad_co_u64_u32 v[62:63], null, s6, v5, s[8:9]
	v_mad_co_u64_u32 v[64:65], null, s6, v5, s[10:11]
	v_add_co_u32 v5, vcc_lo, v3, 18
	v_mul_lo_u32 v8, s6, v8
	v_mul_lo_u32 v12, s6, v12
	v_add3_u32 v63, v7, v63, v6
	s_delay_alu instid0(VALU_DEP_4)
	v_mad_co_u64_u32 v[66:67], null, s6, v5, s[8:9]
	v_add3_u32 v65, v7, v65, v6
	s_wait_alu 0xfffd
	v_add_co_ci_u32_e64 v6, null, 0, v4, vcc_lo
	v_mul_lo_u32 v7, s7, v5
	v_mad_co_u64_u32 v[68:69], null, s6, v5, s[10:11]
	s_delay_alu instid0(VALU_DEP_3) | instskip(SKIP_4) | instid1(VALU_DEP_4)
	v_mul_lo_u32 v6, s6, v6
	v_add_co_u32 v5, vcc_lo, v3, 20
	v_add3_u32 v59, v10, v59, v8
	v_add3_u32 v61, v10, v61, v8
	;; [unrolled: 1-line block ×3, first 2 shown]
	v_mad_co_u64_u32 v[70:71], null, s6, v5, s[8:9]
	v_add3_u32 v67, v7, v67, v6
	v_add3_u32 v69, v7, v69, v6
	s_wait_alu 0xfffd
	v_add_co_ci_u32_e64 v6, null, 0, v4, vcc_lo
	v_mul_lo_u32 v7, s7, v5
	v_mad_co_u64_u32 v[72:73], null, s6, v5, s[10:11]
	s_delay_alu instid0(VALU_DEP_3) | instskip(SKIP_3) | instid1(VALU_DEP_3)
	v_mul_lo_u32 v6, s6, v6
	v_add_co_u32 v5, vcc_lo, v3, 22
	v_add3_u32 v47, v13, v47, v12
	v_mad_co_u64_u32 v[44:45], null, s6, v17, s[8:9]
	v_mad_co_u64_u32 v[74:75], null, s6, v5, s[8:9]
	v_add3_u32 v71, v7, v71, v6
	v_add3_u32 v73, v7, v73, v6
	s_wait_alu 0xfffd
	v_add_co_ci_u32_e64 v6, null, 0, v4, vcc_lo
	v_mul_lo_u32 v7, s7, v5
	v_mad_co_u64_u32 v[76:77], null, s6, v5, s[10:11]
	s_delay_alu instid0(VALU_DEP_3) | instskip(SKIP_3) | instid1(VALU_DEP_3)
	v_mul_lo_u32 v6, s6, v6
	v_add_co_u32 v5, vcc_lo, v3, 24
	v_mul_lo_u32 v19, s7, v17
	v_mad_co_u64_u32 v[54:55], null, s6, v17, s[10:11]
	v_mad_co_u64_u32 v[78:79], null, s6, v5, s[8:9]
	v_add3_u32 v75, v7, v75, v6
	v_add3_u32 v77, v7, v77, v6
	s_wait_alu 0xfffd
	v_add_co_ci_u32_e64 v6, null, 0, v4, vcc_lo
	v_mul_lo_u32 v7, s7, v5
	v_mad_co_u64_u32 v[80:81], null, s6, v5, s[10:11]
	s_delay_alu instid0(VALU_DEP_3)
	v_mul_lo_u32 v6, s6, v6
	v_add_co_u32 v5, vcc_lo, v3, 26
	v_mul_lo_u32 v18, s6, v18
	scratch_store_b64 off, v[20:21], off offset:8 ; 8-byte Folded Spill
	s_add_nc_u64 s[16:17], s[0:1], 64
	v_mad_co_u64_u32 v[82:83], null, s6, v5, s[8:9]
	v_add3_u32 v79, v7, v79, v6
	v_add3_u32 v81, v7, v81, v6
	s_wait_alu 0xfffd
	v_add_co_ci_u32_e64 v6, null, 0, v4, vcc_lo
	v_mul_lo_u32 v7, s7, v5
	v_mad_co_u64_u32 v[84:85], null, s6, v5, s[10:11]
	s_delay_alu instid0(VALU_DEP_3) | instskip(SKIP_3) | instid1(VALU_DEP_3)
	v_mul_lo_u32 v6, s6, v6
	v_add_co_u32 v5, vcc_lo, v3, 28
	v_add3_u32 v45, v19, v45, v18
	v_add3_u32 v55, v19, v55, v18
	v_mad_co_u64_u32 v[86:87], null, s6, v5, s[8:9]
	v_add3_u32 v83, v7, v83, v6
	v_add3_u32 v85, v7, v85, v6
	s_wait_alu 0xfffd
	v_add_co_ci_u32_e64 v6, null, 0, v4, vcc_lo
	v_mul_lo_u32 v7, s7, v5
	v_mad_co_u64_u32 v[88:89], null, s6, v5, s[10:11]
	s_delay_alu instid0(VALU_DEP_3) | instskip(SKIP_1) | instid1(VALU_DEP_1)
	v_mul_lo_u32 v6, s6, v6
	v_add_co_u32 v5, vcc_lo, v3, 30
	v_mad_co_u64_u32 v[90:91], null, s6, v5, s[8:9]
	s_delay_alu instid0(VALU_DEP_3)
	v_add3_u32 v87, v7, v87, v6
	v_add3_u32 v89, v7, v89, v6
	s_wait_alu 0xfffd
	v_add_co_ci_u32_e64 v6, null, 0, v4, vcc_lo
	v_mul_lo_u32 v7, s7, v5
	v_mad_co_u64_u32 v[92:93], null, s6, v5, s[10:11]
	s_delay_alu instid0(VALU_DEP_3) | instskip(SKIP_1) | instid1(VALU_DEP_1)
	v_mul_lo_u32 v6, s6, v6
	v_add_co_u32 v5, vcc_lo, v3, 32
	v_mad_co_u64_u32 v[94:95], null, s6, v5, s[8:9]
	s_delay_alu instid0(VALU_DEP_3)
	;; [unrolled: 11-line block ×16, first 2 shown]
	v_add3_u32 v147, v7, v147, v6
	v_add3_u32 v149, v7, v149, v6
	s_wait_alu 0xfffd
	v_add_co_ci_u32_e64 v6, null, 0, v4, vcc_lo
	v_add_co_u32 v3, vcc_lo, v3, 62
	s_wait_alu 0xfffd
	v_add_co_ci_u32_e64 v4, null, 0, v4, vcc_lo
	v_mul_lo_u32 v7, s7, v5
	v_mad_co_u64_u32 v[152:153], null, s6, v5, s[10:11]
	s_delay_alu instid0(VALU_DEP_3)
	v_mul_lo_u32 v4, s6, v4
	v_mul_lo_u32 v5, s7, v3
	v_mad_co_u64_u32 v[154:155], null, s6, v3, s[8:9]
	v_mad_co_u64_u32 v[156:157], null, s6, v3, s[10:11]
	v_mul_lo_u32 v6, s6, v6
	v_add_co_u32 v3, vcc_lo, v0, 31
	s_delay_alu instid0(VALU_DEP_4) | instskip(NEXT) | instid1(VALU_DEP_4)
	v_add3_u32 v155, v5, v155, v4
	v_add3_u32 v157, v5, v157, v4
	s_wait_alu 0xfffd
	v_add_co_ci_u32_e64 v4, null, 0, v9, vcc_lo
	v_add3_u32 v151, v7, v151, v6
	v_add3_u32 v153, v7, v153, v6
	v_mul_lo_u32 v6, s7, v3
	s_delay_alu instid0(VALU_DEP_4) | instskip(SKIP_1) | instid1(VALU_DEP_1)
	v_mul_lo_u32 v5, s6, v4
	v_mad_co_u64_u32 v[3:4], null, s6, v3, 0
	v_add3_u32 v4, v4, v5, v6
	v_add_co_u32 v5, vcc_lo, v0, 30
	s_wait_alu 0xfffd
	v_add_co_ci_u32_e64 v6, null, 0, v9, vcc_lo
	s_delay_alu instid0(VALU_DEP_2) | instskip(NEXT) | instid1(VALU_DEP_2)
	v_mul_lo_u32 v8, s7, v5
	v_mul_lo_u32 v7, s6, v6
	v_mad_co_u64_u32 v[5:6], null, s6, v5, 0
	s_delay_alu instid0(VALU_DEP_1) | instskip(SKIP_3) | instid1(VALU_DEP_2)
	v_add3_u32 v6, v6, v7, v8
	v_add_co_u32 v7, vcc_lo, v0, 29
	s_wait_alu 0xfffd
	v_add_co_ci_u32_e64 v8, null, 0, v9, vcc_lo
	v_mul_lo_u32 v11, s7, v7
	s_delay_alu instid0(VALU_DEP_2) | instskip(SKIP_1) | instid1(VALU_DEP_1)
	v_mul_lo_u32 v10, s6, v8
	v_mad_co_u64_u32 v[7:8], null, s6, v7, 0
	v_add3_u32 v8, v8, v10, v11
	v_add_co_u32 v10, vcc_lo, v0, 28
	s_wait_alu 0xfffd
	v_add_co_ci_u32_e64 v11, null, 0, v9, vcc_lo
	s_delay_alu instid0(VALU_DEP_2) | instskip(NEXT) | instid1(VALU_DEP_2)
	v_mul_lo_u32 v13, s7, v10
	v_mul_lo_u32 v12, s6, v11
	v_mad_co_u64_u32 v[10:11], null, s6, v10, 0
	s_delay_alu instid0(VALU_DEP_1) | instskip(SKIP_3) | instid1(VALU_DEP_2)
	v_add3_u32 v11, v11, v12, v13
	v_add_co_u32 v12, vcc_lo, v0, 27
	s_wait_alu 0xfffd
	v_add_co_ci_u32_e64 v13, null, 0, v9, vcc_lo
	v_mul_lo_u32 v15, s7, v12
	s_delay_alu instid0(VALU_DEP_2) | instskip(SKIP_1) | instid1(VALU_DEP_1)
	;; [unrolled: 17-line block ×8, first 2 shown]
	v_mul_lo_u32 v162, s6, v161
	v_mad_co_u64_u32 v[160:161], null, s6, v160, 0
	v_add3_u32 v161, v161, v162, v163
	v_add_co_u32 v162, vcc_lo, v0, 14
	s_wait_alu 0xfffd
	v_add_co_ci_u32_e64 v163, null, 0, v9, vcc_lo
	s_delay_alu instid0(VALU_DEP_2) | instskip(NEXT) | instid1(VALU_DEP_2)
	v_mul_lo_u32 v165, s7, v162
	v_mul_lo_u32 v164, s6, v163
	v_mad_co_u64_u32 v[162:163], null, s6, v162, 0
	s_delay_alu instid0(VALU_DEP_1) | instskip(SKIP_3) | instid1(VALU_DEP_2)
	v_add3_u32 v163, v163, v164, v165
	v_add_co_u32 v164, vcc_lo, v0, 13
	s_wait_alu 0xfffd
	v_add_co_ci_u32_e64 v165, null, 0, v9, vcc_lo
	v_mul_lo_u32 v166, s7, v164
	v_mad_co_u64_u32 v[168:169], null, s6, v164, 0
	s_delay_alu instid0(VALU_DEP_3) | instskip(SKIP_1) | instid1(VALU_DEP_1)
	v_mul_lo_u32 v165, s6, v165
	v_add_co_u32 v164, vcc_lo, v0, 12
	v_mad_co_u64_u32 v[170:171], null, s6, v164, 0
	s_delay_alu instid0(VALU_DEP_3) | instskip(SKIP_4) | instid1(VALU_DEP_3)
	v_add3_u32 v169, v169, v165, v166
	s_wait_alu 0xfffd
	v_add_co_ci_u32_e64 v165, null, 0, v9, vcc_lo
	v_mul_lo_u32 v166, s7, v164
	v_add_co_u32 v164, vcc_lo, v0, 11
	v_mul_lo_u32 v165, s6, v165
	s_delay_alu instid0(VALU_DEP_2) | instskip(NEXT) | instid1(VALU_DEP_2)
	v_mad_co_u64_u32 v[172:173], null, s6, v164, 0
	v_add3_u32 v171, v171, v165, v166
	s_wait_alu 0xfffd
	v_add_co_ci_u32_e64 v165, null, 0, v9, vcc_lo
	v_mul_lo_u32 v166, s7, v164
	v_add_co_u32 v164, vcc_lo, v0, 10
	s_delay_alu instid0(VALU_DEP_3) | instskip(NEXT) | instid1(VALU_DEP_2)
	v_mul_lo_u32 v165, s6, v165
	v_mad_co_u64_u32 v[174:175], null, s6, v164, 0
	s_delay_alu instid0(VALU_DEP_2) | instskip(SKIP_4) | instid1(VALU_DEP_3)
	v_add3_u32 v173, v173, v165, v166
	s_wait_alu 0xfffd
	v_add_co_ci_u32_e64 v165, null, 0, v9, vcc_lo
	v_mul_lo_u32 v166, s7, v164
	v_add_co_u32 v164, vcc_lo, v0, 9
	v_mul_lo_u32 v165, s6, v165
	s_delay_alu instid0(VALU_DEP_2) | instskip(NEXT) | instid1(VALU_DEP_2)
	v_mad_co_u64_u32 v[176:177], null, s6, v164, 0
	v_add3_u32 v175, v175, v165, v166
	s_wait_alu 0xfffd
	v_add_co_ci_u32_e64 v165, null, 0, v9, vcc_lo
	v_mul_lo_u32 v166, s7, v164
	v_add_co_u32 v164, vcc_lo, v0, 8
	s_delay_alu instid0(VALU_DEP_3) | instskip(NEXT) | instid1(VALU_DEP_2)
	v_mul_lo_u32 v165, s6, v165
	v_mad_co_u64_u32 v[178:179], null, s6, v164, 0
	s_delay_alu instid0(VALU_DEP_2) | instskip(SKIP_4) | instid1(VALU_DEP_3)
	;; [unrolled: 17-line block ×4, first 2 shown]
	v_add3_u32 v185, v185, v165, v166
	s_wait_alu 0xfffd
	v_add_co_ci_u32_e64 v165, null, 0, v9, vcc_lo
	v_mul_lo_u32 v166, s7, v164
	v_add_co_u32 v164, vcc_lo, v0, 3
	v_mul_lo_u32 v165, s6, v165
	s_delay_alu instid0(VALU_DEP_2) | instskip(NEXT) | instid1(VALU_DEP_2)
	v_mad_co_u64_u32 v[189:190], null, s6, v164, 0
	v_add3_u32 v187, v187, v165, v166
	s_wait_alu 0xfffd
	v_add_co_ci_u32_e64 v165, null, 0, v9, vcc_lo
	v_add_co_u32 v0, vcc_lo, v0, 2
	s_wait_alu 0xfffd
	v_add_co_ci_u32_e64 v9, null, 0, v9, vcc_lo
	v_mul_lo_u32 v166, s7, v164
	s_delay_alu instid0(VALU_DEP_3) | instskip(SKIP_1) | instid1(VALU_DEP_4)
	v_mul_lo_u32 v164, s7, v0
	v_mad_co_u64_u32 v[193:194], null, s6, v0, 0
	v_mul_lo_u32 v9, s6, v9
	v_mul_lo_u32 v165, s6, v165
	v_add_co_u32 v197, vcc_lo, v1, s6
	v_lshlrev_b64_e32 v[0:1], 1, v[1:2]
	s_wait_alu 0xfffd
	v_add_co_ci_u32_e64 v198, null, s7, v2, vcc_lo
	v_add3_u32 v194, v194, v9, v164
	v_add3_u32 v190, v190, v165, v166
	s_delay_alu instid0(VALU_DEP_4)
	v_add_co_u32 v164, vcc_lo, s8, v0
	s_wait_alu 0xfffd
	v_add_co_ci_u32_e64 v165, null, s9, v1, vcc_lo
	v_add_co_u32 v166, vcc_lo, s10, v0
	s_wait_alu 0xfffd
	v_add_co_ci_u32_e64 v167, null, s11, v1, vcc_lo
	v_lshlrev_b64_e32 v[0:1], 1, v[3:4]
	s_delay_alu instid0(VALU_DEP_1) | instskip(SKIP_1) | instid1(VALU_DEP_2)
	v_add_co_u32 v222, vcc_lo, s8, v0
	s_wait_alu 0xfffd
	v_add_co_ci_u32_e64 v223, null, s9, v1, vcc_lo
	v_add_co_u32 v224, vcc_lo, s10, v0
	s_wait_alu 0xfffd
	v_add_co_ci_u32_e64 v225, null, s11, v1, vcc_lo
	v_lshlrev_b64_e32 v[0:1], 1, v[5:6]
	s_delay_alu instid0(VALU_DEP_1) | instskip(SKIP_1) | instid1(VALU_DEP_2)
	v_add_co_u32 v226, vcc_lo, s8, v0
	s_wait_alu 0xfffd
	v_add_co_ci_u32_e64 v227, null, s9, v1, vcc_lo
	v_add_co_u32 v228, vcc_lo, s10, v0
	s_wait_alu 0xfffd
	v_add_co_ci_u32_e64 v229, null, s11, v1, vcc_lo
	v_lshlrev_b64_e32 v[0:1], 1, v[7:8]
	s_delay_alu instid0(VALU_DEP_1) | instskip(SKIP_1) | instid1(VALU_DEP_2)
	v_add_co_u32 v230, vcc_lo, s8, v0
	s_wait_alu 0xfffd
	v_add_co_ci_u32_e64 v231, null, s9, v1, vcc_lo
	v_add_co_u32 v232, vcc_lo, s10, v0
	s_wait_alu 0xfffd
	v_add_co_ci_u32_e64 v233, null, s11, v1, vcc_lo
	v_lshlrev_b64_e32 v[0:1], 1, v[10:11]
	s_delay_alu instid0(VALU_DEP_1) | instskip(SKIP_1) | instid1(VALU_DEP_2)
	v_add_co_u32 v234, vcc_lo, s8, v0
	s_wait_alu 0xfffd
	v_add_co_ci_u32_e64 v235, null, s9, v1, vcc_lo
	v_add_co_u32 v236, vcc_lo, s10, v0
	s_wait_alu 0xfffd
	v_add_co_ci_u32_e64 v237, null, s11, v1, vcc_lo
	v_lshlrev_b64_e32 v[0:1], 1, v[12:13]
	s_delay_alu instid0(VALU_DEP_1) | instskip(SKIP_1) | instid1(VALU_DEP_2)
	v_add_co_u32 v238, vcc_lo, s8, v0
	s_wait_alu 0xfffd
	v_add_co_ci_u32_e64 v239, null, s9, v1, vcc_lo
	v_add_co_u32 v240, vcc_lo, s10, v0
	s_wait_alu 0xfffd
	v_add_co_ci_u32_e64 v241, null, s11, v1, vcc_lo
	v_lshlrev_b64_e32 v[0:1], 1, v[14:15]
	s_delay_alu instid0(VALU_DEP_1) | instskip(SKIP_1) | instid1(VALU_DEP_2)
	v_add_co_u32 v242, vcc_lo, s8, v0
	s_wait_alu 0xfffd
	v_add_co_ci_u32_e64 v243, null, s9, v1, vcc_lo
	v_add_co_u32 v244, vcc_lo, s10, v0
	s_wait_alu 0xfffd
	v_add_co_ci_u32_e64 v245, null, s11, v1, vcc_lo
	v_lshlrev_b64_e32 v[0:1], 1, v[16:17]
	s_delay_alu instid0(VALU_DEP_1) | instskip(SKIP_1) | instid1(VALU_DEP_2)
	v_add_co_u32 v246, vcc_lo, s8, v0
	s_wait_alu 0xfffd
	v_add_co_ci_u32_e64 v247, null, s9, v1, vcc_lo
	v_add_co_u32 v248, vcc_lo, s10, v0
	s_wait_alu 0xfffd
	v_add_co_ci_u32_e64 v249, null, s11, v1, vcc_lo
	v_lshlrev_b64_e32 v[0:1], 1, v[18:19]
	s_delay_alu instid0(VALU_DEP_1) | instskip(SKIP_1) | instid1(VALU_DEP_2)
	v_add_co_u32 v250, vcc_lo, s8, v0
	s_wait_alu 0xfffd
	v_add_co_ci_u32_e64 v251, null, s9, v1, vcc_lo
	v_add_co_u32 v252, vcc_lo, s10, v0
	s_wait_alu 0xfffd
	v_add_co_ci_u32_e64 v253, null, s11, v1, vcc_lo
	v_lshlrev_b64_e32 v[0:1], 1, v[20:21]
	s_delay_alu instid0(VALU_DEP_1) | instskip(SKIP_1) | instid1(VALU_DEP_2)
	v_add_co_u32 v254, vcc_lo, s8, v0
	s_wait_alu 0xfffd
	v_add_co_ci_u32_e64 v255, null, s9, v1, vcc_lo
	v_add_co_u32 v2, vcc_lo, s10, v0
	s_wait_alu 0xfffd
	v_add_co_ci_u32_e64 v3, null, s11, v1, vcc_lo
	v_lshlrev_b64_e32 v[0:1], 1, v[22:23]
	s_delay_alu instid0(VALU_DEP_1) | instskip(SKIP_1) | instid1(VALU_DEP_2)
	v_add_co_u32 v4, vcc_lo, s8, v0
	s_wait_alu 0xfffd
	v_add_co_ci_u32_e64 v5, null, s9, v1, vcc_lo
	v_add_co_u32 v6, vcc_lo, s10, v0
	s_wait_alu 0xfffd
	v_add_co_ci_u32_e64 v7, null, s11, v1, vcc_lo
	v_lshlrev_b64_e32 v[0:1], 1, v[24:25]
	s_delay_alu instid0(VALU_DEP_1) | instskip(SKIP_1) | instid1(VALU_DEP_2)
	v_add_co_u32 v8, vcc_lo, s8, v0
	s_wait_alu 0xfffd
	v_add_co_ci_u32_e64 v9, null, s9, v1, vcc_lo
	v_add_co_u32 v10, vcc_lo, s10, v0
	s_wait_alu 0xfffd
	v_add_co_ci_u32_e64 v11, null, s11, v1, vcc_lo
	v_lshlrev_b64_e32 v[0:1], 1, v[26:27]
	s_delay_alu instid0(VALU_DEP_1) | instskip(SKIP_1) | instid1(VALU_DEP_2)
	v_add_co_u32 v12, vcc_lo, s8, v0
	s_wait_alu 0xfffd
	v_add_co_ci_u32_e64 v13, null, s9, v1, vcc_lo
	v_add_co_u32 v14, vcc_lo, s10, v0
	s_wait_alu 0xfffd
	v_add_co_ci_u32_e64 v15, null, s11, v1, vcc_lo
	v_lshlrev_b64_e32 v[0:1], 1, v[28:29]
	s_delay_alu instid0(VALU_DEP_1) | instskip(SKIP_1) | instid1(VALU_DEP_2)
	v_add_co_u32 v16, vcc_lo, s8, v0
	s_wait_alu 0xfffd
	v_add_co_ci_u32_e64 v17, null, s9, v1, vcc_lo
	v_add_co_u32 v18, vcc_lo, s10, v0
	s_wait_alu 0xfffd
	v_add_co_ci_u32_e64 v19, null, s11, v1, vcc_lo
	v_lshlrev_b64_e32 v[0:1], 1, v[30:31]
	s_delay_alu instid0(VALU_DEP_1) | instskip(SKIP_1) | instid1(VALU_DEP_2)
	v_add_co_u32 v20, vcc_lo, s8, v0
	s_wait_alu 0xfffd
	v_add_co_ci_u32_e64 v21, null, s9, v1, vcc_lo
	v_add_co_u32 v22, vcc_lo, s10, v0
	s_wait_alu 0xfffd
	v_add_co_ci_u32_e64 v23, null, s11, v1, vcc_lo
	v_lshlrev_b64_e32 v[0:1], 1, v[32:33]
	s_delay_alu instid0(VALU_DEP_1) | instskip(SKIP_1) | instid1(VALU_DEP_2)
	v_add_co_u32 v24, vcc_lo, s8, v0
	s_wait_alu 0xfffd
	v_add_co_ci_u32_e64 v188, null, s9, v1, vcc_lo
	v_add_co_u32 v25, vcc_lo, s10, v0
	s_wait_alu 0xfffd
	v_add_co_ci_u32_e64 v26, null, s11, v1, vcc_lo
	v_lshlrev_b64_e32 v[0:1], 1, v[158:159]
	s_delay_alu instid0(VALU_DEP_1) | instskip(SKIP_1) | instid1(VALU_DEP_2)
	v_add_co_u32 v191, vcc_lo, s8, v0
	s_wait_alu 0xfffd
	v_add_co_ci_u32_e64 v192, null, s9, v1, vcc_lo
	v_add_co_u32 v27, vcc_lo, s10, v0
	s_wait_alu 0xfffd
	v_add_co_ci_u32_e64 v28, null, s11, v1, vcc_lo
	v_lshlrev_b64_e32 v[0:1], 1, v[160:161]
	s_delay_alu instid0(VALU_DEP_1) | instskip(SKIP_1) | instid1(VALU_DEP_2)
	v_add_co_u32 v195, vcc_lo, s8, v0
	s_wait_alu 0xfffd
	v_add_co_ci_u32_e64 v196, null, s9, v1, vcc_lo
	v_add_co_u32 v29, vcc_lo, s10, v0
	s_wait_alu 0xfffd
	v_add_co_ci_u32_e64 v30, null, s11, v1, vcc_lo
	v_lshlrev_b64_e32 v[0:1], 1, v[162:163]
	v_dual_mov_b32 v162, v2 :: v_dual_mov_b32 v163, v4
	s_delay_alu instid0(VALU_DEP_2) | instskip(SKIP_1) | instid1(VALU_DEP_3)
	v_add_co_u32 v199, vcc_lo, s8, v0
	s_wait_alu 0xfffd
	v_add_co_ci_u32_e64 v200, null, s9, v1, vcc_lo
	v_add_co_u32 v221, vcc_lo, s10, v0
	s_wait_alu 0xfffd
	v_add_co_ci_u32_e64 v0, null, s11, v1, vcc_lo
	scratch_store_b32 off, v0, off offset:16 ; 4-byte Folded Spill
	v_lshlrev_b64_e32 v[0:1], 1, v[168:169]
	v_dual_mov_b32 v169, v6 :: v_dual_mov_b32 v168, v5
	s_delay_alu instid0(VALU_DEP_2)
	v_add_co_u32 v2, vcc_lo, s8, v0
	scratch_store_b32 off, v2, off offset:20 ; 4-byte Folded Spill
	s_wait_alu 0xfffd
	v_add_co_ci_u32_e64 v2, null, s9, v1, vcc_lo
	v_add_co_u32 v0, vcc_lo, s10, v0
	s_clause 0x1
	scratch_store_b32 off, v2, off offset:24
	scratch_store_b32 off, v0, off offset:28
	s_wait_alu 0xfffd
	v_add_co_ci_u32_e64 v0, null, s11, v1, vcc_lo
	scratch_store_b32 off, v0, off offset:32 ; 4-byte Folded Spill
	v_lshlrev_b64_e32 v[0:1], 1, v[170:171]
	v_dual_mov_b32 v171, v8 :: v_dual_mov_b32 v170, v7
	s_delay_alu instid0(VALU_DEP_2)
	v_add_co_u32 v2, vcc_lo, s8, v0
	scratch_store_b32 off, v2, off offset:36 ; 4-byte Folded Spill
	s_wait_alu 0xfffd
	v_add_co_ci_u32_e64 v2, null, s9, v1, vcc_lo
	v_add_co_u32 v0, vcc_lo, s10, v0
	s_clause 0x1
	scratch_store_b32 off, v2, off offset:40
	scratch_store_b32 off, v0, off offset:44
	;; [unrolled: 14-line block ×3, first 2 shown]
	s_wait_alu 0xfffd
	v_add_co_ci_u32_e64 v0, null, s11, v1, vcc_lo
	scratch_store_b32 off, v0, off offset:64 ; 4-byte Folded Spill
	v_lshlrev_b64_e32 v[0:1], 1, v[174:175]
	v_dual_mov_b32 v175, v12 :: v_dual_mov_b32 v174, v11
	s_delay_alu instid0(VALU_DEP_2)
	v_add_co_u32 v2, vcc_lo, s8, v0
	scratch_store_b32 off, v2, off offset:68 ; 4-byte Folded Spill
	s_wait_alu 0xfffd
	v_add_co_ci_u32_e64 v2, null, s9, v1, vcc_lo
	v_add_co_u32 v0, vcc_lo, s10, v0
	s_wait_alu 0xfffd
	v_add_co_ci_u32_e64 v1, null, s11, v1, vcc_lo
	s_clause 0x1
	scratch_store_b32 off, v2, off offset:72
	scratch_store_b32 off, v0, off offset:76
	v_mov_b32_e32 v0, v3
	scratch_store_b32 off, v1, off offset:80 ; 4-byte Folded Spill
	v_lshlrev_b64_e32 v[1:2], 1, v[176:177]
	v_dual_mov_b32 v177, v14 :: v_dual_mov_b32 v176, v13
	s_delay_alu instid0(VALU_DEP_2)
	v_add_co_u32 v3, vcc_lo, s8, v1
	scratch_store_b32 off, v3, off offset:84 ; 4-byte Folded Spill
	s_wait_alu 0xfffd
	v_add_co_ci_u32_e64 v3, null, s9, v2, vcc_lo
	v_add_co_u32 v1, vcc_lo, s10, v1
	s_clause 0x1
	scratch_store_b32 off, v3, off offset:88
	scratch_store_b32 off, v1, off offset:92
	s_wait_alu 0xfffd
	v_add_co_ci_u32_e64 v1, null, s11, v2, vcc_lo
	scratch_store_b32 off, v1, off offset:96 ; 4-byte Folded Spill
	v_lshlrev_b64_e32 v[1:2], 1, v[178:179]
	v_dual_mov_b32 v179, v16 :: v_dual_mov_b32 v178, v15
	s_delay_alu instid0(VALU_DEP_2)
	v_add_co_u32 v3, vcc_lo, s8, v1
	scratch_store_b32 off, v3, off offset:100 ; 4-byte Folded Spill
	s_wait_alu 0xfffd
	v_add_co_ci_u32_e64 v3, null, s9, v2, vcc_lo
	v_add_co_u32 v1, vcc_lo, s10, v1
	s_clause 0x1
	scratch_store_b32 off, v3, off offset:104
	scratch_store_b32 off, v1, off offset:108
	s_wait_alu 0xfffd
	v_add_co_ci_u32_e64 v1, null, s11, v2, vcc_lo
	;; [unrolled: 14-line block ×8, first 2 shown]
	scratch_store_b32 off, v1, off offset:208 ; 4-byte Folded Spill
	v_lshlrev_b64_e32 v[1:2], 1, v[197:198]
	v_dual_mov_b32 v198, v30 :: v_dual_mov_b32 v197, v29
	s_delay_alu instid0(VALU_DEP_2)
	v_add_co_u32 v3, vcc_lo, s8, v1
	s_load_b32 s8, s[0:1], 0x44
	scratch_store_b32 off, v3, off offset:212 ; 4-byte Folded Spill
	v_add_co_ci_u32_e64 v3, null, s9, v2, vcc_lo
	v_add_co_u32 v1, vcc_lo, s10, v1
	s_mov_b32 s9, 0
	s_clause 0x1
	scratch_store_b32 off, v3, off offset:216
	scratch_store_b32 off, v1, off offset:220
	s_wait_alu 0xfffd
	v_add_co_ci_u32_e64 v1, null, s11, v2, vcc_lo
	s_wait_alu 0xfffe
	s_mov_b32 s11, s9
	scratch_store_b32 off, v1, off offset:224 ; 4-byte Folded Spill
	v_and_b32_e32 v1, 0x3ff, v208
	s_wait_kmcnt 0x0
	s_lshl_b32 s10, s8, 5
	s_wait_alu 0xfffe
	s_mul_u64 s[18:19], s[6:7], s[10:11]
	scratch_store_b32 off, v1, off offset:304 ; 4-byte Folded Spill
	v_dual_mov_b32 v1, 0 :: v_dual_add_nc_u32 v2, s28, v1
	s_wait_alu 0xfffe
	s_lshl_b64 s[18:19], s[18:19], 1
	s_delay_alu instid0(VALU_DEP_1) | instskip(SKIP_1) | instid1(VALU_DEP_2)
	v_mov_b32_e32 v3, v1
	v_mov_b32_e32 v201, v1
	v_lshlrev_b64_e32 v[158:159], 1, v[2:3]
.LBB189_145:                            ; =>This Inner Loop Header: Depth=1
	s_add_nc_u64 s[24:25], s[14:15], s[20:21]
	v_add_co_u32 v160, vcc_lo, s14, v220
	s_wait_alu 0xfffe
	v_cmp_ge_i64_e64 s8, s[24:25], s[4:5]
	s_wait_alu 0xfffd
	v_add_co_ci_u32_e64 v161, null, 0, v201, vcc_lo
                                        ; implicit-def: $vgpr202
	s_and_b32 vcc_lo, exec_lo, s8
	s_mov_b32 s8, -1
	s_wait_alu 0xfffe
	s_cbranch_vccz .LBB189_213
; %bb.146:                              ;   in Loop: Header=BB189_145 Depth=1
	s_load_b32 s8, s[16:17], 0xc
	s_clause 0x1
	scratch_load_b32 v2, off, off offset:300
	scratch_load_b32 v3, off, off offset:304
	v_dual_mov_b32 v4, 0 :: v_dual_mov_b32 v203, 0
	scratch_store_b32 off, v4, off offset:228 ; 4-byte Folded Spill
	s_wait_kmcnt 0x0
	s_and_b32 s8, s8, 0xffff
	s_wait_loadcnt 0x0
	s_wait_alu 0xfffe
	v_mad_u32_u24 v2, v2, s8, v3
	s_mov_b32 s8, exec_lo
	s_delay_alu instid0(VALU_DEP_1) | instskip(NEXT) | instid1(VALU_DEP_1)
	v_and_b32_e32 v2, 31, v2
	v_add_co_u32 v2, vcc_lo, v160, v2
	s_wait_alu 0xfffd
	v_add_co_ci_u32_e64 v3, null, 0, v161, vcc_lo
	s_delay_alu instid0(VALU_DEP_1)
	v_cmpx_gt_i64_e64 s[4:5], v[2:3]
	s_cbranch_execz .LBB189_148
; %bb.147:                              ;   in Loop: Header=BB189_145 Depth=1
	v_lshlrev_b64_e32 v[2:3], 2, v[2:3]
	s_delay_alu instid0(VALU_DEP_1) | instskip(SKIP_1) | instid1(VALU_DEP_2)
	v_add_co_u32 v2, vcc_lo, s12, v2
	s_wait_alu 0xfffd
	v_add_co_ci_u32_e64 v3, null, s13, v3, vcc_lo
	global_load_b32 v203, v[2:3], off
.LBB189_148:                            ;   in Loop: Header=BB189_145 Depth=1
	s_wait_alu 0xfffe
	s_or_b32 exec_lo, exec_lo, s8
	v_mov_b32_e32 v32, v1
	v_dual_mov_b32 v2, v1 :: v_dual_mov_b32 v3, v1
	v_dual_mov_b32 v4, v1 :: v_dual_mov_b32 v5, v1
	;; [unrolled: 1-line block ×15, first 2 shown]
	v_mov_b32_e32 v33, v32
	s_delay_alu instid0(VALU_DEP_2) | instskip(NEXT) | instid1(VALU_DEP_3)
	v_mov_b32_e32 v32, v31
	v_mov_b32_e32 v31, v30
	;; [unrolled: 1-line block ×31, first 2 shown]
	s_mov_b32 s8, exec_lo
	v_cmpx_gt_i64_e64 s[4:5], v[160:161]
	s_cbranch_execz .LBB189_150
; %bb.149:                              ;   in Loop: Header=BB189_145 Depth=1
	v_add_co_u32 v2, vcc_lo, v164, v158
	s_wait_alu 0xfffd
	v_add_co_ci_u32_e64 v3, null, v165, v159, vcc_lo
	v_dual_mov_b32 v6, v1 :: v_dual_mov_b32 v7, v1
	v_dual_mov_b32 v8, v1 :: v_dual_mov_b32 v9, v1
	global_load_u16 v4, v[2:3], off
	v_add_co_u32 v2, vcc_lo, v166, v158
	s_wait_alu 0xfffd
	v_add_co_ci_u32_e64 v3, null, v167, v159, vcc_lo
	v_dual_mov_b32 v10, v1 :: v_dual_mov_b32 v11, v1
	v_dual_mov_b32 v12, v1 :: v_dual_mov_b32 v13, v1
	global_load_u16 v202, v[2:3], off
	v_dual_mov_b32 v14, v1 :: v_dual_mov_b32 v15, v1
	v_dual_mov_b32 v16, v1 :: v_dual_mov_b32 v17, v1
	;; [unrolled: 1-line block ×10, first 2 shown]
	v_mov_b32_e32 v3, v1
	s_wait_loadcnt 0x1
	v_dual_mov_b32 v5, v1 :: v_dual_lshlrev_b32 v2, 16, v4
	v_mov_b32_e32 v4, v1
	s_wait_loadcnt 0x0
	v_lshlrev_b32_e32 v202, 16, v202
	scratch_store_b32 off, v202, off offset:228 ; 4-byte Folded Spill
.LBB189_150:                            ;   in Loop: Header=BB189_145 Depth=1
	s_wait_alu 0xfffe
	s_or_b32 exec_lo, exec_lo, s8
	v_mov_b32_e32 v202, 0
	v_add_co_u32 v205, vcc_lo, v160, 1
	s_wait_alu 0xfffd
	v_add_co_ci_u32_e64 v206, null, 0, v161, vcc_lo
	scratch_store_b32 off, v202, off offset:232 ; 4-byte Folded Spill
	v_mov_b32_e32 v202, 0
	s_mov_b32 s8, exec_lo
	scratch_store_b32 off, v202, off offset:236 ; 4-byte Folded Spill
	v_cmpx_gt_i64_e64 s[4:5], v[205:206]
	s_cbranch_execz .LBB189_152
; %bb.151:                              ;   in Loop: Header=BB189_145 Depth=1
	scratch_load_b32 v3, off, off offset:220 ; 4-byte Folded Reload
	s_wait_loadcnt 0x0
	v_add_co_u32 v205, vcc_lo, v3, v158
	scratch_load_b32 v3, off, off offset:224 ; 4-byte Folded Reload
	s_wait_loadcnt 0x0
	s_wait_alu 0xfffd
	v_add_co_ci_u32_e64 v206, null, v3, v159, vcc_lo
	scratch_load_b32 v3, off, off offset:212 ; 4-byte Folded Reload
	s_wait_loadcnt 0x0
	v_add_co_u32 v207, vcc_lo, v3, v158
	scratch_load_b32 v3, off, off offset:216 ; 4-byte Folded Reload
	s_wait_loadcnt 0x0
	s_wait_alu 0xfffd
	v_add_co_ci_u32_e64 v208, null, v3, v159, vcc_lo
	global_load_u16 v3, v[205:206], off
	global_load_u16 v202, v[207:208], off
	s_wait_loadcnt 0x1
	v_lshlrev_b32_e32 v3, 16, v3
	scratch_store_b32 off, v3, off offset:236 ; 4-byte Folded Spill
	s_wait_loadcnt 0x0
	v_lshlrev_b32_e32 v3, 16, v202
.LBB189_152:                            ;   in Loop: Header=BB189_145 Depth=1
	s_wait_alu 0xfffe
	s_or_b32 exec_lo, exec_lo, s8
	v_add_co_u32 v205, vcc_lo, v160, 2
	s_wait_alu 0xfffd
	v_add_co_ci_u32_e64 v206, null, 0, v161, vcc_lo
	s_mov_b32 s8, exec_lo
	v_cmpx_gt_i64_e64 s[4:5], v[205:206]
	s_cbranch_execz .LBB189_154
; %bb.153:                              ;   in Loop: Header=BB189_145 Depth=1
	scratch_load_b32 v4, off, off offset:204 ; 4-byte Folded Reload
	s_wait_loadcnt 0x0
	v_add_co_u32 v205, vcc_lo, v4, v158
	scratch_load_b32 v4, off, off offset:208 ; 4-byte Folded Reload
	s_wait_loadcnt 0x0
	s_wait_alu 0xfffd
	v_add_co_ci_u32_e64 v206, null, v4, v159, vcc_lo
	scratch_load_b32 v4, off, off offset:196 ; 4-byte Folded Reload
	s_wait_loadcnt 0x0
	v_add_co_u32 v207, vcc_lo, v4, v158
	scratch_load_b32 v4, off, off offset:200 ; 4-byte Folded Reload
	s_wait_loadcnt 0x0
	s_wait_alu 0xfffd
	v_add_co_ci_u32_e64 v208, null, v4, v159, vcc_lo
	global_load_u16 v4, v[205:206], off
	global_load_u16 v202, v[207:208], off
	s_wait_loadcnt 0x1
	v_lshlrev_b32_e32 v4, 16, v4
	scratch_store_b32 off, v4, off offset:232 ; 4-byte Folded Spill
	s_wait_loadcnt 0x0
	v_lshlrev_b32_e32 v4, 16, v202
.LBB189_154:                            ;   in Loop: Header=BB189_145 Depth=1
	s_wait_alu 0xfffe
	s_or_b32 exec_lo, exec_lo, s8
	v_mov_b32_e32 v202, 0
	v_add_co_u32 v205, vcc_lo, v160, 3
	s_wait_alu 0xfffd
	v_add_co_ci_u32_e64 v206, null, 0, v161, vcc_lo
	scratch_store_b32 off, v202, off offset:240 ; 4-byte Folded Spill
	v_mov_b32_e32 v202, 0
	s_mov_b32 s8, exec_lo
	scratch_store_b32 off, v202, off offset:244 ; 4-byte Folded Spill
	v_cmpx_gt_i64_e64 s[4:5], v[205:206]
	s_cbranch_execz .LBB189_156
; %bb.155:                              ;   in Loop: Header=BB189_145 Depth=1
	scratch_load_b32 v5, off, off offset:188 ; 4-byte Folded Reload
	s_wait_loadcnt 0x0
	v_add_co_u32 v205, vcc_lo, v5, v158
	scratch_load_b32 v5, off, off offset:192 ; 4-byte Folded Reload
	s_wait_loadcnt 0x0
	s_wait_alu 0xfffd
	v_add_co_ci_u32_e64 v206, null, v5, v159, vcc_lo
	scratch_load_b32 v5, off, off offset:180 ; 4-byte Folded Reload
	s_wait_loadcnt 0x0
	v_add_co_u32 v207, vcc_lo, v5, v158
	scratch_load_b32 v5, off, off offset:184 ; 4-byte Folded Reload
	s_wait_loadcnt 0x0
	s_wait_alu 0xfffd
	v_add_co_ci_u32_e64 v208, null, v5, v159, vcc_lo
	global_load_u16 v5, v[205:206], off
	global_load_u16 v202, v[207:208], off
	s_wait_loadcnt 0x1
	v_lshlrev_b32_e32 v5, 16, v5
	scratch_store_b32 off, v5, off offset:244 ; 4-byte Folded Spill
	s_wait_loadcnt 0x0
	v_lshlrev_b32_e32 v5, 16, v202
.LBB189_156:                            ;   in Loop: Header=BB189_145 Depth=1
	s_wait_alu 0xfffe
	s_or_b32 exec_lo, exec_lo, s8
	v_add_co_u32 v205, vcc_lo, v160, 4
	s_wait_alu 0xfffd
	v_add_co_ci_u32_e64 v206, null, 0, v161, vcc_lo
	s_mov_b32 s8, exec_lo
	v_cmpx_gt_i64_e64 s[4:5], v[205:206]
	s_cbranch_execz .LBB189_158
; %bb.157:                              ;   in Loop: Header=BB189_145 Depth=1
	scratch_load_b32 v6, off, off offset:172 ; 4-byte Folded Reload
	s_wait_loadcnt 0x0
	v_add_co_u32 v205, vcc_lo, v6, v158
	scratch_load_b32 v6, off, off offset:176 ; 4-byte Folded Reload
	s_wait_loadcnt 0x0
	s_wait_alu 0xfffd
	v_add_co_ci_u32_e64 v206, null, v6, v159, vcc_lo
	scratch_load_b32 v6, off, off offset:164 ; 4-byte Folded Reload
	s_wait_loadcnt 0x0
	v_add_co_u32 v207, vcc_lo, v6, v158
	scratch_load_b32 v6, off, off offset:168 ; 4-byte Folded Reload
	s_wait_loadcnt 0x0
	s_wait_alu 0xfffd
	v_add_co_ci_u32_e64 v208, null, v6, v159, vcc_lo
	global_load_u16 v6, v[205:206], off
	global_load_u16 v202, v[207:208], off
	s_wait_loadcnt 0x1
	v_lshlrev_b32_e32 v6, 16, v6
	scratch_store_b32 off, v6, off offset:240 ; 4-byte Folded Spill
	s_wait_loadcnt 0x0
	v_lshlrev_b32_e32 v6, 16, v202
.LBB189_158:                            ;   in Loop: Header=BB189_145 Depth=1
	s_wait_alu 0xfffe
	s_or_b32 exec_lo, exec_lo, s8
	v_mov_b32_e32 v202, 0
	v_add_co_u32 v205, vcc_lo, v160, 5
	s_wait_alu 0xfffd
	v_add_co_ci_u32_e64 v206, null, 0, v161, vcc_lo
	scratch_store_b32 off, v202, off offset:248 ; 4-byte Folded Spill
	v_mov_b32_e32 v202, 0
	s_mov_b32 s8, exec_lo
	scratch_store_b32 off, v202, off offset:252 ; 4-byte Folded Spill
	v_cmpx_gt_i64_e64 s[4:5], v[205:206]
	s_cbranch_execz .LBB189_160
; %bb.159:                              ;   in Loop: Header=BB189_145 Depth=1
	scratch_load_b32 v7, off, off offset:156 ; 4-byte Folded Reload
	s_wait_loadcnt 0x0
	v_add_co_u32 v205, vcc_lo, v7, v158
	scratch_load_b32 v7, off, off offset:160 ; 4-byte Folded Reload
	s_wait_loadcnt 0x0
	s_wait_alu 0xfffd
	v_add_co_ci_u32_e64 v206, null, v7, v159, vcc_lo
	scratch_load_b32 v7, off, off offset:148 ; 4-byte Folded Reload
	s_wait_loadcnt 0x0
	v_add_co_u32 v207, vcc_lo, v7, v158
	scratch_load_b32 v7, off, off offset:152 ; 4-byte Folded Reload
	s_wait_loadcnt 0x0
	s_wait_alu 0xfffd
	v_add_co_ci_u32_e64 v208, null, v7, v159, vcc_lo
	global_load_u16 v7, v[205:206], off
	global_load_u16 v202, v[207:208], off
	s_wait_loadcnt 0x1
	v_lshlrev_b32_e32 v7, 16, v7
	scratch_store_b32 off, v7, off offset:252 ; 4-byte Folded Spill
	s_wait_loadcnt 0x0
	v_lshlrev_b32_e32 v7, 16, v202
.LBB189_160:                            ;   in Loop: Header=BB189_145 Depth=1
	s_wait_alu 0xfffe
	s_or_b32 exec_lo, exec_lo, s8
	v_add_co_u32 v205, vcc_lo, v160, 6
	s_wait_alu 0xfffd
	v_add_co_ci_u32_e64 v206, null, 0, v161, vcc_lo
	s_mov_b32 s8, exec_lo
	v_cmpx_gt_i64_e64 s[4:5], v[205:206]
	s_cbranch_execz .LBB189_162
; %bb.161:                              ;   in Loop: Header=BB189_145 Depth=1
	scratch_load_b32 v8, off, off offset:140 ; 4-byte Folded Reload
	s_wait_loadcnt 0x0
	v_add_co_u32 v205, vcc_lo, v8, v158
	scratch_load_b32 v8, off, off offset:144 ; 4-byte Folded Reload
	s_wait_loadcnt 0x0
	s_wait_alu 0xfffd
	v_add_co_ci_u32_e64 v206, null, v8, v159, vcc_lo
	scratch_load_b32 v8, off, off offset:132 ; 4-byte Folded Reload
	s_wait_loadcnt 0x0
	v_add_co_u32 v207, vcc_lo, v8, v158
	scratch_load_b32 v8, off, off offset:136 ; 4-byte Folded Reload
	s_wait_loadcnt 0x0
	s_wait_alu 0xfffd
	v_add_co_ci_u32_e64 v208, null, v8, v159, vcc_lo
	global_load_u16 v8, v[205:206], off
	global_load_u16 v202, v[207:208], off
	s_wait_loadcnt 0x1
	v_lshlrev_b32_e32 v8, 16, v8
	scratch_store_b32 off, v8, off offset:248 ; 4-byte Folded Spill
	s_wait_loadcnt 0x0
	v_lshlrev_b32_e32 v8, 16, v202
.LBB189_162:                            ;   in Loop: Header=BB189_145 Depth=1
	s_wait_alu 0xfffe
	s_or_b32 exec_lo, exec_lo, s8
	v_mov_b32_e32 v202, 0
	v_add_co_u32 v205, vcc_lo, v160, 7
	s_wait_alu 0xfffd
	v_add_co_ci_u32_e64 v206, null, 0, v161, vcc_lo
	scratch_store_b32 off, v202, off offset:256 ; 4-byte Folded Spill
	v_mov_b32_e32 v202, 0
	s_mov_b32 s8, exec_lo
	scratch_store_b32 off, v202, off offset:260 ; 4-byte Folded Spill
	v_cmpx_gt_i64_e64 s[4:5], v[205:206]
	s_cbranch_execz .LBB189_164
; %bb.163:                              ;   in Loop: Header=BB189_145 Depth=1
	scratch_load_b32 v9, off, off offset:124 ; 4-byte Folded Reload
	s_wait_loadcnt 0x0
	v_add_co_u32 v205, vcc_lo, v9, v158
	scratch_load_b32 v9, off, off offset:128 ; 4-byte Folded Reload
	s_wait_loadcnt 0x0
	s_wait_alu 0xfffd
	v_add_co_ci_u32_e64 v206, null, v9, v159, vcc_lo
	scratch_load_b32 v9, off, off offset:116 ; 4-byte Folded Reload
	s_wait_loadcnt 0x0
	v_add_co_u32 v207, vcc_lo, v9, v158
	scratch_load_b32 v9, off, off offset:120 ; 4-byte Folded Reload
	s_wait_loadcnt 0x0
	s_wait_alu 0xfffd
	v_add_co_ci_u32_e64 v208, null, v9, v159, vcc_lo
	global_load_u16 v9, v[205:206], off
	global_load_u16 v202, v[207:208], off
	s_wait_loadcnt 0x1
	v_lshlrev_b32_e32 v9, 16, v9
	scratch_store_b32 off, v9, off offset:260 ; 4-byte Folded Spill
	s_wait_loadcnt 0x0
	v_lshlrev_b32_e32 v9, 16, v202
.LBB189_164:                            ;   in Loop: Header=BB189_145 Depth=1
	s_wait_alu 0xfffe
	s_or_b32 exec_lo, exec_lo, s8
	v_add_co_u32 v205, vcc_lo, v160, 8
	s_wait_alu 0xfffd
	v_add_co_ci_u32_e64 v206, null, 0, v161, vcc_lo
	s_mov_b32 s8, exec_lo
	v_cmpx_gt_i64_e64 s[4:5], v[205:206]
	s_cbranch_execz .LBB189_166
; %bb.165:                              ;   in Loop: Header=BB189_145 Depth=1
	scratch_load_b32 v10, off, off offset:108 ; 4-byte Folded Reload
	s_wait_loadcnt 0x0
	v_add_co_u32 v205, vcc_lo, v10, v158
	scratch_load_b32 v10, off, off offset:112 ; 4-byte Folded Reload
	s_wait_loadcnt 0x0
	s_wait_alu 0xfffd
	v_add_co_ci_u32_e64 v206, null, v10, v159, vcc_lo
	scratch_load_b32 v10, off, off offset:100 ; 4-byte Folded Reload
	s_wait_loadcnt 0x0
	v_add_co_u32 v207, vcc_lo, v10, v158
	scratch_load_b32 v10, off, off offset:104 ; 4-byte Folded Reload
	s_wait_loadcnt 0x0
	s_wait_alu 0xfffd
	v_add_co_ci_u32_e64 v208, null, v10, v159, vcc_lo
	global_load_u16 v10, v[205:206], off
	global_load_u16 v202, v[207:208], off
	s_wait_loadcnt 0x1
	v_lshlrev_b32_e32 v10, 16, v10
	scratch_store_b32 off, v10, off offset:256 ; 4-byte Folded Spill
	s_wait_loadcnt 0x0
	v_lshlrev_b32_e32 v10, 16, v202
.LBB189_166:                            ;   in Loop: Header=BB189_145 Depth=1
	s_wait_alu 0xfffe
	s_or_b32 exec_lo, exec_lo, s8
	v_mov_b32_e32 v202, 0
	v_add_co_u32 v205, vcc_lo, v160, 9
	s_wait_alu 0xfffd
	v_add_co_ci_u32_e64 v206, null, 0, v161, vcc_lo
	scratch_store_b32 off, v202, off offset:264 ; 4-byte Folded Spill
	v_mov_b32_e32 v202, 0
	s_mov_b32 s8, exec_lo
	scratch_store_b32 off, v202, off offset:268 ; 4-byte Folded Spill
	v_cmpx_gt_i64_e64 s[4:5], v[205:206]
	s_cbranch_execz .LBB189_168
; %bb.167:                              ;   in Loop: Header=BB189_145 Depth=1
	scratch_load_b32 v11, off, off offset:92 ; 4-byte Folded Reload
	s_wait_loadcnt 0x0
	v_add_co_u32 v205, vcc_lo, v11, v158
	scratch_load_b32 v11, off, off offset:96 ; 4-byte Folded Reload
	s_wait_loadcnt 0x0
	s_wait_alu 0xfffd
	v_add_co_ci_u32_e64 v206, null, v11, v159, vcc_lo
	scratch_load_b32 v11, off, off offset:84 ; 4-byte Folded Reload
	s_wait_loadcnt 0x0
	v_add_co_u32 v207, vcc_lo, v11, v158
	scratch_load_b32 v11, off, off offset:88 ; 4-byte Folded Reload
	s_wait_loadcnt 0x0
	s_wait_alu 0xfffd
	v_add_co_ci_u32_e64 v208, null, v11, v159, vcc_lo
	global_load_u16 v11, v[205:206], off
	global_load_u16 v202, v[207:208], off
	s_wait_loadcnt 0x1
	v_lshlrev_b32_e32 v11, 16, v11
	scratch_store_b32 off, v11, off offset:268 ; 4-byte Folded Spill
	s_wait_loadcnt 0x0
	v_lshlrev_b32_e32 v11, 16, v202
.LBB189_168:                            ;   in Loop: Header=BB189_145 Depth=1
	s_wait_alu 0xfffe
	s_or_b32 exec_lo, exec_lo, s8
	v_add_co_u32 v205, vcc_lo, v160, 10
	s_wait_alu 0xfffd
	v_add_co_ci_u32_e64 v206, null, 0, v161, vcc_lo
	s_mov_b32 s8, exec_lo
	v_cmpx_gt_i64_e64 s[4:5], v[205:206]
	s_cbranch_execz .LBB189_170
; %bb.169:                              ;   in Loop: Header=BB189_145 Depth=1
	scratch_load_b32 v12, off, off offset:76 ; 4-byte Folded Reload
	s_wait_loadcnt 0x0
	v_add_co_u32 v205, vcc_lo, v12, v158
	scratch_load_b32 v12, off, off offset:80 ; 4-byte Folded Reload
	s_wait_loadcnt 0x0
	s_wait_alu 0xfffd
	v_add_co_ci_u32_e64 v206, null, v12, v159, vcc_lo
	scratch_load_b32 v12, off, off offset:68 ; 4-byte Folded Reload
	s_wait_loadcnt 0x0
	v_add_co_u32 v207, vcc_lo, v12, v158
	scratch_load_b32 v12, off, off offset:72 ; 4-byte Folded Reload
	s_wait_loadcnt 0x0
	s_wait_alu 0xfffd
	v_add_co_ci_u32_e64 v208, null, v12, v159, vcc_lo
	global_load_u16 v12, v[205:206], off
	global_load_u16 v202, v[207:208], off
	s_wait_loadcnt 0x1
	v_lshlrev_b32_e32 v12, 16, v12
	scratch_store_b32 off, v12, off offset:264 ; 4-byte Folded Spill
	s_wait_loadcnt 0x0
	v_lshlrev_b32_e32 v12, 16, v202
.LBB189_170:                            ;   in Loop: Header=BB189_145 Depth=1
	s_wait_alu 0xfffe
	s_or_b32 exec_lo, exec_lo, s8
	v_mov_b32_e32 v202, 0
	v_add_co_u32 v205, vcc_lo, v160, 11
	s_wait_alu 0xfffd
	v_add_co_ci_u32_e64 v206, null, 0, v161, vcc_lo
	scratch_store_b32 off, v202, off offset:272 ; 4-byte Folded Spill
	v_mov_b32_e32 v202, 0
	s_mov_b32 s8, exec_lo
	scratch_store_b32 off, v202, off offset:276 ; 4-byte Folded Spill
	v_cmpx_gt_i64_e64 s[4:5], v[205:206]
	s_cbranch_execz .LBB189_172
; %bb.171:                              ;   in Loop: Header=BB189_145 Depth=1
	scratch_load_b32 v13, off, off offset:60 ; 4-byte Folded Reload
	s_wait_loadcnt 0x0
	v_add_co_u32 v205, vcc_lo, v13, v158
	scratch_load_b32 v13, off, off offset:64 ; 4-byte Folded Reload
	s_wait_loadcnt 0x0
	s_wait_alu 0xfffd
	v_add_co_ci_u32_e64 v206, null, v13, v159, vcc_lo
	scratch_load_b32 v13, off, off offset:52 ; 4-byte Folded Reload
	s_wait_loadcnt 0x0
	v_add_co_u32 v207, vcc_lo, v13, v158
	scratch_load_b32 v13, off, off offset:56 ; 4-byte Folded Reload
	s_wait_loadcnt 0x0
	s_wait_alu 0xfffd
	v_add_co_ci_u32_e64 v208, null, v13, v159, vcc_lo
	global_load_u16 v13, v[205:206], off
	global_load_u16 v202, v[207:208], off
	s_wait_loadcnt 0x1
	v_lshlrev_b32_e32 v13, 16, v13
	scratch_store_b32 off, v13, off offset:276 ; 4-byte Folded Spill
	s_wait_loadcnt 0x0
	v_lshlrev_b32_e32 v13, 16, v202
.LBB189_172:                            ;   in Loop: Header=BB189_145 Depth=1
	s_wait_alu 0xfffe
	s_or_b32 exec_lo, exec_lo, s8
	v_add_co_u32 v205, vcc_lo, v160, 12
	s_wait_alu 0xfffd
	v_add_co_ci_u32_e64 v206, null, 0, v161, vcc_lo
	s_mov_b32 s8, exec_lo
	v_cmpx_gt_i64_e64 s[4:5], v[205:206]
	s_cbranch_execz .LBB189_174
; %bb.173:                              ;   in Loop: Header=BB189_145 Depth=1
	scratch_load_b32 v14, off, off offset:44 ; 4-byte Folded Reload
	s_wait_loadcnt 0x0
	v_add_co_u32 v205, vcc_lo, v14, v158
	scratch_load_b32 v14, off, off offset:48 ; 4-byte Folded Reload
	s_wait_loadcnt 0x0
	s_wait_alu 0xfffd
	v_add_co_ci_u32_e64 v206, null, v14, v159, vcc_lo
	scratch_load_b32 v14, off, off offset:36 ; 4-byte Folded Reload
	s_wait_loadcnt 0x0
	v_add_co_u32 v207, vcc_lo, v14, v158
	scratch_load_b32 v14, off, off offset:40 ; 4-byte Folded Reload
	s_wait_loadcnt 0x0
	s_wait_alu 0xfffd
	v_add_co_ci_u32_e64 v208, null, v14, v159, vcc_lo
	global_load_u16 v14, v[205:206], off
	global_load_u16 v202, v[207:208], off
	s_wait_loadcnt 0x1
	v_lshlrev_b32_e32 v14, 16, v14
	scratch_store_b32 off, v14, off offset:272 ; 4-byte Folded Spill
	s_wait_loadcnt 0x0
	v_lshlrev_b32_e32 v14, 16, v202
.LBB189_174:                            ;   in Loop: Header=BB189_145 Depth=1
	s_wait_alu 0xfffe
	s_or_b32 exec_lo, exec_lo, s8
	v_mov_b32_e32 v202, 0
	v_add_co_u32 v205, vcc_lo, v160, 13
	s_wait_alu 0xfffd
	v_add_co_ci_u32_e64 v206, null, 0, v161, vcc_lo
	scratch_store_b32 off, v202, off offset:280 ; 4-byte Folded Spill
	v_mov_b32_e32 v202, 0
	s_mov_b32 s8, exec_lo
	scratch_store_b32 off, v202, off offset:284 ; 4-byte Folded Spill
	v_cmpx_gt_i64_e64 s[4:5], v[205:206]
	s_cbranch_execz .LBB189_176
; %bb.175:                              ;   in Loop: Header=BB189_145 Depth=1
	scratch_load_b32 v15, off, off offset:28 ; 4-byte Folded Reload
	s_wait_loadcnt 0x0
	v_add_co_u32 v205, vcc_lo, v15, v158
	scratch_load_b32 v15, off, off offset:32 ; 4-byte Folded Reload
	s_wait_loadcnt 0x0
	s_wait_alu 0xfffd
	v_add_co_ci_u32_e64 v206, null, v15, v159, vcc_lo
	scratch_load_b32 v15, off, off offset:20 ; 4-byte Folded Reload
	s_wait_loadcnt 0x0
	v_add_co_u32 v207, vcc_lo, v15, v158
	scratch_load_b32 v15, off, off offset:24 ; 4-byte Folded Reload
	s_wait_loadcnt 0x0
	s_wait_alu 0xfffd
	v_add_co_ci_u32_e64 v208, null, v15, v159, vcc_lo
	global_load_u16 v15, v[205:206], off
	global_load_u16 v202, v[207:208], off
	s_wait_loadcnt 0x1
	v_lshlrev_b32_e32 v15, 16, v15
	scratch_store_b32 off, v15, off offset:284 ; 4-byte Folded Spill
	s_wait_loadcnt 0x0
	v_lshlrev_b32_e32 v15, 16, v202
.LBB189_176:                            ;   in Loop: Header=BB189_145 Depth=1
	s_wait_alu 0xfffe
	s_or_b32 exec_lo, exec_lo, s8
	v_add_co_u32 v205, vcc_lo, v160, 14
	s_wait_alu 0xfffd
	v_add_co_ci_u32_e64 v206, null, 0, v161, vcc_lo
	s_mov_b32 s8, exec_lo
	v_cmpx_gt_i64_e64 s[4:5], v[205:206]
	s_cbranch_execz .LBB189_178
; %bb.177:                              ;   in Loop: Header=BB189_145 Depth=1
	scratch_load_b32 v16, off, off offset:16 ; 4-byte Folded Reload
	v_add_co_u32 v205, vcc_lo, v221, v158
	s_wait_loadcnt 0x0
	s_wait_alu 0xfffd
	v_add_co_ci_u32_e64 v206, null, v16, v159, vcc_lo
	v_add_co_u32 v207, vcc_lo, v199, v158
	s_wait_alu 0xfffd
	v_add_co_ci_u32_e64 v208, null, v200, v159, vcc_lo
	global_load_u16 v16, v[205:206], off
	global_load_u16 v202, v[207:208], off
	s_wait_loadcnt 0x1
	v_lshlrev_b32_e32 v16, 16, v16
	scratch_store_b32 off, v16, off offset:280 ; 4-byte Folded Spill
	s_wait_loadcnt 0x0
	v_lshlrev_b32_e32 v16, 16, v202
.LBB189_178:                            ;   in Loop: Header=BB189_145 Depth=1
	s_wait_alu 0xfffe
	s_or_b32 exec_lo, exec_lo, s8
	v_mov_b32_e32 v202, 0
	v_add_co_u32 v205, vcc_lo, v160, 15
	s_wait_alu 0xfffd
	v_add_co_ci_u32_e64 v206, null, 0, v161, vcc_lo
	scratch_store_b32 off, v202, off offset:288 ; 4-byte Folded Spill
	v_mov_b32_e32 v202, 0
	s_mov_b32 s8, exec_lo
	scratch_store_b32 off, v202, off offset:292 ; 4-byte Folded Spill
	v_cmpx_gt_i64_e64 s[4:5], v[205:206]
	s_cbranch_execz .LBB189_180
; %bb.179:                              ;   in Loop: Header=BB189_145 Depth=1
	v_add_co_u32 v205, vcc_lo, v197, v158
	s_wait_alu 0xfffd
	v_add_co_ci_u32_e64 v206, null, v198, v159, vcc_lo
	v_add_co_u32 v207, vcc_lo, v195, v158
	s_wait_alu 0xfffd
	v_add_co_ci_u32_e64 v208, null, v196, v159, vcc_lo
	global_load_u16 v17, v[205:206], off
	global_load_u16 v202, v[207:208], off
	s_wait_loadcnt 0x1
	v_lshlrev_b32_e32 v17, 16, v17
	scratch_store_b32 off, v17, off offset:292 ; 4-byte Folded Spill
	s_wait_loadcnt 0x0
	v_lshlrev_b32_e32 v17, 16, v202
.LBB189_180:                            ;   in Loop: Header=BB189_145 Depth=1
	s_wait_alu 0xfffe
	s_or_b32 exec_lo, exec_lo, s8
	v_add_co_u32 v205, vcc_lo, v160, 16
	s_wait_alu 0xfffd
	v_add_co_ci_u32_e64 v206, null, 0, v161, vcc_lo
	s_mov_b32 s8, exec_lo
	v_cmpx_gt_i64_e64 s[4:5], v[205:206]
	s_cbranch_execz .LBB189_182
; %bb.181:                              ;   in Loop: Header=BB189_145 Depth=1
	v_add_co_u32 v205, vcc_lo, v193, v158
	s_wait_alu 0xfffd
	v_add_co_ci_u32_e64 v206, null, v194, v159, vcc_lo
	v_add_co_u32 v207, vcc_lo, v191, v158
	s_wait_alu 0xfffd
	v_add_co_ci_u32_e64 v208, null, v192, v159, vcc_lo
	global_load_u16 v18, v[205:206], off
	global_load_u16 v202, v[207:208], off
	s_wait_loadcnt 0x1
	v_lshlrev_b32_e32 v18, 16, v18
	scratch_store_b32 off, v18, off offset:288 ; 4-byte Folded Spill
	s_wait_loadcnt 0x0
	v_lshlrev_b32_e32 v18, 16, v202
.LBB189_182:                            ;   in Loop: Header=BB189_145 Depth=1
	s_wait_alu 0xfffe
	s_or_b32 exec_lo, exec_lo, s8
	v_add_co_u32 v205, vcc_lo, v160, 17
	s_wait_alu 0xfffd
	v_add_co_ci_u32_e64 v206, null, 0, v161, vcc_lo
	v_mov_b32_e32 v202, 0
	s_delay_alu instid0(VALU_DEP_2)
	v_cmp_gt_i64_e32 vcc_lo, s[4:5], v[205:206]
	v_mov_b32_e32 v205, 0
	s_and_saveexec_b32 s8, vcc_lo
	s_cbranch_execz .LBB189_184
; %bb.183:                              ;   in Loop: Header=BB189_145 Depth=1
	v_add_co_u32 v205, vcc_lo, v189, v158
	s_wait_alu 0xfffd
	v_add_co_ci_u32_e64 v206, null, v190, v159, vcc_lo
	v_add_co_u32 v207, vcc_lo, v187, v158
	s_wait_alu 0xfffd
	v_add_co_ci_u32_e64 v208, null, v188, v159, vcc_lo
	global_load_u16 v19, v[205:206], off
	v_mov_b32_e32 v205, 0
	global_load_u16 v206, v[207:208], off
	s_wait_loadcnt 0x1
	v_lshlrev_b32_e32 v202, 16, v19
	s_wait_loadcnt 0x0
	v_lshlrev_b32_e32 v19, 16, v206
.LBB189_184:                            ;   in Loop: Header=BB189_145 Depth=1
	s_wait_alu 0xfffe
	s_or_b32 exec_lo, exec_lo, s8
	v_add_co_u32 v206, vcc_lo, v160, 18
	s_wait_alu 0xfffd
	v_add_co_ci_u32_e64 v207, null, 0, v161, vcc_lo
	s_mov_b32 s8, exec_lo
	v_cmpx_gt_i64_e64 s[4:5], v[206:207]
	s_cbranch_execz .LBB189_186
; %bb.185:                              ;   in Loop: Header=BB189_145 Depth=1
	v_add_co_u32 v206, vcc_lo, v185, v158
	s_wait_alu 0xfffd
	v_add_co_ci_u32_e64 v207, null, v186, v159, vcc_lo
	v_add_co_u32 v208, vcc_lo, v183, v158
	s_wait_alu 0xfffd
	v_add_co_ci_u32_e64 v209, null, v184, v159, vcc_lo
	global_load_u16 v20, v[206:207], off
	global_load_u16 v206, v[208:209], off
	s_wait_loadcnt 0x1
	v_lshlrev_b32_e32 v205, 16, v20
	s_wait_loadcnt 0x0
	v_lshlrev_b32_e32 v20, 16, v206
.LBB189_186:                            ;   in Loop: Header=BB189_145 Depth=1
	s_wait_alu 0xfffe
	s_or_b32 exec_lo, exec_lo, s8
	v_add_co_u32 v206, vcc_lo, v160, 19
	s_wait_alu 0xfffd
	v_add_co_ci_u32_e64 v207, null, 0, v161, vcc_lo
	s_delay_alu instid0(VALU_DEP_1)
	v_cmp_gt_i64_e32 vcc_lo, s[4:5], v[206:207]
	v_dual_mov_b32 v206, 0 :: v_dual_mov_b32 v207, 0
	scratch_store_b32 off, v207, off offset:296 ; 4-byte Folded Spill
	s_and_saveexec_b32 s8, vcc_lo
	s_cbranch_execz .LBB189_188
; %bb.187:                              ;   in Loop: Header=BB189_145 Depth=1
	v_add_co_u32 v207, vcc_lo, v181, v158
	s_wait_alu 0xfffd
	v_add_co_ci_u32_e64 v208, null, v182, v159, vcc_lo
	v_add_co_u32 v209, vcc_lo, v179, v158
	s_wait_alu 0xfffd
	v_add_co_ci_u32_e64 v210, null, v180, v159, vcc_lo
	global_load_u16 v21, v[207:208], off
	global_load_u16 v208, v[209:210], off
	s_wait_loadcnt 0x1
	v_lshlrev_b32_e32 v21, 16, v21
	scratch_store_b32 off, v21, off offset:296 ; 4-byte Folded Spill
	s_wait_loadcnt 0x0
	v_lshlrev_b32_e32 v21, 16, v208
.LBB189_188:                            ;   in Loop: Header=BB189_145 Depth=1
	s_wait_alu 0xfffe
	s_or_b32 exec_lo, exec_lo, s8
	v_add_co_u32 v208, vcc_lo, v160, 20
	s_wait_alu 0xfffd
	v_add_co_ci_u32_e64 v209, null, 0, v161, vcc_lo
	s_mov_b32 s8, exec_lo
	v_cmpx_gt_i64_e64 s[4:5], v[208:209]
	s_cbranch_execz .LBB189_190
; %bb.189:                              ;   in Loop: Header=BB189_145 Depth=1
	v_add_co_u32 v208, vcc_lo, v177, v158
	s_wait_alu 0xfffd
	v_add_co_ci_u32_e64 v209, null, v178, v159, vcc_lo
	v_add_co_u32 v210, vcc_lo, v175, v158
	s_wait_alu 0xfffd
	v_add_co_ci_u32_e64 v211, null, v176, v159, vcc_lo
	global_load_u16 v22, v[208:209], off
	global_load_u16 v208, v[210:211], off
	s_wait_loadcnt 0x1
	v_lshlrev_b32_e32 v206, 16, v22
	s_wait_loadcnt 0x0
	v_lshlrev_b32_e32 v22, 16, v208
.LBB189_190:                            ;   in Loop: Header=BB189_145 Depth=1
	s_wait_alu 0xfffe
	s_or_b32 exec_lo, exec_lo, s8
	v_add_co_u32 v208, vcc_lo, v160, 21
	s_wait_alu 0xfffd
	v_add_co_ci_u32_e64 v209, null, 0, v161, vcc_lo
	s_delay_alu instid0(VALU_DEP_1)
	v_cmp_gt_i64_e32 vcc_lo, s[4:5], v[208:209]
	v_dual_mov_b32 v208, 0 :: v_dual_mov_b32 v209, 0
	s_and_saveexec_b32 s8, vcc_lo
	s_cbranch_execz .LBB189_192
; %bb.191:                              ;   in Loop: Header=BB189_145 Depth=1
	v_add_co_u32 v209, vcc_lo, v173, v158
	s_wait_alu 0xfffd
	v_add_co_ci_u32_e64 v210, null, v174, v159, vcc_lo
	v_add_co_u32 v211, vcc_lo, v171, v158
	s_wait_alu 0xfffd
	v_add_co_ci_u32_e64 v212, null, v172, v159, vcc_lo
	global_load_u16 v23, v[209:210], off
	global_load_u16 v210, v[211:212], off
	s_wait_loadcnt 0x1
	v_lshlrev_b32_e32 v209, 16, v23
	s_wait_loadcnt 0x0
	v_lshlrev_b32_e32 v23, 16, v210
.LBB189_192:                            ;   in Loop: Header=BB189_145 Depth=1
	s_wait_alu 0xfffe
	s_or_b32 exec_lo, exec_lo, s8
	v_add_co_u32 v210, vcc_lo, v160, 22
	s_wait_alu 0xfffd
	v_add_co_ci_u32_e64 v211, null, 0, v161, vcc_lo
	s_mov_b32 s8, exec_lo
	v_cmpx_gt_i64_e64 s[4:5], v[210:211]
	s_cbranch_execz .LBB189_194
; %bb.193:                              ;   in Loop: Header=BB189_145 Depth=1
	v_add_co_u32 v210, vcc_lo, v169, v158
	s_wait_alu 0xfffd
	v_add_co_ci_u32_e64 v211, null, v170, v159, vcc_lo
	v_add_co_u32 v212, vcc_lo, v163, v158
	s_wait_alu 0xfffd
	v_add_co_ci_u32_e64 v213, null, v168, v159, vcc_lo
	global_load_u16 v24, v[210:211], off
	global_load_u16 v210, v[212:213], off
	s_wait_loadcnt 0x1
	v_lshlrev_b32_e32 v208, 16, v24
	s_wait_loadcnt 0x0
	v_lshlrev_b32_e32 v24, 16, v210
.LBB189_194:                            ;   in Loop: Header=BB189_145 Depth=1
	s_wait_alu 0xfffe
	s_or_b32 exec_lo, exec_lo, s8
	v_add_co_u32 v210, vcc_lo, v160, 23
	s_wait_alu 0xfffd
	v_add_co_ci_u32_e64 v211, null, 0, v161, vcc_lo
	s_delay_alu instid0(VALU_DEP_1)
	v_cmp_gt_i64_e32 vcc_lo, s[4:5], v[210:211]
	v_dual_mov_b32 v210, 0 :: v_dual_mov_b32 v211, 0
	s_and_saveexec_b32 s8, vcc_lo
	s_cbranch_execz .LBB189_196
; %bb.195:                              ;   in Loop: Header=BB189_145 Depth=1
	v_add_co_u32 v211, vcc_lo, v162, v158
	s_wait_alu 0xfffd
	v_add_co_ci_u32_e64 v212, null, v0, v159, vcc_lo
	v_add_co_u32 v213, vcc_lo, v254, v158
	s_wait_alu 0xfffd
	v_add_co_ci_u32_e64 v214, null, v255, v159, vcc_lo
	global_load_u16 v25, v[211:212], off
	global_load_u16 v212, v[213:214], off
	s_wait_loadcnt 0x1
	v_lshlrev_b32_e32 v211, 16, v25
	s_wait_loadcnt 0x0
	v_lshlrev_b32_e32 v25, 16, v212
.LBB189_196:                            ;   in Loop: Header=BB189_145 Depth=1
	s_wait_alu 0xfffe
	s_or_b32 exec_lo, exec_lo, s8
	v_add_co_u32 v212, vcc_lo, v160, 24
	s_wait_alu 0xfffd
	v_add_co_ci_u32_e64 v213, null, 0, v161, vcc_lo
	s_mov_b32 s8, exec_lo
	v_cmpx_gt_i64_e64 s[4:5], v[212:213]
	s_cbranch_execz .LBB189_198
; %bb.197:                              ;   in Loop: Header=BB189_145 Depth=1
	v_add_co_u32 v212, vcc_lo, v252, v158
	s_wait_alu 0xfffd
	v_add_co_ci_u32_e64 v213, null, v253, v159, vcc_lo
	v_add_co_u32 v214, vcc_lo, v250, v158
	s_wait_alu 0xfffd
	v_add_co_ci_u32_e64 v215, null, v251, v159, vcc_lo
	global_load_u16 v26, v[212:213], off
	global_load_u16 v212, v[214:215], off
	s_wait_loadcnt 0x1
	v_lshlrev_b32_e32 v210, 16, v26
	s_wait_loadcnt 0x0
	v_lshlrev_b32_e32 v26, 16, v212
.LBB189_198:                            ;   in Loop: Header=BB189_145 Depth=1
	s_wait_alu 0xfffe
	s_or_b32 exec_lo, exec_lo, s8
	v_add_co_u32 v212, vcc_lo, v160, 25
	s_wait_alu 0xfffd
	v_add_co_ci_u32_e64 v213, null, 0, v161, vcc_lo
	v_mov_b32_e32 v37, 0
	s_delay_alu instid0(VALU_DEP_2)
	v_cmp_gt_i64_e32 vcc_lo, s[4:5], v[212:213]
	v_mov_b32_e32 v212, 0
	s_and_saveexec_b32 s8, vcc_lo
	s_cbranch_execz .LBB189_200
; %bb.199:                              ;   in Loop: Header=BB189_145 Depth=1
	v_add_co_u32 v213, vcc_lo, v248, v158
	s_wait_alu 0xfffd
	v_add_co_ci_u32_e64 v214, null, v249, v159, vcc_lo
	v_add_co_u32 v215, vcc_lo, v246, v158
	s_wait_alu 0xfffd
	v_add_co_ci_u32_e64 v216, null, v247, v159, vcc_lo
	global_load_u16 v27, v[213:214], off
	global_load_u16 v214, v[215:216], off
	s_wait_loadcnt 0x1
	v_lshlrev_b32_e32 v37, 16, v27
	s_wait_loadcnt 0x0
	v_lshlrev_b32_e32 v27, 16, v214
.LBB189_200:                            ;   in Loop: Header=BB189_145 Depth=1
	s_wait_alu 0xfffe
	s_or_b32 exec_lo, exec_lo, s8
	v_add_co_u32 v214, vcc_lo, v160, 26
	s_wait_alu 0xfffd
	v_add_co_ci_u32_e64 v215, null, 0, v161, vcc_lo
	s_mov_b32 s8, exec_lo
	v_cmpx_gt_i64_e64 s[4:5], v[214:215]
	s_cbranch_execz .LBB189_202
; %bb.201:                              ;   in Loop: Header=BB189_145 Depth=1
	v_add_co_u32 v214, vcc_lo, v244, v158
	s_wait_alu 0xfffd
	v_add_co_ci_u32_e64 v215, null, v245, v159, vcc_lo
	v_add_co_u32 v216, vcc_lo, v242, v158
	s_wait_alu 0xfffd
	v_add_co_ci_u32_e64 v217, null, v243, v159, vcc_lo
	global_load_u16 v28, v[214:215], off
	global_load_u16 v214, v[216:217], off
	s_wait_loadcnt 0x1
	v_lshlrev_b32_e32 v212, 16, v28
	s_wait_loadcnt 0x0
	v_lshlrev_b32_e32 v28, 16, v214
.LBB189_202:                            ;   in Loop: Header=BB189_145 Depth=1
	s_wait_alu 0xfffe
	s_or_b32 exec_lo, exec_lo, s8
	v_add_co_u32 v214, vcc_lo, v160, 27
	s_wait_alu 0xfffd
	v_add_co_ci_u32_e64 v215, null, 0, v161, vcc_lo
	v_dual_mov_b32 v105, 0 :: v_dual_mov_b32 v36, 0
	s_mov_b32 s8, exec_lo
	s_delay_alu instid0(VALU_DEP_2)
	v_cmpx_gt_i64_e64 s[4:5], v[214:215]
	s_cbranch_execz .LBB189_204
; %bb.203:                              ;   in Loop: Header=BB189_145 Depth=1
	v_add_co_u32 v215, vcc_lo, v240, v158
	s_wait_alu 0xfffd
	v_add_co_ci_u32_e64 v216, null, v241, v159, vcc_lo
	v_add_co_u32 v217, vcc_lo, v238, v158
	s_wait_alu 0xfffd
	v_add_co_ci_u32_e64 v218, null, v239, v159, vcc_lo
	global_load_u16 v29, v[215:216], off
	global_load_u16 v216, v[217:218], off
	s_wait_loadcnt 0x1
	v_lshlrev_b32_e32 v36, 16, v29
	s_wait_loadcnt 0x0
	v_lshlrev_b32_e32 v29, 16, v216
.LBB189_204:                            ;   in Loop: Header=BB189_145 Depth=1
	s_wait_alu 0xfffe
	s_or_b32 exec_lo, exec_lo, s8
	v_add_co_u32 v216, vcc_lo, v160, 28
	s_wait_alu 0xfffd
	v_add_co_ci_u32_e64 v217, null, 0, v161, vcc_lo
	s_mov_b32 s8, exec_lo
	v_cmpx_gt_i64_e64 s[4:5], v[216:217]
	s_cbranch_execz .LBB189_206
; %bb.205:                              ;   in Loop: Header=BB189_145 Depth=1
	v_add_co_u32 v216, vcc_lo, v236, v158
	s_wait_alu 0xfffd
	v_add_co_ci_u32_e64 v217, null, v237, v159, vcc_lo
	v_add_co_u32 v218, vcc_lo, v234, v158
	s_wait_alu 0xfffd
	v_add_co_ci_u32_e64 v219, null, v235, v159, vcc_lo
	global_load_u16 v30, v[216:217], off
	global_load_u16 v216, v[218:219], off
	s_wait_loadcnt 0x1
	v_lshlrev_b32_e32 v105, 16, v30
	s_wait_loadcnt 0x0
	v_lshlrev_b32_e32 v30, 16, v216
.LBB189_206:                            ;   in Loop: Header=BB189_145 Depth=1
	s_wait_alu 0xfffe
	s_or_b32 exec_lo, exec_lo, s8
	v_add_co_u32 v216, vcc_lo, v160, 29
	s_wait_alu 0xfffd
	v_add_co_ci_u32_e64 v217, null, 0, v161, vcc_lo
	v_mov_b32_e32 v207, v202
	s_delay_alu instid0(VALU_DEP_2)
	v_cmp_gt_i64_e32 vcc_lo, s[4:5], v[216:217]
	v_dual_mov_b32 v216, 0 :: v_dual_mov_b32 v217, 0
	s_and_saveexec_b32 s8, vcc_lo
	s_cbranch_execz .LBB189_208
; %bb.207:                              ;   in Loop: Header=BB189_145 Depth=1
	v_add_co_u32 v217, vcc_lo, v232, v158
	s_wait_alu 0xfffd
	v_add_co_ci_u32_e64 v218, null, v233, v159, vcc_lo
	v_add_co_u32 v219, vcc_lo, v230, v158
	v_dual_mov_b32 v202, v221 :: v_dual_mov_b32 v221, v223
	v_dual_mov_b32 v223, v222 :: v_dual_mov_b32 v222, v220
	s_wait_alu 0xfffd
	v_add_co_ci_u32_e64 v220, null, v231, v159, vcc_lo
	global_load_u16 v31, v[217:218], off
	global_load_u16 v218, v[219:220], off
	v_mov_b32_e32 v220, v222
	v_dual_mov_b32 v222, v223 :: v_dual_mov_b32 v223, v221
	v_mov_b32_e32 v221, v202
	s_wait_loadcnt 0x1
	v_lshlrev_b32_e32 v217, 16, v31
	s_wait_loadcnt 0x0
	v_lshlrev_b32_e32 v31, 16, v218
.LBB189_208:                            ;   in Loop: Header=BB189_145 Depth=1
	s_wait_alu 0xfffe
	s_or_b32 exec_lo, exec_lo, s8
	v_add_co_u32 v218, vcc_lo, v160, 30
	s_wait_alu 0xfffd
	v_add_co_ci_u32_e64 v219, null, 0, v161, vcc_lo
	s_mov_b32 s8, exec_lo
	v_cmpx_gt_i64_e64 s[4:5], v[218:219]
	s_cbranch_execz .LBB189_210
; %bb.209:                              ;   in Loop: Header=BB189_145 Depth=1
	v_add_co_u32 v218, vcc_lo, v228, v158
	s_wait_alu 0xfffd
	v_add_co_ci_u32_e64 v219, null, v229, v159, vcc_lo
	v_mov_b32_e32 v202, v221
	v_mov_b32_e32 v216, v220
	v_add_co_u32 v220, vcc_lo, v226, v158
	s_wait_alu 0xfffd
	v_add_co_ci_u32_e64 v221, null, v227, v159, vcc_lo
	global_load_u16 v32, v[218:219], off
	global_load_u16 v218, v[220:221], off
	v_dual_mov_b32 v221, v202 :: v_dual_mov_b32 v220, v216
	s_wait_loadcnt 0x1
	v_lshlrev_b32_e32 v216, 16, v32
	s_wait_loadcnt 0x0
	v_lshlrev_b32_e32 v32, 16, v218
.LBB189_210:                            ;   in Loop: Header=BB189_145 Depth=1
	s_wait_alu 0xfffe
	s_or_b32 exec_lo, exec_lo, s8
	v_add_co_u32 v218, vcc_lo, v160, 31
	s_wait_alu 0xfffd
	v_add_co_ci_u32_e64 v219, null, 0, v161, vcc_lo
	s_delay_alu instid0(VALU_DEP_1)
	v_cmp_gt_i64_e32 vcc_lo, s[4:5], v[218:219]
	v_mov_b32_e32 v218, 0
	s_and_saveexec_b32 s8, vcc_lo
	s_cbranch_execz .LBB189_212
; %bb.211:                              ;   in Loop: Header=BB189_145 Depth=1
	v_dual_mov_b32 v202, v167 :: v_dual_mov_b32 v167, v166
	v_dual_mov_b32 v166, v165 :: v_dual_mov_b32 v165, v164
	v_mov_b32_e32 v164, v200
	v_dual_mov_b32 v200, v199 :: v_dual_mov_b32 v199, v198
	v_dual_mov_b32 v198, v197 :: v_dual_mov_b32 v197, v196
	;; [unrolled: 1-line block ×17, first 2 shown]
	v_mov_b32_e32 v0, v162
	v_dual_mov_b32 v162, v255 :: v_dual_mov_b32 v255, v254
	v_dual_mov_b32 v254, v253 :: v_dual_mov_b32 v253, v252
	;; [unrolled: 1-line block ×15, first 2 shown]
	v_add_co_u32 v218, vcc_lo, v224, v158
	v_mov_b32_e32 v214, v156
	v_dual_mov_b32 v156, v155 :: v_dual_mov_b32 v227, v226
	v_dual_mov_b32 v226, v225 :: v_dual_mov_b32 v155, v154
	v_mov_b32_e32 v154, v153
	s_wait_alu 0xfffd
	v_add_co_ci_u32_e64 v219, null, v225, v159, vcc_lo
	v_dual_mov_b32 v225, v224 :: v_dual_mov_b32 v224, v220
	v_dual_mov_b32 v153, v152 :: v_dual_mov_b32 v152, v151
	;; [unrolled: 1-line block ×30, first 2 shown]
	v_mov_b32_e32 v96, v95
	v_dual_mov_b32 v95, v94 :: v_dual_mov_b32 v94, v93
	v_dual_mov_b32 v93, v92 :: v_dual_mov_b32 v92, v91
	;; [unrolled: 1-line block ×25, first 2 shown]
	v_add_co_u32 v220, vcc_lo, v222, v158
	v_dual_mov_b32 v34, v211 :: v_dual_mov_b32 v211, v210
	v_dual_mov_b32 v45, v44 :: v_dual_mov_b32 v44, v43
	;; [unrolled: 1-line block ×7, first 2 shown]
	s_wait_alu 0xfffd
	v_add_co_ci_u32_e64 v221, null, v223, v159, vcc_lo
	global_load_u16 v33, v[218:219], off
	global_load_u16 v219, v[220:221], off
	v_mov_b32_e32 v39, v38
	v_mov_b32_e32 v221, v205
	v_dual_mov_b32 v205, v206 :: v_dual_mov_b32 v206, v201
	s_delay_alu instid0(VALU_DEP_3)
	v_dual_mov_b32 v201, v208 :: v_dual_mov_b32 v38, v39
	v_dual_mov_b32 v208, v209 :: v_dual_mov_b32 v39, v40
	;; [unrolled: 1-line block ×4, first 2 shown]
	v_mov_b32_e32 v42, v43
	v_dual_mov_b32 v43, v44 :: v_dual_mov_b32 v44, v45
	v_dual_mov_b32 v45, v46 :: v_dual_mov_b32 v46, v47
	v_dual_mov_b32 v47, v48 :: v_dual_mov_b32 v48, v49
	v_dual_mov_b32 v49, v50 :: v_dual_mov_b32 v50, v51
	v_dual_mov_b32 v51, v52 :: v_dual_mov_b32 v52, v53
	v_dual_mov_b32 v53, v54 :: v_dual_mov_b32 v54, v55
	v_dual_mov_b32 v55, v56 :: v_dual_mov_b32 v56, v57
	v_dual_mov_b32 v57, v58 :: v_dual_mov_b32 v58, v59
	v_dual_mov_b32 v59, v60 :: v_dual_mov_b32 v60, v61
	v_dual_mov_b32 v61, v62 :: v_dual_mov_b32 v62, v63
	v_dual_mov_b32 v63, v64 :: v_dual_mov_b32 v64, v65
	v_dual_mov_b32 v65, v66 :: v_dual_mov_b32 v66, v67
	v_dual_mov_b32 v67, v68 :: v_dual_mov_b32 v68, v69
	v_dual_mov_b32 v69, v70 :: v_dual_mov_b32 v70, v71
	v_dual_mov_b32 v71, v72 :: v_dual_mov_b32 v72, v73
	v_dual_mov_b32 v73, v74 :: v_dual_mov_b32 v74, v75
	v_dual_mov_b32 v75, v76 :: v_dual_mov_b32 v76, v77
	v_dual_mov_b32 v77, v78 :: v_dual_mov_b32 v78, v79
	v_dual_mov_b32 v79, v80 :: v_dual_mov_b32 v80, v81
	v_dual_mov_b32 v81, v82 :: v_dual_mov_b32 v82, v83
	v_dual_mov_b32 v83, v84 :: v_dual_mov_b32 v84, v85
	v_dual_mov_b32 v85, v86 :: v_dual_mov_b32 v86, v87
	v_dual_mov_b32 v87, v88 :: v_dual_mov_b32 v88, v89
	v_dual_mov_b32 v89, v90 :: v_dual_mov_b32 v90, v91
	v_dual_mov_b32 v91, v92 :: v_dual_mov_b32 v92, v93
	v_dual_mov_b32 v93, v94 :: v_dual_mov_b32 v94, v95
	v_dual_mov_b32 v95, v96 :: v_dual_mov_b32 v96, v97
	v_mov_b32_e32 v211, v34
	v_dual_mov_b32 v97, v98 :: v_dual_mov_b32 v98, v99
	v_dual_mov_b32 v34, v212 :: v_dual_mov_b32 v99, v100
	;; [unrolled: 1-line block ×3, first 2 shown]
	v_mov_b32_e32 v212, v106
	v_dual_mov_b32 v106, v107 :: v_dual_mov_b32 v101, v102
	v_dual_mov_b32 v102, v103 :: v_dual_mov_b32 v107, v108
	v_mov_b32_e32 v108, v109
	v_dual_mov_b32 v109, v110 :: v_dual_mov_b32 v110, v111
	v_dual_mov_b32 v111, v112 :: v_dual_mov_b32 v112, v113
	;; [unrolled: 1-line block ×22, first 2 shown]
	v_mov_b32_e32 v220, v224
	v_dual_mov_b32 v224, v225 :: v_dual_mov_b32 v225, v226
	v_dual_mov_b32 v153, v154 :: v_dual_mov_b32 v154, v155
	;; [unrolled: 1-line block ×4, first 2 shown]
	v_mov_b32_e32 v103, v104
	v_dual_mov_b32 v157, v215 :: v_dual_mov_b32 v228, v229
	v_dual_mov_b32 v229, v230 :: v_dual_mov_b32 v230, v231
	;; [unrolled: 1-line block ×32, first 2 shown]
	v_mov_b32_e32 v200, v164
	v_dual_mov_b32 v164, v165 :: v_dual_mov_b32 v165, v166
	v_dual_mov_b32 v166, v167 :: v_dual_mov_b32 v167, v202
	s_wait_loadcnt 0x1
	v_lshlrev_b32_e32 v218, 16, v33
	s_wait_loadcnt 0x0
	v_lshlrev_b32_e32 v33, 16, v219
.LBB189_212:                            ;   in Loop: Header=BB189_145 Depth=1
	s_wait_alu 0xfffe
	s_or_b32 exec_lo, exec_lo, s8
	scratch_load_b32 v202, off, off offset:228 th:TH_LOAD_LU ; 4-byte Folded Reload
	v_mul_f32_e32 v22, v206, v22
	v_mul_f32_e32 v26, v210, v26
	s_mov_b32 s8, 0
	v_dual_mul_f32 v19, v207, v19 :: v_dual_mul_f32 v20, v205, v20
	v_dual_mul_f32 v23, v209, v23 :: v_dual_mul_f32 v24, v208, v24
	;; [unrolled: 1-line block ×3, first 2 shown]
	v_mul_f32_e32 v27, v37, v27
	v_dual_mul_f32 v30, v105, v30 :: v_dual_mul_f32 v29, v36, v29
	v_dual_mul_f32 v32, v216, v32 :: v_dual_mul_f32 v31, v217, v31
	s_wait_loadcnt 0x0
	v_mul_f32_e32 v2, v202, v2
	scratch_load_b32 v202, off, off offset:236 th:TH_LOAD_LU ; 4-byte Folded Reload
	s_wait_loadcnt 0x0
	v_mul_f32_e32 v3, v202, v3
	scratch_load_b32 v202, off, off offset:232 th:TH_LOAD_LU ; 4-byte Folded Reload
	;; [unrolled: 3-line block ×17, first 2 shown]
	s_wait_loadcnt 0x0
	v_mul_f32_e32 v21, v202, v21
	ds_bpermute_b32 v202, v1, v203
	s_wait_dscnt 0x0
	v_fma_f32 v202, v2, v202, v204
	ds_bpermute_b32 v2, v1, v203 offset:4
	s_wait_dscnt 0x0
	v_fmac_f32_e32 v202, v3, v2
	ds_bpermute_b32 v2, v1, v203 offset:8
	ds_bpermute_b32 v3, v1, v203 offset:104
	s_wait_dscnt 0x1
	v_fmac_f32_e32 v202, v4, v2
	ds_bpermute_b32 v2, v1, v203 offset:12
	;; [unrolled: 4-line block ×4, first 2 shown]
	s_wait_dscnt 0x0
	v_fmac_f32_e32 v202, v7, v2
	ds_bpermute_b32 v2, v1, v203 offset:24
	s_wait_dscnt 0x0
	v_dual_mul_f32 v33, v218, v33 :: v_dual_fmac_f32 v202, v8, v2
	ds_bpermute_b32 v2, v1, v203 offset:28
	s_wait_dscnt 0x0
	v_fmac_f32_e32 v202, v9, v2
	ds_bpermute_b32 v2, v1, v203 offset:32
	s_wait_dscnt 0x0
	v_fmac_f32_e32 v202, v10, v2
	;; [unrolled: 3-line block ×19, first 2 shown]
	ds_bpermute_b32 v2, v1, v203 offset:108
	v_fmac_f32_e32 v202, v28, v3
	ds_bpermute_b32 v3, v1, v203 offset:116
	s_wait_dscnt 0x1
	v_fmac_f32_e32 v202, v29, v2
	ds_bpermute_b32 v2, v1, v203 offset:124
	v_fmac_f32_e32 v202, v30, v4
	s_wait_dscnt 0x1
	s_delay_alu instid0(VALU_DEP_1) | instskip(NEXT) | instid1(VALU_DEP_1)
	v_fmac_f32_e32 v202, v31, v3
	v_fmac_f32_e32 v202, v32, v5
	s_wait_dscnt 0x0
	s_delay_alu instid0(VALU_DEP_1)
	v_fmac_f32_e32 v202, v33, v2
.LBB189_213:                            ;   in Loop: Header=BB189_145 Depth=1
	s_wait_alu 0xfffe
	s_and_b32 vcc_lo, exec_lo, s8
	s_wait_alu 0xfffe
	s_cbranch_vccz .LBB189_217
; %bb.214:                              ;   in Loop: Header=BB189_145 Depth=1
	s_load_b32 s8, s[16:17], 0x0
	v_mov_b32_e32 v4, 0
	s_wait_kmcnt 0x0
	s_cmp_lt_u32 ttmp9, s8
	s_cselect_b32 s8, 12, 18
	s_wait_alu 0xfffe
	s_add_nc_u64 s[24:25], s[16:17], s[8:9]
	s_load_u16 s8, s[24:25], 0x0
	s_clause 0x1
	scratch_load_b32 v2, off, off offset:300
	scratch_load_b32 v3, off, off offset:304
	s_wait_loadcnt 0x0
	s_wait_kmcnt 0x0
	v_mad_u32_u24 v2, v2, s8, v3
	s_mov_b32 s8, exec_lo
	s_delay_alu instid0(VALU_DEP_1) | instskip(NEXT) | instid1(VALU_DEP_1)
	v_and_b32_e32 v2, 31, v2
	v_add_co_u32 v2, vcc_lo, v160, v2
	s_wait_alu 0xfffd
	v_add_co_ci_u32_e64 v3, null, 0, v161, vcc_lo
	s_delay_alu instid0(VALU_DEP_1)
	v_cmpx_gt_i64_e64 s[4:5], v[2:3]
	s_cbranch_execz .LBB189_216
; %bb.215:                              ;   in Loop: Header=BB189_145 Depth=1
	v_lshlrev_b64_e32 v[2:3], 2, v[2:3]
	s_delay_alu instid0(VALU_DEP_1) | instskip(SKIP_1) | instid1(VALU_DEP_2)
	v_add_co_u32 v2, vcc_lo, s12, v2
	s_wait_alu 0xfffd
	v_add_co_ci_u32_e64 v3, null, s13, v3, vcc_lo
	global_load_b32 v4, v[2:3], off
.LBB189_216:                            ;   in Loop: Header=BB189_145 Depth=1
	s_wait_alu 0xfffe
	s_or_b32 exec_lo, exec_lo, s8
	v_add_co_u32 v2, vcc_lo, v164, v158
	s_wait_alu 0xfffd
	v_add_co_ci_u32_e64 v3, null, v165, v159, vcc_lo
	global_load_u16 v5, v[2:3], off
	v_add_co_u32 v2, vcc_lo, v166, v158
	s_wait_alu 0xfffd
	v_add_co_ci_u32_e64 v3, null, v167, v159, vcc_lo
	global_load_u16 v2, v[2:3], off
	s_wait_loadcnt 0x1
	v_lshlrev_b32_e32 v3, 16, v5
	s_wait_loadcnt 0x0
	v_lshlrev_b32_e32 v2, 16, v2
	s_delay_alu instid0(VALU_DEP_1)
	v_mul_f32_e32 v2, v3, v2
	ds_bpermute_b32 v3, v1, v4
	s_wait_dscnt 0x0
	v_fmac_f32_e32 v204, v2, v3
	scratch_load_b64 v[2:3], off, off       ; 8-byte Folded Reload
	s_wait_loadcnt 0x0
	v_add_co_u32 v2, vcc_lo, v2, v158
	s_wait_alu 0xfffd
	v_add_co_ci_u32_e64 v3, null, v3, v159, vcc_lo
	global_load_u16 v5, v[2:3], off
	v_add_co_u32 v2, vcc_lo, v42, v158
	s_wait_alu 0xfffd
	v_add_co_ci_u32_e64 v3, null, v43, v159, vcc_lo
	global_load_u16 v2, v[2:3], off
	s_wait_loadcnt 0x1
	v_lshlrev_b32_e32 v3, 16, v5
	s_wait_loadcnt 0x0
	v_lshlrev_b32_e32 v2, 16, v2
	s_delay_alu instid0(VALU_DEP_1)
	v_mul_f32_e32 v2, v3, v2
	ds_bpermute_b32 v3, v1, v4 offset:4
	s_wait_dscnt 0x0
	v_fmac_f32_e32 v204, v2, v3
	scratch_load_b64 v[2:3], off, off offset:8 ; 8-byte Folded Reload
	s_wait_loadcnt 0x0
	v_add_co_u32 v2, vcc_lo, v2, v158
	s_wait_alu 0xfffd
	v_add_co_ci_u32_e64 v3, null, v3, v159, vcc_lo
	global_load_u16 v5, v[2:3], off
	v_add_co_u32 v2, vcc_lo, v46, v158
	s_wait_alu 0xfffd
	v_add_co_ci_u32_e64 v3, null, v47, v159, vcc_lo
	global_load_u16 v2, v[2:3], off
	s_wait_loadcnt 0x1
	v_lshlrev_b32_e32 v3, 16, v5
	s_wait_loadcnt 0x0
	v_lshlrev_b32_e32 v2, 16, v2
	s_delay_alu instid0(VALU_DEP_1)
	v_mul_f32_e32 v2, v3, v2
	ds_bpermute_b32 v3, v1, v4 offset:8
	s_wait_dscnt 0x0
	v_fmac_f32_e32 v204, v2, v3
	v_add_co_u32 v2, vcc_lo, v38, v158
	s_wait_alu 0xfffd
	v_add_co_ci_u32_e64 v3, null, v39, v159, vcc_lo
	global_load_u16 v5, v[2:3], off
	v_add_co_u32 v2, vcc_lo, v48, v158
	s_wait_alu 0xfffd
	v_add_co_ci_u32_e64 v3, null, v49, v159, vcc_lo
	global_load_u16 v2, v[2:3], off
	s_wait_loadcnt 0x1
	v_lshlrev_b32_e32 v3, 16, v5
	s_wait_loadcnt 0x0
	v_lshlrev_b32_e32 v2, 16, v2
	s_delay_alu instid0(VALU_DEP_1)
	v_mul_f32_e32 v2, v3, v2
	ds_bpermute_b32 v3, v1, v4 offset:12
	s_wait_dscnt 0x0
	v_fmac_f32_e32 v204, v2, v3
	;; [unrolled: 17-line block ×29, first 2 shown]
	v_add_co_u32 v2, vcc_lo, v156, v158
	s_wait_alu 0xfffd
	v_add_co_ci_u32_e64 v3, null, v157, v159, vcc_lo
	global_load_u16 v5, v[2:3], off
	v_add_co_u32 v2, vcc_lo, v154, v158
	s_wait_alu 0xfffd
	v_add_co_ci_u32_e64 v3, null, v155, v159, vcc_lo
	global_load_u16 v2, v[2:3], off
	s_wait_loadcnt 0x1
	v_lshlrev_b32_e32 v3, 16, v5
	s_wait_loadcnt 0x0
	v_lshlrev_b32_e32 v2, 16, v2
	s_delay_alu instid0(VALU_DEP_1) | instskip(SKIP_3) | instid1(VALU_DEP_1)
	v_mul_f32_e32 v2, v2, v3
	ds_bpermute_b32 v3, v1, v4 offset:124
	s_wait_dscnt 0x0
	v_fmac_f32_e32 v204, v2, v3
	v_mov_b32_e32 v202, v204
.LBB189_217:                            ;   in Loop: Header=BB189_145 Depth=1
	scratch_load_b64 v[2:3], off, off th:TH_LOAD_LU ; 8-byte Folded Reload
	v_add_co_u32 v164, vcc_lo, v164, s18
	s_wait_alu 0xfffd
	v_add_co_ci_u32_e64 v165, null, s19, v165, vcc_lo
	v_add_co_u32 v166, vcc_lo, v166, s18
	s_wait_alu 0xfffd
	v_add_co_ci_u32_e64 v167, null, s19, v167, vcc_lo
	s_add_nc_u64 s[22:23], s[22:23], s[10:11]
	s_add_nc_u64 s[20:21], s[20:21], s[10:11]
	s_wait_alu 0xfffe
	v_cmp_ge_i64_e64 s8, s[22:23], s[4:5]
	s_wait_loadcnt 0x0
	v_add_co_u32 v2, vcc_lo, v2, s18
	s_wait_alu 0xfffd
	v_add_co_ci_u32_e64 v3, null, s19, v3, vcc_lo
	scratch_store_b64 off, v[2:3], off      ; 8-byte Folded Spill
	scratch_load_b64 v[2:3], off, off offset:8 th:TH_LOAD_LU ; 8-byte Folded Reload
	s_wait_loadcnt 0x0
	v_add_co_u32 v2, vcc_lo, v2, s18
	s_wait_alu 0xfffd
	v_add_co_ci_u32_e64 v3, null, s19, v3, vcc_lo
	v_add_co_u32 v38, vcc_lo, v38, s18
	s_wait_alu 0xfffd
	v_add_co_ci_u32_e64 v39, null, s19, v39, vcc_lo
	scratch_store_b64 off, v[2:3], off offset:8 ; 8-byte Folded Spill
	scratch_load_b32 v2, off, off offset:16 ; 4-byte Folded Reload
	v_add_co_u32 v40, vcc_lo, v40, s18
	s_wait_alu 0xfffd
	v_add_co_ci_u32_e64 v41, null, s19, v41, vcc_lo
	v_add_co_u32 v44, vcc_lo, v44, s18
	s_wait_alu 0xfffd
	v_add_co_ci_u32_e64 v45, null, s19, v45, vcc_lo
	;; [unrolled: 3-line block ×95, first 2 shown]
	v_add_co_u32 v221, vcc_lo, v221, s18
	s_wait_loadcnt 0x0
	s_wait_alu 0xfffd
	v_add_co_ci_u32_e64 v2, null, s19, v2, vcc_lo
	scratch_store_b32 off, v2, off offset:16 ; 4-byte Folded Spill
	scratch_load_b32 v2, off, off offset:20 ; 4-byte Folded Reload
	s_wait_loadcnt 0x0
	v_add_co_u32 v2, vcc_lo, v2, s18
	scratch_store_b32 off, v2, off offset:20 ; 4-byte Folded Spill
	scratch_load_b32 v2, off, off offset:24 ; 4-byte Folded Reload
	s_wait_loadcnt 0x0
	s_wait_alu 0xfffd
	v_add_co_ci_u32_e64 v2, null, s19, v2, vcc_lo
	scratch_store_b32 off, v2, off offset:24 ; 4-byte Folded Spill
	scratch_load_b32 v2, off, off offset:28 ; 4-byte Folded Reload
	s_wait_loadcnt 0x0
	v_add_co_u32 v2, vcc_lo, v2, s18
	scratch_store_b32 off, v2, off offset:28 ; 4-byte Folded Spill
	scratch_load_b32 v2, off, off offset:32 ; 4-byte Folded Reload
	;; [unrolled: 9-line block ×26, first 2 shown]
	s_wait_loadcnt 0x0
	s_wait_alu 0xfffd
	v_add_co_ci_u32_e64 v2, null, s19, v2, vcc_lo
	s_and_b32 vcc_lo, exec_lo, s8
	scratch_store_b32 off, v2, off offset:224 ; 4-byte Folded Spill
	s_wait_alu 0xfffe
	s_cbranch_vccnz .LBB189_219
; %bb.218:                              ;   in Loop: Header=BB189_145 Depth=1
	v_mov_b32_e32 v204, v202
	s_branch .LBB189_145
.LBB189_219:
	scratch_load_b32 v208, off, off offset:308 ; 4-byte Folded Reload
.LBB189_220:
	s_mov_b32 s4, ttmp9
	s_mov_b32 s5, 0
	s_wait_alu 0xfffe
	s_lshl_b64 s[4:5], s[4:5], 6
	s_wait_kmcnt 0x0
	s_cmp_lg_u64 s[2:3], 0
	s_wait_loadcnt 0x0
	s_wait_alu 0xfffe
	v_and_or_b32 v1, 0x3ff, v208, s4
	v_mov_b32_e32 v2, s5
	s_cselect_b32 s4, -1, 0
	s_delay_alu instid0(VALU_DEP_1)
	v_cmp_gt_i64_e32 vcc_lo, s[6:7], v[1:2]
	s_wait_alu 0xfffe
	s_and_b32 s4, vcc_lo, s4
	s_wait_alu 0xfffe
	s_and_saveexec_b32 s5, s4
	s_cbranch_execz .LBB189_222
; %bb.221:
	s_load_u16 s0, s[0:1], 0x4e
	v_bfe_u32 v3, v208, 10, 10
	v_mov_b32_e32 v4, 0
	v_bfe_u32 v6, v202, 16, 1
	s_wait_kmcnt 0x0
	s_delay_alu instid0(VALU_DEP_2) | instskip(NEXT) | instid1(VALU_DEP_1)
	v_mad_co_u64_u32 v[3:4], null, s0, ttmp7, v[3:4]
	v_mul_lo_u32 v0, v4, s6
	s_delay_alu instid0(VALU_DEP_2) | instskip(SKIP_1) | instid1(VALU_DEP_1)
	v_mul_lo_u32 v5, v3, s7
	v_mad_co_u64_u32 v[3:4], null, v3, s6, 0
	v_add3_u32 v4, v4, v5, v0
	v_add3_u32 v5, v202, v6, 0x7fff
	v_lshlrev_b64_e32 v[0:1], 1, v[1:2]
	s_delay_alu instid0(VALU_DEP_3) | instskip(NEXT) | instid1(VALU_DEP_3)
	v_lshlrev_b64_e32 v[3:4], 1, v[3:4]
	v_lshrrev_b32_e32 v2, 16, v5
	s_delay_alu instid0(VALU_DEP_2) | instskip(SKIP_1) | instid1(VALU_DEP_3)
	v_add_co_u32 v3, vcc_lo, s2, v3
	s_wait_alu 0xfffd
	v_add_co_ci_u32_e64 v4, null, s3, v4, vcc_lo
	v_cmp_o_f32_e32 vcc_lo, v202, v202
	s_wait_alu 0xfffd
	v_cndmask_b32_e32 v2, 0x7fc0, v2, vcc_lo
	v_add_co_u32 v0, vcc_lo, v3, v0
	s_wait_alu 0xfffd
	v_add_co_ci_u32_e64 v1, null, v4, v1, vcc_lo
	global_store_b16 v[0:1], v2, off
.LBB189_222:
	s_nop 0
	s_sendmsg sendmsg(MSG_DEALLOC_VGPRS)
	s_endpgm
	.section	.rodata,"a",@progbits
	.p2align	6, 0x0
	.amdhsa_kernel _ZN2at6native12_GLOBAL__N_135GammaBetaBackwardCUDAKernelTemplateIN3c108BFloat16EfLj64ELj1ELj32ELb1ELb0ELb1EEEvllPKT_S7_PKT0_SA_PS5_SB_
		.amdhsa_group_segment_fixed_size 0
		.amdhsa_private_segment_fixed_size 316
		.amdhsa_kernarg_size 320
		.amdhsa_user_sgpr_count 2
		.amdhsa_user_sgpr_dispatch_ptr 0
		.amdhsa_user_sgpr_queue_ptr 0
		.amdhsa_user_sgpr_kernarg_segment_ptr 1
		.amdhsa_user_sgpr_dispatch_id 0
		.amdhsa_user_sgpr_private_segment_size 0
		.amdhsa_wavefront_size32 1
		.amdhsa_uses_dynamic_stack 0
		.amdhsa_enable_private_segment 1
		.amdhsa_system_sgpr_workgroup_id_x 1
		.amdhsa_system_sgpr_workgroup_id_y 1
		.amdhsa_system_sgpr_workgroup_id_z 0
		.amdhsa_system_sgpr_workgroup_info 0
		.amdhsa_system_vgpr_workitem_id 1
		.amdhsa_next_free_vgpr 256
		.amdhsa_next_free_sgpr 32
		.amdhsa_reserve_vcc 1
		.amdhsa_float_round_mode_32 0
		.amdhsa_float_round_mode_16_64 0
		.amdhsa_float_denorm_mode_32 3
		.amdhsa_float_denorm_mode_16_64 3
		.amdhsa_fp16_overflow 0
		.amdhsa_workgroup_processor_mode 1
		.amdhsa_memory_ordered 1
		.amdhsa_forward_progress 1
		.amdhsa_inst_pref_size 255
		.amdhsa_round_robin_scheduling 0
		.amdhsa_exception_fp_ieee_invalid_op 0
		.amdhsa_exception_fp_denorm_src 0
		.amdhsa_exception_fp_ieee_div_zero 0
		.amdhsa_exception_fp_ieee_overflow 0
		.amdhsa_exception_fp_ieee_underflow 0
		.amdhsa_exception_fp_ieee_inexact 0
		.amdhsa_exception_int_div_zero 0
	.end_amdhsa_kernel
	.section	.text._ZN2at6native12_GLOBAL__N_135GammaBetaBackwardCUDAKernelTemplateIN3c108BFloat16EfLj64ELj1ELj32ELb1ELb0ELb1EEEvllPKT_S7_PKT0_SA_PS5_SB_,"axG",@progbits,_ZN2at6native12_GLOBAL__N_135GammaBetaBackwardCUDAKernelTemplateIN3c108BFloat16EfLj64ELj1ELj32ELb1ELb0ELb1EEEvllPKT_S7_PKT0_SA_PS5_SB_,comdat
.Lfunc_end189:
	.size	_ZN2at6native12_GLOBAL__N_135GammaBetaBackwardCUDAKernelTemplateIN3c108BFloat16EfLj64ELj1ELj32ELb1ELb0ELb1EEEvllPKT_S7_PKT0_SA_PS5_SB_, .Lfunc_end189-_ZN2at6native12_GLOBAL__N_135GammaBetaBackwardCUDAKernelTemplateIN3c108BFloat16EfLj64ELj1ELj32ELb1ELb0ELb1EEEvllPKT_S7_PKT0_SA_PS5_SB_
                                        ; -- End function
	.set _ZN2at6native12_GLOBAL__N_135GammaBetaBackwardCUDAKernelTemplateIN3c108BFloat16EfLj64ELj1ELj32ELb1ELb0ELb1EEEvllPKT_S7_PKT0_SA_PS5_SB_.num_vgpr, 256
	.set _ZN2at6native12_GLOBAL__N_135GammaBetaBackwardCUDAKernelTemplateIN3c108BFloat16EfLj64ELj1ELj32ELb1ELb0ELb1EEEvllPKT_S7_PKT0_SA_PS5_SB_.num_agpr, 0
	.set _ZN2at6native12_GLOBAL__N_135GammaBetaBackwardCUDAKernelTemplateIN3c108BFloat16EfLj64ELj1ELj32ELb1ELb0ELb1EEEvllPKT_S7_PKT0_SA_PS5_SB_.numbered_sgpr, 32
	.set _ZN2at6native12_GLOBAL__N_135GammaBetaBackwardCUDAKernelTemplateIN3c108BFloat16EfLj64ELj1ELj32ELb1ELb0ELb1EEEvllPKT_S7_PKT0_SA_PS5_SB_.num_named_barrier, 0
	.set _ZN2at6native12_GLOBAL__N_135GammaBetaBackwardCUDAKernelTemplateIN3c108BFloat16EfLj64ELj1ELj32ELb1ELb0ELb1EEEvllPKT_S7_PKT0_SA_PS5_SB_.private_seg_size, 316
	.set _ZN2at6native12_GLOBAL__N_135GammaBetaBackwardCUDAKernelTemplateIN3c108BFloat16EfLj64ELj1ELj32ELb1ELb0ELb1EEEvllPKT_S7_PKT0_SA_PS5_SB_.uses_vcc, 1
	.set _ZN2at6native12_GLOBAL__N_135GammaBetaBackwardCUDAKernelTemplateIN3c108BFloat16EfLj64ELj1ELj32ELb1ELb0ELb1EEEvllPKT_S7_PKT0_SA_PS5_SB_.uses_flat_scratch, 1
	.set _ZN2at6native12_GLOBAL__N_135GammaBetaBackwardCUDAKernelTemplateIN3c108BFloat16EfLj64ELj1ELj32ELb1ELb0ELb1EEEvllPKT_S7_PKT0_SA_PS5_SB_.has_dyn_sized_stack, 0
	.set _ZN2at6native12_GLOBAL__N_135GammaBetaBackwardCUDAKernelTemplateIN3c108BFloat16EfLj64ELj1ELj32ELb1ELb0ELb1EEEvllPKT_S7_PKT0_SA_PS5_SB_.has_recursion, 0
	.set _ZN2at6native12_GLOBAL__N_135GammaBetaBackwardCUDAKernelTemplateIN3c108BFloat16EfLj64ELj1ELj32ELb1ELb0ELb1EEEvllPKT_S7_PKT0_SA_PS5_SB_.has_indirect_call, 0
	.section	.AMDGPU.csdata,"",@progbits
; Kernel info:
; codeLenInByte = 37736
; TotalNumSgprs: 34
; NumVgprs: 256
; ScratchSize: 316
; MemoryBound: 0
; FloatMode: 240
; IeeeMode: 1
; LDSByteSize: 0 bytes/workgroup (compile time only)
; SGPRBlocks: 0
; VGPRBlocks: 31
; NumSGPRsForWavesPerEU: 34
; NumVGPRsForWavesPerEU: 256
; Occupancy: 5
; WaveLimiterHint : 0
; COMPUTE_PGM_RSRC2:SCRATCH_EN: 1
; COMPUTE_PGM_RSRC2:USER_SGPR: 2
; COMPUTE_PGM_RSRC2:TRAP_HANDLER: 0
; COMPUTE_PGM_RSRC2:TGID_X_EN: 1
; COMPUTE_PGM_RSRC2:TGID_Y_EN: 1
; COMPUTE_PGM_RSRC2:TGID_Z_EN: 0
; COMPUTE_PGM_RSRC2:TIDIG_COMP_CNT: 1
	.section	.text._ZN2at6native12_GLOBAL__N_135GammaBetaBackwardCUDAKernelTemplateIN3c108BFloat16EfLj64ELj1ELj8ELb1ELb1ELb1EEEvllPKT_S7_PKT0_SA_PS5_SB_,"axG",@progbits,_ZN2at6native12_GLOBAL__N_135GammaBetaBackwardCUDAKernelTemplateIN3c108BFloat16EfLj64ELj1ELj8ELb1ELb1ELb1EEEvllPKT_S7_PKT0_SA_PS5_SB_,comdat
	.globl	_ZN2at6native12_GLOBAL__N_135GammaBetaBackwardCUDAKernelTemplateIN3c108BFloat16EfLj64ELj1ELj8ELb1ELb1ELb1EEEvllPKT_S7_PKT0_SA_PS5_SB_ ; -- Begin function _ZN2at6native12_GLOBAL__N_135GammaBetaBackwardCUDAKernelTemplateIN3c108BFloat16EfLj64ELj1ELj8ELb1ELb1ELb1EEEvllPKT_S7_PKT0_SA_PS5_SB_
	.p2align	8
	.type	_ZN2at6native12_GLOBAL__N_135GammaBetaBackwardCUDAKernelTemplateIN3c108BFloat16EfLj64ELj1ELj8ELb1ELb1ELb1EEEvllPKT_S7_PKT0_SA_PS5_SB_,@function
_ZN2at6native12_GLOBAL__N_135GammaBetaBackwardCUDAKernelTemplateIN3c108BFloat16EfLj64ELj1ELj8ELb1ELb1ELb1EEEvllPKT_S7_PKT0_SA_PS5_SB_: ; @_ZN2at6native12_GLOBAL__N_135GammaBetaBackwardCUDAKernelTemplateIN3c108BFloat16EfLj64ELj1ELj8ELb1ELb1ELb1EEEvllPKT_S7_PKT0_SA_PS5_SB_
; %bb.0:
	s_clause 0x1
	s_load_b128 s[4:7], s[0:1], 0x0
	s_load_b64 s[12:13], s[0:1], 0x30
	s_lshl_b32 s14, ttmp7, 3
	s_mov_b32 s15, 0
	v_mov_b32_e32 v8, 0
	v_bfe_u32 v1, v0, 10, 10
	v_and_b32_e32 v0, 0x3ff, v0
	s_wait_kmcnt 0x0
	v_cmp_le_i64_e64 s2, s[4:5], s[14:15]
	s_and_b32 vcc_lo, exec_lo, s2
	s_cbranch_vccnz .LBB190_7
; %bb.1:
	s_load_b32 s2, s[0:1], 0x4c
	v_dual_mov_b32 v9, 8 :: v_dual_lshlrev_b32 v2, 3, v1
	s_clause 0x2
	s_load_b32 s3, s[0:1], 0x44
	s_load_b128 s[8:11], s[0:1], 0x10
	s_load_b64 s[18:19], s[0:1], 0x28
	v_dual_mov_b32 v3, 0 :: v_dual_mov_b32 v10, 4
	v_add_co_u32 v4, s16, v2, s14
	s_delay_alu instid0(VALU_DEP_1) | instskip(SKIP_1) | instid1(VALU_DEP_3)
	v_add_co_ci_u32_e64 v5, null, 0, 0, s16
	v_lshl_or_b32 v2, ttmp9, 6, v0
	v_mul_lo_u32 v8, s7, v4
	v_mad_co_u64_u32 v[6:7], null, s6, v4, 0
	s_delay_alu instid0(VALU_DEP_4) | instskip(NEXT) | instid1(VALU_DEP_4)
	v_mul_lo_u32 v17, s6, v5
	v_lshlrev_b64_e32 v[15:16], 1, v[2:3]
	s_mov_b32 s17, s15
	v_dual_mov_b32 v11, 12 :: v_dual_mov_b32 v12, 16
	v_mov_b32_e32 v13, 20
	s_wait_kmcnt 0x0
	s_and_b32 s2, s2, 0xffff
	s_lshl_b32 s16, s3, 3
	v_mad_u32_u24 v14, v1, s2, v0
	v_add3_u32 v7, v7, v17, v8
	v_mov_b32_e32 v8, 0
	s_wait_alu 0xfffe
	s_mul_u64 s[20:21], s[6:7], s[16:17]
	s_lshl_b64 s[22:23], s[6:7], 1
	v_dual_mov_b32 v2, 28 :: v_dual_and_b32 v19, 31, v14
	v_lshlrev_b64_e32 v[6:7], 1, v[6:7]
	v_mov_b32_e32 v14, 24
	s_lshl_b64 s[20:21], s[20:21], 1
	s_delay_alu instid0(VALU_DEP_3) | instskip(NEXT) | instid1(VALU_DEP_1)
	v_add_co_u32 v4, vcc_lo, v4, v19
	v_add_co_ci_u32_e64 v5, null, 0, v5, vcc_lo
	s_delay_alu instid0(VALU_DEP_4) | instskip(SKIP_2) | instid1(VALU_DEP_3)
	v_add_co_u32 v15, vcc_lo, v6, v15
	s_wait_alu 0xfffd
	v_add_co_ci_u32_e64 v16, null, v7, v16, vcc_lo
	v_lshlrev_b64_e32 v[17:18], 2, v[4:5]
	v_cmp_gt_u32_e64 s2, 8, v19
	s_delay_alu instid0(VALU_DEP_2) | instskip(SKIP_1) | instid1(VALU_DEP_3)
	v_add_co_u32 v6, vcc_lo, s18, v17
	s_wait_alu 0xfffd
	v_add_co_ci_u32_e64 v7, null, s19, v18, vcc_lo
	s_lshl_b64 s[18:19], s[16:17], 2
	s_branch .LBB190_4
.LBB190_2:                              ;   in Loop: Header=BB190_4 Depth=1
	s_or_b32 exec_lo, exec_lo, s24
.LBB190_3:                              ;   in Loop: Header=BB190_4 Depth=1
	s_wait_alu 0xfffe
	s_or_b32 exec_lo, exec_lo, s3
	v_add_co_u32 v18, vcc_lo, s8, v15
	s_wait_alu 0xfffd
	v_add_co_ci_u32_e64 v19, null, s9, v16, vcc_lo
	v_add_co_u32 v20, vcc_lo, s10, v15
	s_wait_alu 0xfffd
	v_add_co_ci_u32_e64 v21, null, s11, v16, vcc_lo
	global_load_u16 v28, v[18:19], off
	global_load_u16 v29, v[20:21], off
	v_add_co_u32 v18, vcc_lo, v18, s22
	s_wait_alu 0xfffd
	v_add_co_ci_u32_e64 v19, null, s23, v19, vcc_lo
	v_add_co_u32 v20, vcc_lo, v20, s22
	s_wait_alu 0xfffd
	v_add_co_ci_u32_e64 v21, null, s23, v21, vcc_lo
	global_load_u16 v30, v[18:19], off
	v_add_co_u32 v18, vcc_lo, v18, s22
	s_wait_alu 0xfffd
	v_add_co_ci_u32_e64 v19, null, s23, v19, vcc_lo
	v_add_co_u32 v22, vcc_lo, v20, s22
	s_wait_alu 0xfffd
	v_add_co_ci_u32_e64 v23, null, s23, v21, vcc_lo
	;; [unrolled: 3-line block ×4, first 2 shown]
	global_load_u16 v31, v[20:21], off
	global_load_u16 v32, v[18:19], off
	;; [unrolled: 1-line block ×5, first 2 shown]
	v_add_co_u32 v18, vcc_lo, v26, s22
	s_wait_alu 0xfffd
	v_add_co_ci_u32_e64 v19, null, s23, v27, vcc_lo
	v_add_co_u32 v20, vcc_lo, v24, s22
	s_wait_alu 0xfffd
	v_add_co_ci_u32_e64 v21, null, s23, v25, vcc_lo
	global_load_u16 v36, v[18:19], off
	v_add_co_u32 v22, vcc_lo, v20, s22
	s_wait_alu 0xfffd
	v_add_co_ci_u32_e64 v23, null, s23, v21, vcc_lo
	v_add_co_u32 v18, vcc_lo, v18, s22
	s_wait_alu 0xfffd
	v_add_co_ci_u32_e64 v19, null, s23, v19, vcc_lo
	;; [unrolled: 3-line block ×4, first 2 shown]
	s_clause 0x1
	global_load_u16 v37, v[20:21], off
	global_load_u16 v22, v[22:23], off
	;; [unrolled: 1-line block ×5, first 2 shown]
	v_add_co_u32 v18, vcc_lo, v26, s22
	s_wait_alu 0xfffd
	v_add_co_ci_u32_e64 v19, null, s23, v27, vcc_lo
	v_add_co_u32 v20, vcc_lo, v24, s22
	s_wait_alu 0xfffd
	v_add_co_ci_u32_e64 v21, null, s23, v25, vcc_lo
	global_load_u16 v18, v[18:19], off
	global_load_u16 v19, v[20:21], off
	s_wait_loadcnt 0x10
	ds_bpermute_b32 v20, v3, v17
	ds_bpermute_b32 v21, v10, v17
	;; [unrolled: 1-line block ×3, first 2 shown]
	v_add_co_u32 v6, vcc_lo, v6, s18
	s_add_nc_u64 s[14:15], s[14:15], s[16:17]
	s_wait_alu 0xfffd
	v_add_co_ci_u32_e64 v7, null, s19, v7, vcc_lo
	v_add_co_u32 v4, vcc_lo, v4, s16
	s_wait_alu 0xfffe
	v_cmp_lt_i64_e64 s3, s[14:15], s[4:5]
	s_wait_alu 0xfffd
	v_add_co_ci_u32_e64 v5, null, 0, v5, vcc_lo
	v_add_co_u32 v15, vcc_lo, v15, s20
	s_wait_alu 0xfffd
	v_add_co_ci_u32_e64 v16, null, s21, v16, vcc_lo
	s_and_b32 vcc_lo, exec_lo, s3
	s_wait_loadcnt 0xf
	v_lshlrev_b32_e32 v25, 16, v28
	s_wait_loadcnt 0xe
	v_lshlrev_b32_e32 v24, 16, v29
	ds_bpermute_b32 v28, v11, v17
	s_wait_loadcnt 0xd
	v_dual_mul_f32 v24, v25, v24 :: v_dual_lshlrev_b32 v25, 16, v30
	s_wait_loadcnt_dscnt 0xc03
	s_delay_alu instid0(VALU_DEP_1) | instskip(SKIP_3) | instid1(VALU_DEP_2)
	v_dual_fmac_f32 v8, v24, v20 :: v_dual_lshlrev_b32 v27, 16, v31
	s_wait_loadcnt 0xb
	v_lshlrev_b32_e32 v24, 16, v32
	s_wait_loadcnt 0xa
	v_dual_mul_f32 v20, v25, v27 :: v_dual_lshlrev_b32 v29, 16, v33
	ds_bpermute_b32 v25, v12, v17
	s_wait_loadcnt_dscnt 0x803
	v_dual_fmac_f32 v8, v20, v21 :: v_dual_lshlrev_b32 v27, 16, v35
	v_mul_f32_e32 v20, v24, v29
	ds_bpermute_b32 v24, v13, v17
	s_wait_loadcnt_dscnt 0x703
	v_dual_fmac_f32 v8, v20, v26 :: v_dual_lshlrev_b32 v29, 16, v36
	v_lshlrev_b32_e32 v21, 16, v34
	ds_bpermute_b32 v26, v14, v17
	ds_bpermute_b32 v17, v2, v17
	s_wait_loadcnt 0x6
	v_dual_mul_f32 v20, v21, v27 :: v_dual_lshlrev_b32 v21, 16, v37
	s_wait_loadcnt_dscnt 0x404
	s_delay_alu instid0(VALU_DEP_1) | instskip(NEXT) | instid1(VALU_DEP_2)
	v_dual_fmac_f32 v8, v20, v28 :: v_dual_lshlrev_b32 v23, 16, v23
	v_dual_mul_f32 v20, v21, v29 :: v_dual_lshlrev_b32 v21, 16, v22
	s_wait_loadcnt 0x2
	v_lshlrev_b32_e32 v22, 16, v39
	s_wait_dscnt 0x3
	s_delay_alu instid0(VALU_DEP_2) | instskip(SKIP_4) | instid1(VALU_DEP_2)
	v_dual_fmac_f32 v8, v20, v25 :: v_dual_lshlrev_b32 v27, 16, v38
	v_mul_f32_e32 v20, v21, v23
	s_wait_loadcnt 0x1
	v_lshlrev_b32_e32 v18, 16, v18
	s_wait_loadcnt_dscnt 0x2
	v_dual_fmac_f32 v8, v20, v24 :: v_dual_lshlrev_b32 v19, 16, v19
	v_mul_f32_e32 v20, v27, v22
	s_delay_alu instid0(VALU_DEP_2) | instskip(SKIP_1) | instid1(VALU_DEP_2)
	v_mul_f32_e32 v18, v19, v18
	s_wait_dscnt 0x1
	v_fmac_f32_e32 v8, v20, v26
	s_wait_dscnt 0x0
	s_delay_alu instid0(VALU_DEP_1)
	v_fmac_f32_e32 v8, v18, v17
	s_wait_alu 0xfffe
	s_cbranch_vccz .LBB190_7
.LBB190_4:                              ; =>This Inner Loop Header: Depth=1
	v_mov_b32_e32 v17, 0
	s_and_saveexec_b32 s3, s2
	s_cbranch_execz .LBB190_3
; %bb.5:                                ;   in Loop: Header=BB190_4 Depth=1
	v_mov_b32_e32 v17, 0
	s_mov_b32 s24, exec_lo
	v_cmpx_gt_i64_e64 s[4:5], v[4:5]
	s_cbranch_execz .LBB190_2
; %bb.6:                                ;   in Loop: Header=BB190_4 Depth=1
	global_load_b32 v17, v[6:7], off
	s_branch .LBB190_2
.LBB190_7:
	s_cmp_eq_u64 s[12:13], 0
	s_cbranch_scc1 .LBB190_9
; %bb.8:
	s_load_u16 s0, s[0:1], 0x4e
	v_mov_b32_e32 v2, 0
	s_mov_b32 s2, ttmp9
	s_mov_b32 s3, 0
	v_lshlrev_b32_e32 v0, 1, v0
	s_wait_kmcnt 0x0
	v_mad_co_u64_u32 v[1:2], null, s0, ttmp7, v[1:2]
	s_wait_alu 0xfffe
	s_lshl_b64 s[0:1], s[2:3], 7
	s_delay_alu instid0(VALU_DEP_1) | instskip(NEXT) | instid1(VALU_DEP_2)
	v_mul_lo_u32 v3, v2, s6
	v_mul_lo_u32 v4, v1, s7
	v_mad_co_u64_u32 v[1:2], null, v1, s6, 0
	s_delay_alu instid0(VALU_DEP_1) | instskip(SKIP_1) | instid1(VALU_DEP_2)
	v_add3_u32 v2, v2, v4, v3
	v_bfe_u32 v3, v8, 16, 1
	v_lshlrev_b64_e32 v[1:2], 1, v[1:2]
	s_delay_alu instid0(VALU_DEP_2) | instskip(NEXT) | instid1(VALU_DEP_1)
	v_add3_u32 v3, v8, v3, 0x7fff
	v_lshrrev_b32_e32 v3, 16, v3
	s_delay_alu instid0(VALU_DEP_3) | instskip(SKIP_1) | instid1(VALU_DEP_4)
	v_add_co_u32 v1, vcc_lo, s12, v1
	s_wait_alu 0xfffd
	v_add_co_ci_u32_e64 v2, null, s13, v2, vcc_lo
	s_wait_alu 0xfffe
	s_delay_alu instid0(VALU_DEP_2) | instskip(SKIP_1) | instid1(VALU_DEP_2)
	v_add_co_u32 v1, vcc_lo, v1, s0
	s_wait_alu 0xfffd
	v_add_co_ci_u32_e64 v2, null, s1, v2, vcc_lo
	v_cmp_o_f32_e32 vcc_lo, v8, v8
	s_wait_alu 0xfffd
	v_cndmask_b32_e32 v3, 0x7fc0, v3, vcc_lo
	v_add_co_u32 v0, vcc_lo, v1, v0
	s_wait_alu 0xfffd
	v_add_co_ci_u32_e64 v1, null, 0, v2, vcc_lo
	global_store_b16 v[0:1], v3, off
.LBB190_9:
	s_endpgm
	.section	.rodata,"a",@progbits
	.p2align	6, 0x0
	.amdhsa_kernel _ZN2at6native12_GLOBAL__N_135GammaBetaBackwardCUDAKernelTemplateIN3c108BFloat16EfLj64ELj1ELj8ELb1ELb1ELb1EEEvllPKT_S7_PKT0_SA_PS5_SB_
		.amdhsa_group_segment_fixed_size 0
		.amdhsa_private_segment_fixed_size 0
		.amdhsa_kernarg_size 320
		.amdhsa_user_sgpr_count 2
		.amdhsa_user_sgpr_dispatch_ptr 0
		.amdhsa_user_sgpr_queue_ptr 0
		.amdhsa_user_sgpr_kernarg_segment_ptr 1
		.amdhsa_user_sgpr_dispatch_id 0
		.amdhsa_user_sgpr_private_segment_size 0
		.amdhsa_wavefront_size32 1
		.amdhsa_uses_dynamic_stack 0
		.amdhsa_enable_private_segment 0
		.amdhsa_system_sgpr_workgroup_id_x 1
		.amdhsa_system_sgpr_workgroup_id_y 1
		.amdhsa_system_sgpr_workgroup_id_z 0
		.amdhsa_system_sgpr_workgroup_info 0
		.amdhsa_system_vgpr_workitem_id 1
		.amdhsa_next_free_vgpr 40
		.amdhsa_next_free_sgpr 25
		.amdhsa_reserve_vcc 1
		.amdhsa_float_round_mode_32 0
		.amdhsa_float_round_mode_16_64 0
		.amdhsa_float_denorm_mode_32 3
		.amdhsa_float_denorm_mode_16_64 3
		.amdhsa_fp16_overflow 0
		.amdhsa_workgroup_processor_mode 1
		.amdhsa_memory_ordered 1
		.amdhsa_forward_progress 1
		.amdhsa_inst_pref_size 12
		.amdhsa_round_robin_scheduling 0
		.amdhsa_exception_fp_ieee_invalid_op 0
		.amdhsa_exception_fp_denorm_src 0
		.amdhsa_exception_fp_ieee_div_zero 0
		.amdhsa_exception_fp_ieee_overflow 0
		.amdhsa_exception_fp_ieee_underflow 0
		.amdhsa_exception_fp_ieee_inexact 0
		.amdhsa_exception_int_div_zero 0
	.end_amdhsa_kernel
	.section	.text._ZN2at6native12_GLOBAL__N_135GammaBetaBackwardCUDAKernelTemplateIN3c108BFloat16EfLj64ELj1ELj8ELb1ELb1ELb1EEEvllPKT_S7_PKT0_SA_PS5_SB_,"axG",@progbits,_ZN2at6native12_GLOBAL__N_135GammaBetaBackwardCUDAKernelTemplateIN3c108BFloat16EfLj64ELj1ELj8ELb1ELb1ELb1EEEvllPKT_S7_PKT0_SA_PS5_SB_,comdat
.Lfunc_end190:
	.size	_ZN2at6native12_GLOBAL__N_135GammaBetaBackwardCUDAKernelTemplateIN3c108BFloat16EfLj64ELj1ELj8ELb1ELb1ELb1EEEvllPKT_S7_PKT0_SA_PS5_SB_, .Lfunc_end190-_ZN2at6native12_GLOBAL__N_135GammaBetaBackwardCUDAKernelTemplateIN3c108BFloat16EfLj64ELj1ELj8ELb1ELb1ELb1EEEvllPKT_S7_PKT0_SA_PS5_SB_
                                        ; -- End function
	.set _ZN2at6native12_GLOBAL__N_135GammaBetaBackwardCUDAKernelTemplateIN3c108BFloat16EfLj64ELj1ELj8ELb1ELb1ELb1EEEvllPKT_S7_PKT0_SA_PS5_SB_.num_vgpr, 40
	.set _ZN2at6native12_GLOBAL__N_135GammaBetaBackwardCUDAKernelTemplateIN3c108BFloat16EfLj64ELj1ELj8ELb1ELb1ELb1EEEvllPKT_S7_PKT0_SA_PS5_SB_.num_agpr, 0
	.set _ZN2at6native12_GLOBAL__N_135GammaBetaBackwardCUDAKernelTemplateIN3c108BFloat16EfLj64ELj1ELj8ELb1ELb1ELb1EEEvllPKT_S7_PKT0_SA_PS5_SB_.numbered_sgpr, 25
	.set _ZN2at6native12_GLOBAL__N_135GammaBetaBackwardCUDAKernelTemplateIN3c108BFloat16EfLj64ELj1ELj8ELb1ELb1ELb1EEEvllPKT_S7_PKT0_SA_PS5_SB_.num_named_barrier, 0
	.set _ZN2at6native12_GLOBAL__N_135GammaBetaBackwardCUDAKernelTemplateIN3c108BFloat16EfLj64ELj1ELj8ELb1ELb1ELb1EEEvllPKT_S7_PKT0_SA_PS5_SB_.private_seg_size, 0
	.set _ZN2at6native12_GLOBAL__N_135GammaBetaBackwardCUDAKernelTemplateIN3c108BFloat16EfLj64ELj1ELj8ELb1ELb1ELb1EEEvllPKT_S7_PKT0_SA_PS5_SB_.uses_vcc, 1
	.set _ZN2at6native12_GLOBAL__N_135GammaBetaBackwardCUDAKernelTemplateIN3c108BFloat16EfLj64ELj1ELj8ELb1ELb1ELb1EEEvllPKT_S7_PKT0_SA_PS5_SB_.uses_flat_scratch, 0
	.set _ZN2at6native12_GLOBAL__N_135GammaBetaBackwardCUDAKernelTemplateIN3c108BFloat16EfLj64ELj1ELj8ELb1ELb1ELb1EEEvllPKT_S7_PKT0_SA_PS5_SB_.has_dyn_sized_stack, 0
	.set _ZN2at6native12_GLOBAL__N_135GammaBetaBackwardCUDAKernelTemplateIN3c108BFloat16EfLj64ELj1ELj8ELb1ELb1ELb1EEEvllPKT_S7_PKT0_SA_PS5_SB_.has_recursion, 0
	.set _ZN2at6native12_GLOBAL__N_135GammaBetaBackwardCUDAKernelTemplateIN3c108BFloat16EfLj64ELj1ELj8ELb1ELb1ELb1EEEvllPKT_S7_PKT0_SA_PS5_SB_.has_indirect_call, 0
	.section	.AMDGPU.csdata,"",@progbits
; Kernel info:
; codeLenInByte = 1524
; TotalNumSgprs: 27
; NumVgprs: 40
; ScratchSize: 0
; MemoryBound: 0
; FloatMode: 240
; IeeeMode: 1
; LDSByteSize: 0 bytes/workgroup (compile time only)
; SGPRBlocks: 0
; VGPRBlocks: 4
; NumSGPRsForWavesPerEU: 27
; NumVGPRsForWavesPerEU: 40
; Occupancy: 16
; WaveLimiterHint : 0
; COMPUTE_PGM_RSRC2:SCRATCH_EN: 0
; COMPUTE_PGM_RSRC2:USER_SGPR: 2
; COMPUTE_PGM_RSRC2:TRAP_HANDLER: 0
; COMPUTE_PGM_RSRC2:TGID_X_EN: 1
; COMPUTE_PGM_RSRC2:TGID_Y_EN: 1
; COMPUTE_PGM_RSRC2:TGID_Z_EN: 0
; COMPUTE_PGM_RSRC2:TIDIG_COMP_CNT: 1
	.section	.text._ZN2at6native12_GLOBAL__N_135GammaBetaBackwardCUDAKernelTemplateIN3c108BFloat16EfLj64ELj1ELj8ELb1ELb0ELb1EEEvllPKT_S7_PKT0_SA_PS5_SB_,"axG",@progbits,_ZN2at6native12_GLOBAL__N_135GammaBetaBackwardCUDAKernelTemplateIN3c108BFloat16EfLj64ELj1ELj8ELb1ELb0ELb1EEEvllPKT_S7_PKT0_SA_PS5_SB_,comdat
	.globl	_ZN2at6native12_GLOBAL__N_135GammaBetaBackwardCUDAKernelTemplateIN3c108BFloat16EfLj64ELj1ELj8ELb1ELb0ELb1EEEvllPKT_S7_PKT0_SA_PS5_SB_ ; -- Begin function _ZN2at6native12_GLOBAL__N_135GammaBetaBackwardCUDAKernelTemplateIN3c108BFloat16EfLj64ELj1ELj8ELb1ELb0ELb1EEEvllPKT_S7_PKT0_SA_PS5_SB_
	.p2align	8
	.type	_ZN2at6native12_GLOBAL__N_135GammaBetaBackwardCUDAKernelTemplateIN3c108BFloat16EfLj64ELj1ELj8ELb1ELb0ELb1EEEvllPKT_S7_PKT0_SA_PS5_SB_,@function
_ZN2at6native12_GLOBAL__N_135GammaBetaBackwardCUDAKernelTemplateIN3c108BFloat16EfLj64ELj1ELj8ELb1ELb0ELb1EEEvllPKT_S7_PKT0_SA_PS5_SB_: ; @_ZN2at6native12_GLOBAL__N_135GammaBetaBackwardCUDAKernelTemplateIN3c108BFloat16EfLj64ELj1ELj8ELb1ELb0ELb1EEEvllPKT_S7_PKT0_SA_PS5_SB_
; %bb.0:
	s_clause 0x1
	s_load_b256 s[4:11], s[0:1], 0x0
	s_load_b64 s[12:13], s[0:1], 0x28
	s_lshl_b32 s28, ttmp9, 6
	s_mov_b32 s15, 0
	s_or_b32 s14, s28, 63
	s_wait_kmcnt 0x0
	v_cmp_le_i64_e64 s2, s[6:7], s[14:15]
	s_lshl_b32 s14, ttmp7, 3
	s_wait_alu 0xfffe
	v_cmp_gt_i64_e64 s29, s[4:5], s[14:15]
	s_and_b32 vcc_lo, exec_lo, s2
	v_cndmask_b32_e64 v1, 0, 1, s29
	s_delay_alu instid0(VALU_DEP_1)
	v_cmp_ne_u32_e64 s2, 1, v1
	s_cbranch_vccz .LBB191_49
; %bb.1:
	v_mov_b32_e32 v87, 0
	s_and_b32 vcc_lo, exec_lo, s2
	s_cbranch_vccnz .LBB191_50
; %bb.2:
	v_bfe_u32 v22, v0, 10, 10
	v_dual_mov_b32 v1, 0 :: v_dual_and_b32 v24, 0x3ff, v0
	s_load_b32 s3, s[0:1], 0x44
	s_mov_b32 s17, 0
	s_delay_alu instid0(VALU_DEP_2) | instskip(NEXT) | instid1(VALU_DEP_2)
	v_dual_mov_b32 v58, 0 :: v_dual_lshlrev_b32 v23, 3, v22
	v_dual_mov_b32 v5, v1 :: v_dual_add_nc_u32 v4, s28, v24
	s_mov_b32 s21, s17
	s_delay_alu instid0(VALU_DEP_2) | instskip(NEXT) | instid1(VALU_DEP_1)
	v_add_co_u32 v10, s2, v23, s14
	v_add_co_ci_u32_e64 v11, null, 0, 0, s2
	s_delay_alu instid0(VALU_DEP_3) | instskip(NEXT) | instid1(VALU_DEP_3)
	v_cmp_gt_i64_e64 s2, s[6:7], v[4:5]
	v_mul_lo_u32 v6, s7, v10
	v_mad_co_u64_u32 v[2:3], null, s6, v10, 0
	s_delay_alu instid0(VALU_DEP_4)
	v_mul_lo_u32 v7, s6, v11
	v_lshlrev_b64_e32 v[18:19], 1, v[4:5]
	v_mov_b32_e32 v25, v1
	s_add_nc_u64 s[18:19], s[0:1], 64
	s_mov_b64 s[24:25], 7
	s_wait_kmcnt 0x0
	s_lshl_b32 s20, s3, 3
	s_mov_b64 s[26:27], s[14:15]
	s_mul_u64 s[22:23], s[6:7], s[20:21]
	v_add3_u32 v3, v3, v7, v6
	v_add_co_u32 v6, vcc_lo, v10, 7
	s_delay_alu instid0(VALU_DEP_1)
	v_add_co_ci_u32_e64 v7, null, 0, v11, vcc_lo
	v_add_co_u32 v8, vcc_lo, v10, 6
	s_wait_alu 0xfffd
	v_add_co_ci_u32_e64 v9, null, 0, v11, vcc_lo
	v_lshlrev_b64_e32 v[4:5], 1, v[2:3]
	v_mul_lo_u32 v12, s7, v6
	v_mul_lo_u32 v13, s6, v7
	v_mad_co_u64_u32 v[6:7], null, s6, v6, 0
	v_mul_lo_u32 v14, s7, v8
	v_mul_lo_u32 v15, s6, v9
	v_mad_co_u64_u32 v[8:9], null, s6, v8, 0
	v_add_co_u32 v26, vcc_lo, s8, v4
	s_wait_alu 0xfffd
	v_add_co_ci_u32_e64 v27, null, s9, v5, vcc_lo
	v_add_co_u32 v28, vcc_lo, s10, v4
	v_add3_u32 v7, v7, v13, v12
	s_wait_alu 0xfffd
	v_add_co_ci_u32_e64 v29, null, s11, v5, vcc_lo
	v_add_co_u32 v12, vcc_lo, v10, 5
	v_add3_u32 v9, v9, v15, v14
	s_wait_alu 0xfffd
	v_add_co_ci_u32_e64 v13, null, 0, v11, vcc_lo
	v_lshlrev_b64_e32 v[4:5], 1, v[6:7]
	v_mul_lo_u32 v14, s7, v12
	v_lshlrev_b64_e32 v[6:7], 1, v[8:9]
	s_delay_alu instid0(VALU_DEP_4)
	v_mul_lo_u32 v13, s6, v13
	v_mad_co_u64_u32 v[8:9], null, s6, v12, 0
	v_add_co_u32 v30, vcc_lo, s8, v4
	s_wait_alu 0xfffd
	v_add_co_ci_u32_e64 v31, null, s9, v5, vcc_lo
	v_add_co_u32 v32, vcc_lo, s10, v4
	s_wait_alu 0xfffd
	v_add_co_ci_u32_e64 v33, null, s11, v5, vcc_lo
	v_add_co_u32 v34, vcc_lo, s8, v6
	v_add3_u32 v9, v9, v13, v14
	s_wait_alu 0xfffd
	v_add_co_ci_u32_e64 v35, null, s9, v7, vcc_lo
	v_add_co_u32 v12, vcc_lo, v10, 4
	v_add_co_u32 v36, s3, s10, v6
	s_wait_alu 0xfffd
	v_add_co_ci_u32_e64 v6, null, 0, v11, vcc_lo
	v_lshlrev_b64_e32 v[4:5], 1, v[8:9]
	v_add_co_u32 v8, vcc_lo, v10, 3
	s_wait_alu 0xfffd
	v_add_co_ci_u32_e64 v9, null, 0, v11, vcc_lo
	s_wait_alu 0xf1ff
	v_add_co_ci_u32_e64 v37, null, s11, v7, s3
	v_mul_lo_u32 v13, s7, v12
	v_mul_lo_u32 v14, s6, v6
	v_mad_co_u64_u32 v[6:7], null, s6, v12, 0
	v_mul_lo_u32 v12, s7, v8
	v_mul_lo_u32 v15, s6, v9
	v_mad_co_u64_u32 v[8:9], null, s6, v8, 0
	v_add_co_u32 v38, vcc_lo, s8, v4
	s_wait_alu 0xfffd
	v_add_co_ci_u32_e64 v39, null, s9, v5, vcc_lo
	v_add3_u32 v7, v7, v14, v13
	v_add_co_u32 v40, vcc_lo, s10, v4
	s_wait_alu 0xfffd
	v_add_co_ci_u32_e64 v41, null, s11, v5, vcc_lo
	v_add_co_u32 v10, vcc_lo, v10, 2
	v_add3_u32 v9, v9, v15, v12
	s_wait_alu 0xfffd
	v_add_co_ci_u32_e64 v11, null, 0, v11, vcc_lo
	v_lshlrev_b64_e32 v[4:5], 1, v[6:7]
	v_mul_lo_u32 v12, s7, v10
	v_lshlrev_b64_e32 v[6:7], 1, v[8:9]
	s_delay_alu instid0(VALU_DEP_4)
	v_mul_lo_u32 v11, s6, v11
	v_mad_co_u64_u32 v[8:9], null, s6, v10, 0
	v_add_co_u32 v42, vcc_lo, s8, v4
	s_wait_alu 0xfffd
	v_add_co_ci_u32_e64 v43, null, s9, v5, vcc_lo
	v_add_co_u32 v44, vcc_lo, s10, v4
	s_wait_alu 0xfffd
	v_add_co_ci_u32_e64 v45, null, s11, v5, vcc_lo
	;; [unrolled: 3-line block ×3, first 2 shown]
	v_add3_u32 v9, v9, v11, v12
	v_add_co_u32 v48, vcc_lo, s10, v6
	s_wait_alu 0xfffd
	v_add_co_ci_u32_e64 v49, null, s11, v7, vcc_lo
	v_add_co_u32 v2, vcc_lo, v2, s6
	s_wait_alu 0xfffd
	v_add_co_ci_u32_e64 v3, null, s7, v3, vcc_lo
	v_lshlrev_b64_e32 v[4:5], 1, v[8:9]
	s_lshl_b64 s[22:23], s[22:23], 1
	s_delay_alu instid0(VALU_DEP_2) | instskip(NEXT) | instid1(VALU_DEP_2)
	v_lshlrev_b64_e32 v[2:3], 1, v[2:3]
	v_add_co_u32 v50, vcc_lo, s8, v4
	s_wait_alu 0xfffd
	s_delay_alu instid0(VALU_DEP_3)
	v_add_co_ci_u32_e64 v51, null, s9, v5, vcc_lo
	v_add_co_u32 v52, vcc_lo, s10, v4
	s_wait_alu 0xfffd
	v_add_co_ci_u32_e64 v53, null, s11, v5, vcc_lo
	v_add_co_u32 v54, vcc_lo, s8, v2
	s_wait_alu 0xfffd
	;; [unrolled: 3-line block ×3, first 2 shown]
	v_add_co_ci_u32_e64 v57, null, s11, v3, vcc_lo
.LBB191_3:                              ; =>This Inner Loop Header: Depth=1
	s_add_nc_u64 s[30:31], s[14:15], s[24:25]
	v_add_co_u32 v20, vcc_lo, s14, v23
	s_wait_alu 0xfffe
	v_cmp_ge_i64_e64 s3, s[30:31], s[4:5]
	s_wait_alu 0xfffd
	v_add_co_ci_u32_e64 v21, null, 0, v25, vcc_lo
                                        ; implicit-def: $vgpr2_vgpr3_vgpr4_vgpr5_vgpr6_vgpr7_vgpr8_vgpr9
                                        ; implicit-def: $vgpr87
                                        ; implicit-def: $vgpr10_vgpr11_vgpr12_vgpr13_vgpr14_vgpr15_vgpr16_vgpr17
                                        ; implicit-def: $vgpr2
	s_and_b32 vcc_lo, exec_lo, s3
	s_mov_b32 s3, -1
	s_wait_alu 0xfffe
	s_cbranch_vccz .LBB191_25
; %bb.4:                                ;   in Loop: Header=BB191_3 Depth=1
	s_load_b32 s3, s[18:19], 0xc
	v_mov_b32_e32 v59, 0
	s_wait_kmcnt 0x0
	s_and_b32 s3, s3, 0xffff
	s_wait_alu 0xfffe
	v_mad_u32_u24 v2, v22, s3, v24
	s_mov_b32 s3, exec_lo
	s_delay_alu instid0(VALU_DEP_1) | instskip(NEXT) | instid1(VALU_DEP_1)
	v_and_b32_e32 v2, 31, v2
	v_cmpx_gt_u32_e32 8, v2
	s_cbranch_execz .LBB191_8
; %bb.5:                                ;   in Loop: Header=BB191_3 Depth=1
	v_add_co_u32 v2, vcc_lo, v20, v2
	s_wait_alu 0xfffd
	v_add_co_ci_u32_e64 v3, null, 0, v21, vcc_lo
	v_mov_b32_e32 v59, 0
	s_mov_b32 s16, exec_lo
	s_delay_alu instid0(VALU_DEP_2)
	v_cmpx_gt_i64_e64 s[4:5], v[2:3]
	s_cbranch_execz .LBB191_7
; %bb.6:                                ;   in Loop: Header=BB191_3 Depth=1
	v_lshlrev_b64_e32 v[2:3], 2, v[2:3]
	s_delay_alu instid0(VALU_DEP_1) | instskip(SKIP_1) | instid1(VALU_DEP_2)
	v_add_co_u32 v2, vcc_lo, s12, v2
	s_wait_alu 0xfffd
	v_add_co_ci_u32_e64 v3, null, s13, v3, vcc_lo
	global_load_b32 v59, v[2:3], off
.LBB191_7:                              ;   in Loop: Header=BB191_3 Depth=1
	s_or_b32 exec_lo, exec_lo, s16
.LBB191_8:                              ;   in Loop: Header=BB191_3 Depth=1
	s_wait_alu 0xfffe
	s_or_b32 exec_lo, exec_lo, s3
	v_mov_b32_e32 v8, v1
	v_dual_mov_b32 v2, v1 :: v_dual_mov_b32 v3, v1
	v_dual_mov_b32 v4, v1 :: v_dual_mov_b32 v5, v1
	;; [unrolled: 1-line block ×3, first 2 shown]
	v_cmp_gt_i64_e32 vcc_lo, s[4:5], v[20:21]
	s_delay_alu instid0(VALU_DEP_3) | instskip(NEXT) | instid1(VALU_DEP_3)
	v_dual_mov_b32 v17, v8 :: v_dual_mov_b32 v14, v5
	v_dual_mov_b32 v15, v6 :: v_dual_mov_b32 v16, v7
	;; [unrolled: 1-line block ×4, first 2 shown]
	v_mov_b32_e32 v9, v8
	v_mov_b32_e32 v8, v7
	;; [unrolled: 1-line block ×8, first 2 shown]
	s_and_b32 s16, s2, vcc_lo
	s_delay_alu instid0(SALU_CYCLE_1)
	s_and_saveexec_b32 s3, s16
	s_cbranch_execz .LBB191_10
; %bb.9:                                ;   in Loop: Header=BB191_3 Depth=1
	v_add_co_u32 v2, vcc_lo, v26, v18
	s_wait_alu 0xfffd
	v_add_co_ci_u32_e64 v3, null, v27, v19, vcc_lo
	v_add_co_u32 v4, vcc_lo, v28, v18
	s_wait_alu 0xfffd
	v_add_co_ci_u32_e64 v5, null, v29, v19, vcc_lo
	global_load_u16 v2, v[2:3], off
	global_load_u16 v10, v[4:5], off
	v_dual_mov_b32 v3, v1 :: v_dual_mov_b32 v4, v1
	v_dual_mov_b32 v5, v1 :: v_dual_mov_b32 v6, v1
	;; [unrolled: 1-line block ×6, first 2 shown]
	v_mov_b32_e32 v15, v1
	s_wait_loadcnt 0x1
	v_dual_mov_b32 v17, v1 :: v_dual_lshlrev_b32 v2, 16, v2
	s_wait_loadcnt 0x0
	v_lshlrev_b32_e32 v10, 16, v10
.LBB191_10:                             ;   in Loop: Header=BB191_3 Depth=1
	s_wait_alu 0xfffe
	s_or_b32 exec_lo, exec_lo, s3
	v_add_co_u32 v60, vcc_lo, v20, 1
	s_wait_alu 0xfffd
	v_add_co_ci_u32_e64 v61, null, 0, v21, vcc_lo
	s_delay_alu instid0(VALU_DEP_1) | instskip(SKIP_1) | instid1(SALU_CYCLE_1)
	v_cmp_gt_i64_e32 vcc_lo, s[4:5], v[60:61]
	s_and_b32 s16, s2, vcc_lo
	s_and_saveexec_b32 s3, s16
	s_cbranch_execz .LBB191_12
; %bb.11:                               ;   in Loop: Header=BB191_3 Depth=1
	v_add_co_u32 v60, vcc_lo, v54, v18
	s_wait_alu 0xfffd
	v_add_co_ci_u32_e64 v61, null, v55, v19, vcc_lo
	v_add_co_u32 v62, vcc_lo, v56, v18
	s_wait_alu 0xfffd
	v_add_co_ci_u32_e64 v63, null, v57, v19, vcc_lo
	global_load_u16 v3, v[60:61], off
	global_load_u16 v11, v[62:63], off
	s_wait_loadcnt 0x1
	v_lshlrev_b32_e32 v3, 16, v3
	s_wait_loadcnt 0x0
	v_lshlrev_b32_e32 v11, 16, v11
.LBB191_12:                             ;   in Loop: Header=BB191_3 Depth=1
	s_wait_alu 0xfffe
	s_or_b32 exec_lo, exec_lo, s3
	v_add_co_u32 v60, vcc_lo, v20, 2
	s_wait_alu 0xfffd
	v_add_co_ci_u32_e64 v61, null, 0, v21, vcc_lo
	s_delay_alu instid0(VALU_DEP_1) | instskip(SKIP_1) | instid1(SALU_CYCLE_1)
	v_cmp_gt_i64_e32 vcc_lo, s[4:5], v[60:61]
	s_and_b32 s16, s2, vcc_lo
	s_and_saveexec_b32 s3, s16
	s_cbranch_execz .LBB191_14
; %bb.13:                               ;   in Loop: Header=BB191_3 Depth=1
	v_add_co_u32 v60, vcc_lo, v50, v18
	s_wait_alu 0xfffd
	v_add_co_ci_u32_e64 v61, null, v51, v19, vcc_lo
	v_add_co_u32 v62, vcc_lo, v52, v18
	s_wait_alu 0xfffd
	v_add_co_ci_u32_e64 v63, null, v53, v19, vcc_lo
	global_load_u16 v4, v[60:61], off
	global_load_u16 v12, v[62:63], off
	s_wait_loadcnt 0x1
	v_lshlrev_b32_e32 v4, 16, v4
	s_wait_loadcnt 0x0
	v_lshlrev_b32_e32 v12, 16, v12
.LBB191_14:                             ;   in Loop: Header=BB191_3 Depth=1
	;; [unrolled: 24-line block ×7, first 2 shown]
	s_wait_alu 0xfffe
	s_or_b32 exec_lo, exec_lo, s3
	s_wait_loadcnt 0x0
	ds_bpermute_b32 v60, v1, v59
	ds_bpermute_b32 v61, v1, v59 offset:4
	ds_bpermute_b32 v62, v1, v59 offset:8
	v_dual_mul_f32 v2, v10, v2 :: v_dual_mul_f32 v3, v11, v3
	ds_bpermute_b32 v10, v1, v59 offset:12
	ds_bpermute_b32 v11, v1, v59 offset:16
	s_mov_b32 s3, 0
	v_mul_f32_e32 v6, v14, v6
	s_wait_dscnt 0x4
	v_fma_f32 v87, v2, v60, v58
	v_mul_f32_e32 v2, v12, v4
	ds_bpermute_b32 v4, v1, v59 offset:20
	s_wait_dscnt 0x4
	v_fmac_f32_e32 v87, v3, v61
	v_mul_f32_e32 v3, v13, v5
	ds_bpermute_b32 v5, v1, v59 offset:24
	s_wait_dscnt 0x4
	v_fmac_f32_e32 v87, v2, v62
	ds_bpermute_b32 v2, v1, v59 offset:28
	s_wait_dscnt 0x4
	v_fmac_f32_e32 v87, v3, v10
	v_mul_f32_e32 v3, v15, v7
	s_wait_dscnt 0x3
	s_delay_alu instid0(VALU_DEP_2) | instskip(SKIP_1) | instid1(VALU_DEP_1)
	v_fmac_f32_e32 v87, v6, v11
	s_wait_dscnt 0x2
	v_fmac_f32_e32 v87, v3, v4
	v_mul_f32_e32 v3, v16, v8
	s_wait_dscnt 0x1
	s_delay_alu instid0(VALU_DEP_1)
	v_fmac_f32_e32 v87, v3, v5
.LBB191_25:                             ;   in Loop: Header=BB191_3 Depth=1
	s_wait_alu 0xfffe
	s_and_b32 vcc_lo, exec_lo, s3
	s_wait_alu 0xfffe
	s_cbranch_vccz .LBB191_40
; %bb.26:                               ;   in Loop: Header=BB191_3 Depth=1
	s_load_b32 s3, s[18:19], 0x0
	v_mov_b32_e32 v59, 0
	s_wait_kmcnt 0x0
	s_cmp_lt_u32 ttmp9, s3
	s_cselect_b32 s16, 12, 18
	s_delay_alu instid0(SALU_CYCLE_1)
	s_add_nc_u64 s[30:31], s[18:19], s[16:17]
	s_load_u16 s3, s[30:31], 0x0
	s_wait_dscnt 0x0
	s_wait_kmcnt 0x0
	v_mad_u32_u24 v2, v22, s3, v24
	s_mov_b32 s3, exec_lo
	s_delay_alu instid0(VALU_DEP_1) | instskip(NEXT) | instid1(VALU_DEP_1)
	v_and_b32_e32 v2, 31, v2
	v_cmpx_gt_u32_e32 8, v2
	s_cbranch_execz .LBB191_30
; %bb.27:                               ;   in Loop: Header=BB191_3 Depth=1
	v_add_co_u32 v2, vcc_lo, v20, v2
	s_wait_alu 0xfffd
	v_add_co_ci_u32_e64 v3, null, 0, v21, vcc_lo
	v_mov_b32_e32 v59, 0
	s_mov_b32 s16, exec_lo
	s_delay_alu instid0(VALU_DEP_2)
	v_cmpx_gt_i64_e64 s[4:5], v[2:3]
	s_cbranch_execz .LBB191_29
; %bb.28:                               ;   in Loop: Header=BB191_3 Depth=1
	v_lshlrev_b64_e32 v[2:3], 2, v[2:3]
	s_delay_alu instid0(VALU_DEP_1) | instskip(SKIP_1) | instid1(VALU_DEP_2)
	v_add_co_u32 v2, vcc_lo, s12, v2
	s_wait_alu 0xfffd
	v_add_co_ci_u32_e64 v3, null, s13, v3, vcc_lo
	global_load_b32 v59, v[2:3], off
.LBB191_29:                             ;   in Loop: Header=BB191_3 Depth=1
	s_or_b32 exec_lo, exec_lo, s16
.LBB191_30:                             ;   in Loop: Header=BB191_3 Depth=1
	s_wait_alu 0xfffe
	s_or_b32 exec_lo, exec_lo, s3
	v_mov_b32_e32 v8, v1
	v_dual_mov_b32 v2, v1 :: v_dual_mov_b32 v3, v1
	v_dual_mov_b32 v4, v1 :: v_dual_mov_b32 v5, v1
	;; [unrolled: 1-line block ×3, first 2 shown]
	s_delay_alu instid0(VALU_DEP_4) | instskip(NEXT) | instid1(VALU_DEP_3)
	v_mov_b32_e32 v17, v8
	v_dual_mov_b32 v13, v4 :: v_dual_mov_b32 v12, v3
	s_delay_alu instid0(VALU_DEP_3) | instskip(NEXT) | instid1(VALU_DEP_4)
	v_dual_mov_b32 v15, v6 :: v_dual_mov_b32 v14, v5
	v_dual_mov_b32 v16, v7 :: v_dual_mov_b32 v11, v2
	;; [unrolled: 1-line block ×3, first 2 shown]
	v_mov_b32_e32 v8, v7
	v_mov_b32_e32 v7, v6
	;; [unrolled: 1-line block ×7, first 2 shown]
	s_and_saveexec_b32 s3, s2
	s_cbranch_execnz .LBB191_42
; %bb.31:                               ;   in Loop: Header=BB191_3 Depth=1
	s_wait_alu 0xfffe
	s_or_b32 exec_lo, exec_lo, s3
	s_and_saveexec_b32 s3, s2
	s_cbranch_execnz .LBB191_43
.LBB191_32:                             ;   in Loop: Header=BB191_3 Depth=1
	s_wait_alu 0xfffe
	s_or_b32 exec_lo, exec_lo, s3
	s_and_saveexec_b32 s3, s2
	s_cbranch_execnz .LBB191_44
.LBB191_33:                             ;   in Loop: Header=BB191_3 Depth=1
	s_wait_alu 0xfffe
	s_or_b32 exec_lo, exec_lo, s3
	s_and_saveexec_b32 s3, s2
	s_cbranch_execnz .LBB191_45
.LBB191_34:                             ;   in Loop: Header=BB191_3 Depth=1
	s_wait_alu 0xfffe
	s_or_b32 exec_lo, exec_lo, s3
	s_and_saveexec_b32 s3, s2
	s_cbranch_execnz .LBB191_46
.LBB191_35:                             ;   in Loop: Header=BB191_3 Depth=1
	s_wait_alu 0xfffe
	s_or_b32 exec_lo, exec_lo, s3
	s_and_saveexec_b32 s3, s2
	s_cbranch_execnz .LBB191_47
.LBB191_36:                             ;   in Loop: Header=BB191_3 Depth=1
	s_wait_alu 0xfffe
	s_or_b32 exec_lo, exec_lo, s3
	s_and_saveexec_b32 s3, s2
	s_cbranch_execnz .LBB191_48
.LBB191_37:                             ;   in Loop: Header=BB191_3 Depth=1
	s_wait_alu 0xfffe
	s_or_b32 exec_lo, exec_lo, s3
	s_and_saveexec_b32 s3, s2
	s_cbranch_execz .LBB191_39
.LBB191_38:                             ;   in Loop: Header=BB191_3 Depth=1
	v_add_co_u32 v20, vcc_lo, v30, v18
	s_wait_alu 0xfffd
	v_add_co_ci_u32_e64 v21, null, v31, v19, vcc_lo
	v_add_co_u32 v60, vcc_lo, v32, v18
	s_wait_alu 0xfffd
	v_add_co_ci_u32_e64 v61, null, v33, v19, vcc_lo
	global_load_u16 v9, v[20:21], off
	global_load_u16 v17, v[60:61], off
	s_wait_loadcnt 0x1
	v_lshlrev_b32_e32 v9, 16, v9
	s_wait_loadcnt 0x0
	v_lshlrev_b32_e32 v17, 16, v17
.LBB191_39:                             ;   in Loop: Header=BB191_3 Depth=1
	s_wait_alu 0xfffe
	s_or_b32 exec_lo, exec_lo, s3
	s_wait_loadcnt 0x0
	ds_bpermute_b32 v20, v1, v59
	ds_bpermute_b32 v21, v1, v59 offset:4
	ds_bpermute_b32 v60, v1, v59 offset:8
	v_dual_mul_f32 v2, v10, v2 :: v_dual_mul_f32 v3, v11, v3
	ds_bpermute_b32 v10, v1, v59 offset:12
	ds_bpermute_b32 v11, v1, v59 offset:16
	s_wait_dscnt 0x4
	v_fmac_f32_e32 v58, v2, v20
	v_mul_f32_e32 v2, v12, v4
	ds_bpermute_b32 v4, v1, v59 offset:20
	s_wait_dscnt 0x4
	v_fmac_f32_e32 v58, v3, v21
	v_mul_f32_e32 v3, v13, v5
	;; [unrolled: 4-line block ×3, first 2 shown]
	s_wait_dscnt 0x3
	s_delay_alu instid0(VALU_DEP_2) | instskip(SKIP_2) | instid1(VALU_DEP_2)
	v_fmac_f32_e32 v58, v3, v10
	v_mul_f32_e32 v3, v15, v7
	s_wait_dscnt 0x2
	v_fmac_f32_e32 v58, v2, v11
	ds_bpermute_b32 v2, v1, v59 offset:28
	s_wait_dscnt 0x2
	v_fmac_f32_e32 v58, v3, v4
	v_mul_f32_e32 v3, v16, v8
	s_wait_dscnt 0x1
	s_delay_alu instid0(VALU_DEP_1) | instskip(NEXT) | instid1(VALU_DEP_1)
	v_fmac_f32_e32 v58, v3, v5
	v_mov_b32_e32 v87, v58
.LBB191_40:                             ;   in Loop: Header=BB191_3 Depth=1
	v_add_co_u32 v26, vcc_lo, v26, s22
	s_wait_alu 0xfffd
	v_add_co_ci_u32_e64 v27, null, s23, v27, vcc_lo
	v_add_co_u32 v28, vcc_lo, v28, s22
	s_wait_alu 0xfffd
	v_add_co_ci_u32_e64 v29, null, s23, v29, vcc_lo
	;; [unrolled: 3-line block ×14, first 2 shown]
	v_add_co_u32 v54, vcc_lo, v54, s22
	v_mul_f32_e32 v3, v9, v17
	s_add_nc_u64 s[26:27], s[26:27], s[20:21]
	s_wait_alu 0xfffd
	v_add_co_ci_u32_e64 v55, null, s23, v55, vcc_lo
	v_add_co_u32 v56, vcc_lo, v56, s22
	s_wait_alu 0xfffe
	v_cmp_lt_i64_e64 s3, s[26:27], s[4:5]
	s_wait_alu 0xfffd
	v_add_co_ci_u32_e64 v57, null, s23, v57, vcc_lo
	v_add_co_u32 v23, vcc_lo, v23, s20
	s_wait_dscnt 0x0
	v_fmac_f32_e32 v87, v3, v2
	s_wait_alu 0xfffd
	v_add_co_ci_u32_e64 v25, null, 0, v25, vcc_lo
	s_and_b32 vcc_lo, exec_lo, s3
	s_add_nc_u64 s[24:25], s[24:25], s[20:21]
	s_wait_alu 0xfffe
	s_cbranch_vccz .LBB191_50
; %bb.41:                               ;   in Loop: Header=BB191_3 Depth=1
	v_mov_b32_e32 v58, v87
	s_branch .LBB191_3
.LBB191_42:                             ;   in Loop: Header=BB191_3 Depth=1
	v_add_co_u32 v2, vcc_lo, v26, v18
	s_wait_alu 0xfffd
	v_add_co_ci_u32_e64 v3, null, v27, v19, vcc_lo
	v_add_co_u32 v4, vcc_lo, v28, v18
	s_wait_alu 0xfffd
	v_add_co_ci_u32_e64 v5, null, v29, v19, vcc_lo
	global_load_u16 v2, v[2:3], off
	global_load_u16 v10, v[4:5], off
	v_dual_mov_b32 v3, v1 :: v_dual_mov_b32 v4, v1
	v_dual_mov_b32 v5, v1 :: v_dual_mov_b32 v6, v1
	v_dual_mov_b32 v7, v1 :: v_dual_mov_b32 v8, v1
	v_dual_mov_b32 v9, v1 :: v_dual_mov_b32 v12, v1
	v_dual_mov_b32 v11, v1 :: v_dual_mov_b32 v14, v1
	v_dual_mov_b32 v13, v1 :: v_dual_mov_b32 v16, v1
	v_mov_b32_e32 v15, v1
	s_wait_loadcnt 0x1
	v_dual_mov_b32 v17, v1 :: v_dual_lshlrev_b32 v2, 16, v2
	s_wait_loadcnt 0x0
	v_lshlrev_b32_e32 v10, 16, v10
	s_wait_alu 0xfffe
	s_or_b32 exec_lo, exec_lo, s3
	s_and_saveexec_b32 s3, s2
	s_cbranch_execz .LBB191_32
.LBB191_43:                             ;   in Loop: Header=BB191_3 Depth=1
	v_add_co_u32 v20, vcc_lo, v54, v18
	s_wait_alu 0xfffd
	v_add_co_ci_u32_e64 v21, null, v55, v19, vcc_lo
	v_add_co_u32 v60, vcc_lo, v56, v18
	s_wait_alu 0xfffd
	v_add_co_ci_u32_e64 v61, null, v57, v19, vcc_lo
	global_load_u16 v3, v[20:21], off
	global_load_u16 v11, v[60:61], off
	s_wait_loadcnt 0x1
	v_lshlrev_b32_e32 v3, 16, v3
	s_wait_loadcnt 0x0
	v_lshlrev_b32_e32 v11, 16, v11
	s_wait_alu 0xfffe
	s_or_b32 exec_lo, exec_lo, s3
	s_and_saveexec_b32 s3, s2
	s_cbranch_execz .LBB191_33
.LBB191_44:                             ;   in Loop: Header=BB191_3 Depth=1
	v_add_co_u32 v20, vcc_lo, v50, v18
	s_wait_alu 0xfffd
	v_add_co_ci_u32_e64 v21, null, v51, v19, vcc_lo
	v_add_co_u32 v60, vcc_lo, v52, v18
	s_wait_alu 0xfffd
	v_add_co_ci_u32_e64 v61, null, v53, v19, vcc_lo
	global_load_u16 v4, v[20:21], off
	global_load_u16 v12, v[60:61], off
	s_wait_loadcnt 0x1
	v_lshlrev_b32_e32 v4, 16, v4
	s_wait_loadcnt 0x0
	v_lshlrev_b32_e32 v12, 16, v12
	s_wait_alu 0xfffe
	s_or_b32 exec_lo, exec_lo, s3
	s_and_saveexec_b32 s3, s2
	s_cbranch_execz .LBB191_34
.LBB191_45:                             ;   in Loop: Header=BB191_3 Depth=1
	v_add_co_u32 v20, vcc_lo, v46, v18
	s_wait_alu 0xfffd
	v_add_co_ci_u32_e64 v21, null, v47, v19, vcc_lo
	v_add_co_u32 v60, vcc_lo, v48, v18
	s_wait_alu 0xfffd
	v_add_co_ci_u32_e64 v61, null, v49, v19, vcc_lo
	global_load_u16 v5, v[20:21], off
	global_load_u16 v13, v[60:61], off
	s_wait_loadcnt 0x1
	v_lshlrev_b32_e32 v5, 16, v5
	s_wait_loadcnt 0x0
	v_lshlrev_b32_e32 v13, 16, v13
	s_wait_alu 0xfffe
	s_or_b32 exec_lo, exec_lo, s3
	s_and_saveexec_b32 s3, s2
	s_cbranch_execz .LBB191_35
.LBB191_46:                             ;   in Loop: Header=BB191_3 Depth=1
	v_add_co_u32 v20, vcc_lo, v42, v18
	s_wait_alu 0xfffd
	v_add_co_ci_u32_e64 v21, null, v43, v19, vcc_lo
	v_add_co_u32 v60, vcc_lo, v44, v18
	s_wait_alu 0xfffd
	v_add_co_ci_u32_e64 v61, null, v45, v19, vcc_lo
	global_load_u16 v6, v[20:21], off
	global_load_u16 v14, v[60:61], off
	s_wait_loadcnt 0x1
	v_lshlrev_b32_e32 v6, 16, v6
	s_wait_loadcnt 0x0
	v_lshlrev_b32_e32 v14, 16, v14
	s_wait_alu 0xfffe
	s_or_b32 exec_lo, exec_lo, s3
	s_and_saveexec_b32 s3, s2
	s_cbranch_execz .LBB191_36
.LBB191_47:                             ;   in Loop: Header=BB191_3 Depth=1
	v_add_co_u32 v20, vcc_lo, v38, v18
	s_wait_alu 0xfffd
	v_add_co_ci_u32_e64 v21, null, v39, v19, vcc_lo
	v_add_co_u32 v60, vcc_lo, v40, v18
	s_wait_alu 0xfffd
	v_add_co_ci_u32_e64 v61, null, v41, v19, vcc_lo
	global_load_u16 v7, v[20:21], off
	global_load_u16 v15, v[60:61], off
	s_wait_loadcnt 0x1
	v_lshlrev_b32_e32 v7, 16, v7
	s_wait_loadcnt 0x0
	v_lshlrev_b32_e32 v15, 16, v15
	s_wait_alu 0xfffe
	s_or_b32 exec_lo, exec_lo, s3
	s_and_saveexec_b32 s3, s2
	s_cbranch_execz .LBB191_37
.LBB191_48:                             ;   in Loop: Header=BB191_3 Depth=1
	v_add_co_u32 v20, vcc_lo, v34, v18
	s_wait_alu 0xfffd
	v_add_co_ci_u32_e64 v21, null, v35, v19, vcc_lo
	v_add_co_u32 v60, vcc_lo, v36, v18
	s_wait_alu 0xfffd
	v_add_co_ci_u32_e64 v61, null, v37, v19, vcc_lo
	global_load_u16 v8, v[20:21], off
	global_load_u16 v16, v[60:61], off
	s_wait_loadcnt 0x1
	v_lshlrev_b32_e32 v8, 16, v8
	s_wait_loadcnt 0x0
	v_lshlrev_b32_e32 v16, 16, v16
	s_wait_alu 0xfffe
	s_or_b32 exec_lo, exec_lo, s3
	s_and_saveexec_b32 s3, s2
	s_cbranch_execnz .LBB191_38
	s_branch .LBB191_39
.LBB191_49:
                                        ; implicit-def: $vgpr87
	s_load_b64 s[16:17], s[0:1], 0x30
	s_branch .LBB191_51
.LBB191_50:
	s_load_b64 s[16:17], s[0:1], 0x30
	s_cbranch_execnz .LBB191_83
.LBB191_51:
	v_mov_b32_e32 v87, 0
	s_and_not1_b32 vcc_lo, exec_lo, s29
	s_wait_alu 0xfffe
	s_cbranch_vccnz .LBB191_83
; %bb.52:
	v_bfe_u32 v50, v0, 10, 10
	v_dual_mov_b32 v1, 0 :: v_dual_and_b32 v52, 0x3ff, v0
	s_lshl_b64 s[22:23], s[14:15], 1
	s_mov_b32 s3, 0
	s_delay_alu instid0(VALU_DEP_2) | instskip(NEXT) | instid1(VALU_DEP_2)
	v_dual_mov_b32 v86, 0 :: v_dual_lshlrev_b32 v51, 3, v50
	v_dual_mov_b32 v53, v1 :: v_dual_lshlrev_b32 v8, 4, v50
	v_dual_mov_b32 v5, v1 :: v_dual_add_nc_u32 v4, s28, v52
	s_delay_alu instid0(VALU_DEP_3) | instskip(SKIP_2) | instid1(VALU_DEP_3)
	v_add_co_u32 v10, s2, v51, s14
	s_wait_alu 0xf1ff
	v_add_co_ci_u32_e64 v11, null, 0, 0, s2
	v_lshlrev_b64_e32 v[18:19], 1, v[4:5]
	s_delay_alu instid0(VALU_DEP_3) | instskip(SKIP_1) | instid1(VALU_DEP_4)
	v_mul_lo_u32 v6, s7, v10
	v_mad_co_u64_u32 v[2:3], null, s6, v10, 0
	v_mul_lo_u32 v7, s6, v11
	s_load_b32 s2, s[0:1], 0x44
	s_mov_b32 s21, s3
	s_add_nc_u64 s[18:19], s[0:1], 64
	s_delay_alu instid0(VALU_DEP_1) | instskip(SKIP_3) | instid1(VALU_DEP_3)
	v_add3_u32 v3, v3, v7, v6
	v_add_co_u32 v6, s20, v8, s22
	s_wait_alu 0xf1ff
	v_add_co_ci_u32_e64 v7, null, 0, s23, s20
	v_lshlrev_b64_e32 v[4:5], 1, v[2:3]
	s_delay_alu instid0(VALU_DEP_3) | instskip(SKIP_1) | instid1(VALU_DEP_3)
	v_add_co_u32 v8, vcc_lo, v6, 2
	s_wait_alu 0xfffd
	v_add_co_ci_u32_e64 v9, null, 0, v7, vcc_lo
	s_delay_alu instid0(VALU_DEP_3)
	v_add_co_u32 v54, vcc_lo, s8, v4
	s_wait_alu 0xfffd
	v_add_co_ci_u32_e64 v55, null, s9, v5, vcc_lo
	v_add_co_u32 v56, vcc_lo, s10, v4
	s_wait_alu 0xfffd
	v_add_co_ci_u32_e64 v57, null, s11, v5, vcc_lo
	;; [unrolled: 3-line block ×5, first 2 shown]
	v_add_co_u32 v42, vcc_lo, v6, 10
	v_mad_co_u64_u32 v[22:23], null, s6, v4, s[8:9]
	v_mul_lo_u32 v5, s6, v5
	v_mul_lo_u32 v15, s7, v4
	v_mad_co_u64_u32 v[36:37], null, s6, v4, s[10:11]
	s_wait_alu 0xfffd
	v_add_co_ci_u32_e64 v30, null, 0, v7, vcc_lo
	v_add_co_u32 v44, vcc_lo, v6, 12
	s_wait_alu 0xfffd
	v_add_co_ci_u32_e64 v32, null, 0, v7, vcc_lo
	v_add_co_u32 v6, vcc_lo, v6, 14
	v_mad_co_u64_u32 v[20:21], null, s6, v8, s[8:9]
	v_mul_lo_u32 v9, s6, v9
	v_mul_lo_u32 v12, s7, v8
	v_mad_co_u64_u32 v[34:35], null, s6, v8, s[10:11]
	s_wait_alu 0xfffd
	v_add_co_ci_u32_e64 v7, null, 0, v7, vcc_lo
	v_add_co_u32 v4, vcc_lo, v10, 7
	v_add3_u32 v23, v15, v23, v5
	v_add3_u32 v37, v15, v37, v5
	s_wait_alu 0xfffd
	v_add_co_ci_u32_e64 v5, null, 0, v11, vcc_lo
	v_mul_lo_u32 v62, s6, v7
	v_add_co_u32 v7, vcc_lo, v10, 6
	v_add3_u32 v21, v12, v21, v9
	v_add3_u32 v35, v12, v35, v9
	s_wait_alu 0xfffd
	v_add_co_ci_u32_e64 v12, null, 0, v11, vcc_lo
	v_mul_lo_u32 v8, s7, v4
	v_mul_lo_u32 v9, s6, v5
	v_mad_co_u64_u32 v[4:5], null, s6, v4, 0
	v_mad_co_u64_u32 v[24:25], null, s6, v13, s[8:9]
	v_mul_lo_u32 v17, s7, v13
	v_mul_lo_u32 v60, s6, v32
	v_mad_co_u64_u32 v[32:33], null, s6, v6, s[8:9]
	v_mul_lo_u32 v63, s7, v6
	v_mad_co_u64_u32 v[38:39], null, s6, v13, s[10:11]
	v_mad_co_u64_u32 v[46:47], null, s6, v6, s[10:11]
	v_mul_lo_u32 v13, s7, v7
	v_mul_lo_u32 v12, s6, v12
	v_mad_co_u64_u32 v[6:7], null, s6, v7, 0
	v_add3_u32 v5, v5, v9, v8
	v_add_co_u32 v8, vcc_lo, v10, 5
	v_mul_lo_u32 v48, s6, v28
	v_mad_co_u64_u32 v[28:29], null, s6, v42, s[8:9]
	v_mul_lo_u32 v58, s6, v30
	v_mul_lo_u32 v59, s7, v42
	v_mad_co_u64_u32 v[42:43], null, s6, v42, s[10:11]
	s_wait_alu 0xfffd
	v_add_co_ci_u32_e64 v9, null, 0, v11, vcc_lo
	v_add3_u32 v7, v7, v12, v13
	v_mad_co_u64_u32 v[30:31], null, s6, v44, s[8:9]
	v_mul_lo_u32 v61, s7, v44
	v_mad_co_u64_u32 v[44:45], null, s6, v44, s[10:11]
	v_lshlrev_b64_e32 v[4:5], 1, v[4:5]
	v_mul_lo_u32 v12, s7, v8
	v_mul_lo_u32 v13, s6, v9
	v_mad_co_u64_u32 v[8:9], null, s6, v8, 0
	v_lshlrev_b64_e32 v[6:7], 1, v[6:7]
	v_add3_u32 v29, v59, v29, v58
	v_add3_u32 v43, v59, v43, v58
	v_add_co_u32 v58, vcc_lo, s8, v4
	v_add3_u32 v31, v61, v31, v60
	v_add3_u32 v45, v61, v45, v60
	s_wait_alu 0xfffd
	v_add_co_ci_u32_e64 v59, null, s9, v5, vcc_lo
	v_add_co_u32 v60, vcc_lo, s10, v4
	v_add3_u32 v33, v63, v33, v62
	v_add3_u32 v47, v63, v47, v62
	s_wait_alu 0xfffd
	v_add_co_ci_u32_e64 v61, null, s11, v5, vcc_lo
	v_add_co_u32 v62, vcc_lo, s8, v6
	v_mul_lo_u32 v14, s6, v14
	v_add3_u32 v9, v9, v13, v12
	s_wait_alu 0xfffd
	v_add_co_ci_u32_e64 v63, null, s9, v7, vcc_lo
	v_add_co_u32 v12, vcc_lo, v10, 4
	s_wait_kmcnt 0x0
	s_lshl_b32 s20, s2, 3
	v_add_co_u32 v64, s2, s10, v6
	s_wait_alu 0xfffd
	v_add_co_ci_u32_e64 v6, null, 0, v11, vcc_lo
	v_lshlrev_b64_e32 v[4:5], 1, v[8:9]
	v_add_co_u32 v8, vcc_lo, v10, 3
	s_wait_alu 0xfffd
	v_add_co_ci_u32_e64 v9, null, 0, v11, vcc_lo
	v_add3_u32 v25, v17, v25, v14
	v_add3_u32 v39, v17, v39, v14
	s_wait_alu 0xf1ff
	v_add_co_ci_u32_e64 v65, null, s11, v7, s2
	v_mul_lo_u32 v13, s7, v12
	v_mul_lo_u32 v14, s6, v6
	v_mad_co_u64_u32 v[6:7], null, s6, v12, 0
	v_mul_lo_u32 v12, s7, v8
	v_mul_lo_u32 v15, s6, v9
	v_mad_co_u64_u32 v[8:9], null, s6, v8, 0
	v_add_co_u32 v66, vcc_lo, s8, v4
	s_wait_alu 0xfffd
	v_add_co_ci_u32_e64 v67, null, s9, v5, vcc_lo
	v_add3_u32 v7, v7, v14, v13
	v_add_co_u32 v68, vcc_lo, s10, v4
	s_wait_alu 0xfffd
	v_add_co_ci_u32_e64 v69, null, s11, v5, vcc_lo
	v_add_co_u32 v10, vcc_lo, v10, 2
	v_add3_u32 v9, v9, v15, v12
	s_wait_alu 0xfffd
	v_add_co_ci_u32_e64 v11, null, 0, v11, vcc_lo
	v_lshlrev_b64_e32 v[4:5], 1, v[6:7]
	v_mul_lo_u32 v12, s7, v10
	v_lshlrev_b64_e32 v[6:7], 1, v[8:9]
	s_delay_alu instid0(VALU_DEP_4)
	v_mul_lo_u32 v11, s6, v11
	v_mad_co_u64_u32 v[8:9], null, s6, v10, 0
	v_add_co_u32 v70, vcc_lo, s8, v4
	s_wait_alu 0xfffd
	v_add_co_ci_u32_e64 v71, null, s9, v5, vcc_lo
	v_add_co_u32 v72, vcc_lo, s10, v4
	s_wait_alu 0xfffd
	v_add_co_ci_u32_e64 v73, null, s11, v5, vcc_lo
	;; [unrolled: 3-line block ×3, first 2 shown]
	v_add3_u32 v9, v9, v11, v12
	v_add_co_u32 v76, vcc_lo, s10, v6
	s_wait_alu 0xfffd
	v_add_co_ci_u32_e64 v77, null, s11, v7, vcc_lo
	v_add_co_u32 v2, vcc_lo, v2, s6
	s_wait_alu 0xfffd
	v_add_co_ci_u32_e64 v3, null, s7, v3, vcc_lo
	v_lshlrev_b64_e32 v[4:5], 1, v[8:9]
	v_mad_co_u64_u32 v[26:27], null, s6, v16, s[8:9]
	s_delay_alu instid0(VALU_DEP_3)
	v_lshlrev_b64_e32 v[2:3], 1, v[2:3]
	v_mul_lo_u32 v49, s7, v16
	v_mad_co_u64_u32 v[40:41], null, s6, v16, s[10:11]
	v_add_co_u32 v78, vcc_lo, s8, v4
	s_wait_alu 0xfffd
	v_add_co_ci_u32_e64 v79, null, s9, v5, vcc_lo
	v_add_co_u32 v80, vcc_lo, s10, v4
	s_wait_alu 0xfffd
	v_add_co_ci_u32_e64 v81, null, s11, v5, vcc_lo
	;; [unrolled: 3-line block ×3, first 2 shown]
	v_add_co_u32 v84, vcc_lo, s10, v2
	v_add3_u32 v27, v49, v27, v48
	v_add3_u32 v41, v49, v41, v48
	s_wait_alu 0xfffd
	v_add_co_ci_u32_e64 v85, null, s11, v3, vcc_lo
	s_wait_alu 0xfffe
	s_mul_u64 s[22:23], s[6:7], s[20:21]
	s_mov_b64 s[10:11], 7
	s_wait_alu 0xfffe
	s_lshl_b64 s[8:9], s[22:23], 1
	s_mov_b64 s[22:23], s[14:15]
.LBB191_53:                             ; =>This Inner Loop Header: Depth=1
	s_add_nc_u64 s[24:25], s[14:15], s[10:11]
	v_add_co_u32 v48, vcc_lo, s14, v51
	s_wait_alu 0xfffe
	v_cmp_ge_i64_e64 s2, s[24:25], s[4:5]
	s_wait_alu 0xfffd
	v_add_co_ci_u32_e64 v49, null, 0, v53, vcc_lo
                                        ; implicit-def: $vgpr87
	s_and_b32 vcc_lo, exec_lo, s2
	s_mov_b32 s2, -1
	s_wait_alu 0xfffe
	s_cbranch_vccz .LBB191_75
; %bb.54:                               ;   in Loop: Header=BB191_53 Depth=1
	s_load_b32 s2, s[18:19], 0xc
	v_mov_b32_e32 v88, 0
	s_wait_kmcnt 0x0
	s_and_b32 s2, s2, 0xffff
	s_wait_alu 0xfffe
	v_mad_u32_u24 v2, v50, s2, v52
	s_mov_b32 s2, exec_lo
	s_delay_alu instid0(VALU_DEP_1) | instskip(NEXT) | instid1(VALU_DEP_1)
	v_and_b32_e32 v2, 31, v2
	v_cmpx_gt_u32_e32 8, v2
	s_cbranch_execz .LBB191_58
; %bb.55:                               ;   in Loop: Header=BB191_53 Depth=1
	v_add_co_u32 v2, vcc_lo, v48, v2
	s_wait_alu 0xfffd
	v_add_co_ci_u32_e64 v3, null, 0, v49, vcc_lo
	v_mov_b32_e32 v88, 0
	s_mov_b32 s24, exec_lo
	s_delay_alu instid0(VALU_DEP_2)
	v_cmpx_gt_i64_e64 s[4:5], v[2:3]
	s_cbranch_execz .LBB191_57
; %bb.56:                               ;   in Loop: Header=BB191_53 Depth=1
	v_lshlrev_b64_e32 v[2:3], 2, v[2:3]
	s_delay_alu instid0(VALU_DEP_1) | instskip(SKIP_1) | instid1(VALU_DEP_2)
	v_add_co_u32 v2, vcc_lo, s12, v2
	s_wait_alu 0xfffd
	v_add_co_ci_u32_e64 v3, null, s13, v3, vcc_lo
	global_load_b32 v88, v[2:3], off
.LBB191_57:                             ;   in Loop: Header=BB191_53 Depth=1
	s_wait_alu 0xfffe
	s_or_b32 exec_lo, exec_lo, s24
.LBB191_58:                             ;   in Loop: Header=BB191_53 Depth=1
	s_wait_alu 0xfffe
	s_or_b32 exec_lo, exec_lo, s2
	v_mov_b32_e32 v8, v1
	v_dual_mov_b32 v2, v1 :: v_dual_mov_b32 v3, v1
	v_dual_mov_b32 v4, v1 :: v_dual_mov_b32 v5, v1
	;; [unrolled: 1-line block ×3, first 2 shown]
	s_delay_alu instid0(VALU_DEP_4) | instskip(NEXT) | instid1(VALU_DEP_3)
	v_mov_b32_e32 v17, v8
	v_dual_mov_b32 v13, v4 :: v_dual_mov_b32 v12, v3
	s_delay_alu instid0(VALU_DEP_3) | instskip(NEXT) | instid1(VALU_DEP_4)
	v_dual_mov_b32 v15, v6 :: v_dual_mov_b32 v14, v5
	v_dual_mov_b32 v16, v7 :: v_dual_mov_b32 v11, v2
	;; [unrolled: 1-line block ×3, first 2 shown]
	v_mov_b32_e32 v8, v7
	v_mov_b32_e32 v7, v6
	;; [unrolled: 1-line block ×7, first 2 shown]
	s_mov_b32 s2, exec_lo
	v_cmpx_gt_i64_e64 s[4:5], v[48:49]
	s_cbranch_execz .LBB191_60
; %bb.59:                               ;   in Loop: Header=BB191_53 Depth=1
	v_add_co_u32 v2, vcc_lo, v54, v18
	s_wait_alu 0xfffd
	v_add_co_ci_u32_e64 v3, null, v55, v19, vcc_lo
	v_add_co_u32 v4, vcc_lo, v56, v18
	s_wait_alu 0xfffd
	v_add_co_ci_u32_e64 v5, null, v57, v19, vcc_lo
	global_load_u16 v2, v[2:3], off
	global_load_u16 v10, v[4:5], off
	v_dual_mov_b32 v3, v1 :: v_dual_mov_b32 v4, v1
	v_dual_mov_b32 v5, v1 :: v_dual_mov_b32 v6, v1
	;; [unrolled: 1-line block ×6, first 2 shown]
	v_mov_b32_e32 v15, v1
	s_wait_loadcnt 0x1
	v_dual_mov_b32 v17, v1 :: v_dual_lshlrev_b32 v2, 16, v2
	s_wait_loadcnt 0x0
	v_lshlrev_b32_e32 v10, 16, v10
.LBB191_60:                             ;   in Loop: Header=BB191_53 Depth=1
	s_wait_alu 0xfffe
	s_or_b32 exec_lo, exec_lo, s2
	v_add_co_u32 v89, vcc_lo, v48, 1
	s_wait_alu 0xfffd
	v_add_co_ci_u32_e64 v90, null, 0, v49, vcc_lo
	s_mov_b32 s2, exec_lo
	v_cmpx_gt_i64_e64 s[4:5], v[89:90]
	s_cbranch_execz .LBB191_62
; %bb.61:                               ;   in Loop: Header=BB191_53 Depth=1
	v_add_co_u32 v89, vcc_lo, v82, v18
	s_wait_alu 0xfffd
	v_add_co_ci_u32_e64 v90, null, v83, v19, vcc_lo
	v_add_co_u32 v91, vcc_lo, v84, v18
	s_wait_alu 0xfffd
	v_add_co_ci_u32_e64 v92, null, v85, v19, vcc_lo
	global_load_u16 v3, v[89:90], off
	global_load_u16 v11, v[91:92], off
	s_wait_loadcnt 0x1
	v_lshlrev_b32_e32 v3, 16, v3
	s_wait_loadcnt 0x0
	v_lshlrev_b32_e32 v11, 16, v11
.LBB191_62:                             ;   in Loop: Header=BB191_53 Depth=1
	s_wait_alu 0xfffe
	s_or_b32 exec_lo, exec_lo, s2
	v_add_co_u32 v89, vcc_lo, v48, 2
	s_wait_alu 0xfffd
	v_add_co_ci_u32_e64 v90, null, 0, v49, vcc_lo
	s_mov_b32 s2, exec_lo
	v_cmpx_gt_i64_e64 s[4:5], v[89:90]
	s_cbranch_execz .LBB191_64
; %bb.63:                               ;   in Loop: Header=BB191_53 Depth=1
	v_add_co_u32 v89, vcc_lo, v78, v18
	s_wait_alu 0xfffd
	v_add_co_ci_u32_e64 v90, null, v79, v19, vcc_lo
	v_add_co_u32 v91, vcc_lo, v80, v18
	s_wait_alu 0xfffd
	v_add_co_ci_u32_e64 v92, null, v81, v19, vcc_lo
	global_load_u16 v4, v[89:90], off
	global_load_u16 v12, v[91:92], off
	s_wait_loadcnt 0x1
	v_lshlrev_b32_e32 v4, 16, v4
	s_wait_loadcnt 0x0
	v_lshlrev_b32_e32 v12, 16, v12
.LBB191_64:                             ;   in Loop: Header=BB191_53 Depth=1
	;; [unrolled: 22-line block ×7, first 2 shown]
	s_wait_alu 0xfffe
	s_or_b32 exec_lo, exec_lo, s2
	s_wait_loadcnt 0x0
	ds_bpermute_b32 v87, v1, v88
	ds_bpermute_b32 v89, v1, v88 offset:4
	ds_bpermute_b32 v90, v1, v88 offset:8
	v_dual_mul_f32 v2, v10, v2 :: v_dual_mul_f32 v3, v11, v3
	ds_bpermute_b32 v10, v1, v88 offset:12
	ds_bpermute_b32 v11, v1, v88 offset:16
	s_mov_b32 s2, 0
	s_wait_dscnt 0x4
	v_fma_f32 v87, v2, v87, v86
	v_mul_f32_e32 v2, v12, v4
	ds_bpermute_b32 v4, v1, v88 offset:20
	s_wait_dscnt 0x4
	v_fmac_f32_e32 v87, v3, v89
	v_mul_f32_e32 v3, v13, v5
	ds_bpermute_b32 v5, v1, v88 offset:24
	s_wait_dscnt 0x4
	v_fmac_f32_e32 v87, v2, v90
	v_mul_f32_e32 v2, v14, v6
	v_mul_f32_e32 v6, v15, v7
	s_wait_dscnt 0x3
	s_delay_alu instid0(VALU_DEP_3) | instskip(SKIP_4) | instid1(VALU_DEP_1)
	v_fmac_f32_e32 v87, v3, v10
	ds_bpermute_b32 v3, v1, v88 offset:28
	s_wait_dscnt 0x3
	v_dual_fmac_f32 v87, v2, v11 :: v_dual_mul_f32 v2, v16, v8
	s_wait_dscnt 0x2
	v_fmac_f32_e32 v87, v6, v4
	s_wait_dscnt 0x1
	s_delay_alu instid0(VALU_DEP_1) | instskip(SKIP_2) | instid1(VALU_DEP_1)
	v_fmac_f32_e32 v87, v2, v5
	v_mul_f32_e32 v2, v17, v9
	s_wait_dscnt 0x0
	v_fmac_f32_e32 v87, v2, v3
.LBB191_75:                             ;   in Loop: Header=BB191_53 Depth=1
	s_wait_alu 0xfffe
	s_and_b32 vcc_lo, exec_lo, s2
	s_wait_alu 0xfffe
	s_cbranch_vccz .LBB191_81
; %bb.76:                               ;   in Loop: Header=BB191_53 Depth=1
	s_load_b32 s2, s[18:19], 0x0
	v_mov_b32_e32 v4, 0
	s_wait_kmcnt 0x0
	s_cmp_lt_u32 ttmp9, s2
	s_cselect_b32 s2, 12, 18
	s_wait_alu 0xfffe
	s_add_nc_u64 s[24:25], s[18:19], s[2:3]
	s_load_u16 s2, s[24:25], 0x0
	s_wait_kmcnt 0x0
	v_mad_u32_u24 v2, v50, s2, v52
	s_mov_b32 s2, exec_lo
	s_delay_alu instid0(VALU_DEP_1) | instskip(NEXT) | instid1(VALU_DEP_1)
	v_and_b32_e32 v2, 31, v2
	v_cmpx_gt_u32_e32 8, v2
	s_cbranch_execz .LBB191_80
; %bb.77:                               ;   in Loop: Header=BB191_53 Depth=1
	v_add_co_u32 v2, vcc_lo, v48, v2
	s_wait_alu 0xfffd
	v_add_co_ci_u32_e64 v3, null, 0, v49, vcc_lo
	v_mov_b32_e32 v4, 0
	s_mov_b32 s24, exec_lo
	s_delay_alu instid0(VALU_DEP_2)
	v_cmpx_gt_i64_e64 s[4:5], v[2:3]
	s_cbranch_execz .LBB191_79
; %bb.78:                               ;   in Loop: Header=BB191_53 Depth=1
	v_lshlrev_b64_e32 v[2:3], 2, v[2:3]
	s_delay_alu instid0(VALU_DEP_1) | instskip(SKIP_1) | instid1(VALU_DEP_2)
	v_add_co_u32 v2, vcc_lo, s12, v2
	s_wait_alu 0xfffd
	v_add_co_ci_u32_e64 v3, null, s13, v3, vcc_lo
	global_load_b32 v4, v[2:3], off
.LBB191_79:                             ;   in Loop: Header=BB191_53 Depth=1
	s_wait_alu 0xfffe
	s_or_b32 exec_lo, exec_lo, s24
.LBB191_80:                             ;   in Loop: Header=BB191_53 Depth=1
	s_wait_alu 0xfffe
	s_or_b32 exec_lo, exec_lo, s2
	v_add_co_u32 v2, vcc_lo, v54, v18
	s_wait_alu 0xfffd
	v_add_co_ci_u32_e64 v3, null, v55, v19, vcc_lo
	v_add_co_u32 v5, vcc_lo, v56, v18
	s_wait_alu 0xfffd
	v_add_co_ci_u32_e64 v6, null, v57, v19, vcc_lo
	;; [unrolled: 3-line block ×4, first 2 shown]
	global_load_u16 v13, v[2:3], off
	global_load_u16 v14, v[5:6], off
	;; [unrolled: 1-line block ×4, first 2 shown]
	v_add_co_u32 v2, vcc_lo, v22, v18
	s_wait_alu 0xfffd
	v_add_co_ci_u32_e64 v3, null, v23, v19, vcc_lo
	v_add_co_u32 v5, vcc_lo, v36, v18
	s_wait_alu 0xfffd
	v_add_co_ci_u32_e64 v6, null, v37, v19, vcc_lo
	global_load_u16 v17, v[2:3], off
	v_add_co_u32 v2, vcc_lo, v24, v18
	s_wait_alu 0xfffd
	v_add_co_ci_u32_e64 v3, null, v25, v19, vcc_lo
	v_add_co_u32 v7, vcc_lo, v38, v18
	s_wait_alu 0xfffd
	v_add_co_ci_u32_e64 v8, null, v39, v19, vcc_lo
	;; [unrolled: 3-line block ×4, first 2 shown]
	global_load_u16 v48, v[5:6], off
	global_load_u16 v49, v[2:3], off
	;; [unrolled: 1-line block ×5, first 2 shown]
	v_add_co_u32 v2, vcc_lo, v28, v18
	s_wait_alu 0xfffd
	v_add_co_ci_u32_e64 v3, null, v29, v19, vcc_lo
	v_add_co_u32 v5, vcc_lo, v42, v18
	s_wait_alu 0xfffd
	v_add_co_ci_u32_e64 v6, null, v43, v19, vcc_lo
	;; [unrolled: 3-line block ×4, first 2 shown]
	global_load_u16 v12, v[2:3], off
	global_load_u16 v89, v[5:6], off
	;; [unrolled: 1-line block ×4, first 2 shown]
	v_add_co_u32 v2, vcc_lo, v46, v18
	s_wait_alu 0xfffd
	v_add_co_ci_u32_e64 v3, null, v47, v19, vcc_lo
	v_add_co_u32 v5, vcc_lo, v32, v18
	s_wait_alu 0xfffd
	v_add_co_ci_u32_e64 v6, null, v33, v19, vcc_lo
	global_load_u16 v2, v[2:3], off
	global_load_u16 v3, v[5:6], off
	s_wait_loadcnt 0x10
	ds_bpermute_b32 v5, v1, v4
	ds_bpermute_b32 v6, v1, v4 offset:4
	ds_bpermute_b32 v9, v1, v4 offset:8
	s_wait_loadcnt 0xd
	v_lshlrev_b32_e32 v15, 16, v15
	s_wait_loadcnt 0x6
	v_lshlrev_b32_e32 v11, 16, v11
	v_lshlrev_b32_e32 v16, 16, v16
	;; [unrolled: 1-line block ×3, first 2 shown]
	ds_bpermute_b32 v14, v1, v4 offset:12
	v_mul_f32_e32 v15, v15, v16
	v_lshlrev_b32_e32 v13, 16, v13
	v_lshlrev_b32_e32 v16, 16, v49
	s_delay_alu instid0(VALU_DEP_2)
	v_mul_f32_e32 v10, v13, v10
	ds_bpermute_b32 v13, v1, v4 offset:16
	s_wait_loadcnt 0x5
	v_lshlrev_b32_e32 v12, 16, v12
	v_lshlrev_b32_e32 v48, 16, v48
	s_wait_loadcnt 0x3
	v_lshlrev_b32_e32 v7, 16, v7
	s_wait_loadcnt 0x2
	v_lshlrev_b32_e32 v8, 16, v8
	s_wait_dscnt 0x4
	v_fmac_f32_e32 v86, v10, v5
	v_lshlrev_b32_e32 v10, 16, v87
	ds_bpermute_b32 v5, v1, v4 offset:20
	v_mul_f32_e32 v7, v7, v8
	v_dual_mul_f32 v10, v16, v10 :: v_dual_lshlrev_b32 v17, 16, v17
	s_wait_loadcnt 0x1
	s_delay_alu instid0(VALU_DEP_1)
	v_dual_mul_f32 v17, v17, v48 :: v_dual_lshlrev_b32 v2, 16, v2
	s_wait_dscnt 0x4
	v_fmac_f32_e32 v86, v15, v6
	ds_bpermute_b32 v6, v1, v4 offset:24
	ds_bpermute_b32 v4, v1, v4 offset:28
	s_wait_loadcnt_dscnt 0x5
	v_dual_fmac_f32 v86, v17, v9 :: v_dual_lshlrev_b32 v3, 16, v3
	v_lshlrev_b32_e32 v15, 16, v88
	s_delay_alu instid0(VALU_DEP_2) | instskip(SKIP_1) | instid1(VALU_DEP_2)
	v_dual_mul_f32 v2, v3, v2 :: v_dual_lshlrev_b32 v9, 16, v89
	s_wait_dscnt 0x4
	v_dual_fmac_f32 v86, v10, v14 :: v_dual_mul_f32 v11, v15, v11
	s_delay_alu instid0(VALU_DEP_2) | instskip(SKIP_1) | instid1(VALU_DEP_2)
	v_mul_f32_e32 v9, v12, v9
	s_wait_dscnt 0x3
	v_fmac_f32_e32 v86, v11, v13
	s_wait_dscnt 0x2
	s_delay_alu instid0(VALU_DEP_1) | instskip(SKIP_1) | instid1(VALU_DEP_1)
	v_fmac_f32_e32 v86, v9, v5
	s_wait_dscnt 0x1
	v_fmac_f32_e32 v86, v7, v6
	s_wait_dscnt 0x0
	s_delay_alu instid0(VALU_DEP_1) | instskip(NEXT) | instid1(VALU_DEP_1)
	v_fmac_f32_e32 v86, v2, v4
	v_mov_b32_e32 v87, v86
.LBB191_81:                             ;   in Loop: Header=BB191_53 Depth=1
	v_add_co_u32 v54, vcc_lo, v54, s8
	s_wait_alu 0xfffd
	v_add_co_ci_u32_e64 v55, null, s9, v55, vcc_lo
	v_add_co_u32 v56, vcc_lo, v56, s8
	s_wait_alu 0xfffd
	v_add_co_ci_u32_e64 v57, null, s9, v57, vcc_lo
	;; [unrolled: 3-line block ×28, first 2 shown]
	v_add_co_u32 v80, vcc_lo, v80, s8
	s_add_nc_u64 s[22:23], s[22:23], s[20:21]
	s_wait_alu 0xfffd
	v_add_co_ci_u32_e64 v81, null, s9, v81, vcc_lo
	v_add_co_u32 v82, vcc_lo, v82, s8
	s_wait_alu 0xfffe
	v_cmp_ge_i64_e64 s2, s[22:23], s[4:5]
	s_wait_alu 0xfffd
	v_add_co_ci_u32_e64 v83, null, s9, v83, vcc_lo
	v_add_co_u32 v84, vcc_lo, v84, s8
	s_wait_alu 0xfffd
	v_add_co_ci_u32_e64 v85, null, s9, v85, vcc_lo
	s_and_b32 vcc_lo, exec_lo, s2
	s_add_nc_u64 s[10:11], s[10:11], s[20:21]
	s_wait_alu 0xfffe
	s_cbranch_vccnz .LBB191_83
; %bb.82:                               ;   in Loop: Header=BB191_53 Depth=1
	v_mov_b32_e32 v86, v87
	s_branch .LBB191_53
.LBB191_83:
	s_mov_b32 s2, ttmp9
	s_mov_b32 s3, 0
	s_wait_alu 0xfffe
	s_lshl_b64 s[2:3], s[2:3], 6
	s_wait_kmcnt 0x0
	s_cmp_lg_u64 s[16:17], 0
	s_wait_alu 0xfffe
	v_and_or_b32 v1, 0x3ff, v0, s2
	v_mov_b32_e32 v2, s3
	s_cselect_b32 s2, -1, 0
	s_delay_alu instid0(VALU_DEP_1)
	v_cmp_gt_i64_e32 vcc_lo, s[6:7], v[1:2]
	s_wait_alu 0xfffe
	s_and_b32 s2, vcc_lo, s2
	s_wait_alu 0xfffe
	s_and_saveexec_b32 s3, s2
	s_cbranch_execz .LBB191_85
; %bb.84:
	s_load_u16 s0, s[0:1], 0x4e
	v_bfe_u32 v3, v0, 10, 10
	v_mov_b32_e32 v4, 0
	v_bfe_u32 v6, v87, 16, 1
	s_wait_kmcnt 0x0
	s_delay_alu instid0(VALU_DEP_2) | instskip(NEXT) | instid1(VALU_DEP_1)
	v_mad_co_u64_u32 v[3:4], null, s0, ttmp7, v[3:4]
	v_mul_lo_u32 v0, v4, s6
	s_delay_alu instid0(VALU_DEP_2) | instskip(SKIP_1) | instid1(VALU_DEP_1)
	v_mul_lo_u32 v5, v3, s7
	v_mad_co_u64_u32 v[3:4], null, v3, s6, 0
	v_add3_u32 v4, v4, v5, v0
	v_add3_u32 v5, v87, v6, 0x7fff
	v_lshlrev_b64_e32 v[0:1], 1, v[1:2]
	s_delay_alu instid0(VALU_DEP_3) | instskip(NEXT) | instid1(VALU_DEP_3)
	v_lshlrev_b64_e32 v[3:4], 1, v[3:4]
	v_lshrrev_b32_e32 v2, 16, v5
	s_delay_alu instid0(VALU_DEP_2) | instskip(SKIP_1) | instid1(VALU_DEP_3)
	v_add_co_u32 v3, vcc_lo, s16, v3
	s_wait_alu 0xfffd
	v_add_co_ci_u32_e64 v4, null, s17, v4, vcc_lo
	v_cmp_o_f32_e32 vcc_lo, v87, v87
	s_wait_alu 0xfffd
	v_cndmask_b32_e32 v2, 0x7fc0, v2, vcc_lo
	v_add_co_u32 v0, vcc_lo, v3, v0
	s_wait_alu 0xfffd
	v_add_co_ci_u32_e64 v1, null, v4, v1, vcc_lo
	global_store_b16 v[0:1], v2, off
.LBB191_85:
	s_endpgm
	.section	.rodata,"a",@progbits
	.p2align	6, 0x0
	.amdhsa_kernel _ZN2at6native12_GLOBAL__N_135GammaBetaBackwardCUDAKernelTemplateIN3c108BFloat16EfLj64ELj1ELj8ELb1ELb0ELb1EEEvllPKT_S7_PKT0_SA_PS5_SB_
		.amdhsa_group_segment_fixed_size 0
		.amdhsa_private_segment_fixed_size 0
		.amdhsa_kernarg_size 320
		.amdhsa_user_sgpr_count 2
		.amdhsa_user_sgpr_dispatch_ptr 0
		.amdhsa_user_sgpr_queue_ptr 0
		.amdhsa_user_sgpr_kernarg_segment_ptr 1
		.amdhsa_user_sgpr_dispatch_id 0
		.amdhsa_user_sgpr_private_segment_size 0
		.amdhsa_wavefront_size32 1
		.amdhsa_uses_dynamic_stack 0
		.amdhsa_enable_private_segment 0
		.amdhsa_system_sgpr_workgroup_id_x 1
		.amdhsa_system_sgpr_workgroup_id_y 1
		.amdhsa_system_sgpr_workgroup_id_z 0
		.amdhsa_system_sgpr_workgroup_info 0
		.amdhsa_system_vgpr_workitem_id 1
		.amdhsa_next_free_vgpr 93
		.amdhsa_next_free_sgpr 32
		.amdhsa_reserve_vcc 1
		.amdhsa_float_round_mode_32 0
		.amdhsa_float_round_mode_16_64 0
		.amdhsa_float_denorm_mode_32 3
		.amdhsa_float_denorm_mode_16_64 3
		.amdhsa_fp16_overflow 0
		.amdhsa_workgroup_processor_mode 1
		.amdhsa_memory_ordered 1
		.amdhsa_forward_progress 1
		.amdhsa_inst_pref_size 72
		.amdhsa_round_robin_scheduling 0
		.amdhsa_exception_fp_ieee_invalid_op 0
		.amdhsa_exception_fp_denorm_src 0
		.amdhsa_exception_fp_ieee_div_zero 0
		.amdhsa_exception_fp_ieee_overflow 0
		.amdhsa_exception_fp_ieee_underflow 0
		.amdhsa_exception_fp_ieee_inexact 0
		.amdhsa_exception_int_div_zero 0
	.end_amdhsa_kernel
	.section	.text._ZN2at6native12_GLOBAL__N_135GammaBetaBackwardCUDAKernelTemplateIN3c108BFloat16EfLj64ELj1ELj8ELb1ELb0ELb1EEEvllPKT_S7_PKT0_SA_PS5_SB_,"axG",@progbits,_ZN2at6native12_GLOBAL__N_135GammaBetaBackwardCUDAKernelTemplateIN3c108BFloat16EfLj64ELj1ELj8ELb1ELb0ELb1EEEvllPKT_S7_PKT0_SA_PS5_SB_,comdat
.Lfunc_end191:
	.size	_ZN2at6native12_GLOBAL__N_135GammaBetaBackwardCUDAKernelTemplateIN3c108BFloat16EfLj64ELj1ELj8ELb1ELb0ELb1EEEvllPKT_S7_PKT0_SA_PS5_SB_, .Lfunc_end191-_ZN2at6native12_GLOBAL__N_135GammaBetaBackwardCUDAKernelTemplateIN3c108BFloat16EfLj64ELj1ELj8ELb1ELb0ELb1EEEvllPKT_S7_PKT0_SA_PS5_SB_
                                        ; -- End function
	.set _ZN2at6native12_GLOBAL__N_135GammaBetaBackwardCUDAKernelTemplateIN3c108BFloat16EfLj64ELj1ELj8ELb1ELb0ELb1EEEvllPKT_S7_PKT0_SA_PS5_SB_.num_vgpr, 93
	.set _ZN2at6native12_GLOBAL__N_135GammaBetaBackwardCUDAKernelTemplateIN3c108BFloat16EfLj64ELj1ELj8ELb1ELb0ELb1EEEvllPKT_S7_PKT0_SA_PS5_SB_.num_agpr, 0
	.set _ZN2at6native12_GLOBAL__N_135GammaBetaBackwardCUDAKernelTemplateIN3c108BFloat16EfLj64ELj1ELj8ELb1ELb0ELb1EEEvllPKT_S7_PKT0_SA_PS5_SB_.numbered_sgpr, 32
	.set _ZN2at6native12_GLOBAL__N_135GammaBetaBackwardCUDAKernelTemplateIN3c108BFloat16EfLj64ELj1ELj8ELb1ELb0ELb1EEEvllPKT_S7_PKT0_SA_PS5_SB_.num_named_barrier, 0
	.set _ZN2at6native12_GLOBAL__N_135GammaBetaBackwardCUDAKernelTemplateIN3c108BFloat16EfLj64ELj1ELj8ELb1ELb0ELb1EEEvllPKT_S7_PKT0_SA_PS5_SB_.private_seg_size, 0
	.set _ZN2at6native12_GLOBAL__N_135GammaBetaBackwardCUDAKernelTemplateIN3c108BFloat16EfLj64ELj1ELj8ELb1ELb0ELb1EEEvllPKT_S7_PKT0_SA_PS5_SB_.uses_vcc, 1
	.set _ZN2at6native12_GLOBAL__N_135GammaBetaBackwardCUDAKernelTemplateIN3c108BFloat16EfLj64ELj1ELj8ELb1ELb0ELb1EEEvllPKT_S7_PKT0_SA_PS5_SB_.uses_flat_scratch, 0
	.set _ZN2at6native12_GLOBAL__N_135GammaBetaBackwardCUDAKernelTemplateIN3c108BFloat16EfLj64ELj1ELj8ELb1ELb0ELb1EEEvllPKT_S7_PKT0_SA_PS5_SB_.has_dyn_sized_stack, 0
	.set _ZN2at6native12_GLOBAL__N_135GammaBetaBackwardCUDAKernelTemplateIN3c108BFloat16EfLj64ELj1ELj8ELb1ELb0ELb1EEEvllPKT_S7_PKT0_SA_PS5_SB_.has_recursion, 0
	.set _ZN2at6native12_GLOBAL__N_135GammaBetaBackwardCUDAKernelTemplateIN3c108BFloat16EfLj64ELj1ELj8ELb1ELb0ELb1EEEvllPKT_S7_PKT0_SA_PS5_SB_.has_indirect_call, 0
	.section	.AMDGPU.csdata,"",@progbits
; Kernel info:
; codeLenInByte = 9096
; TotalNumSgprs: 34
; NumVgprs: 93
; ScratchSize: 0
; MemoryBound: 0
; FloatMode: 240
; IeeeMode: 1
; LDSByteSize: 0 bytes/workgroup (compile time only)
; SGPRBlocks: 0
; VGPRBlocks: 11
; NumSGPRsForWavesPerEU: 34
; NumVGPRsForWavesPerEU: 93
; Occupancy: 16
; WaveLimiterHint : 0
; COMPUTE_PGM_RSRC2:SCRATCH_EN: 0
; COMPUTE_PGM_RSRC2:USER_SGPR: 2
; COMPUTE_PGM_RSRC2:TRAP_HANDLER: 0
; COMPUTE_PGM_RSRC2:TGID_X_EN: 1
; COMPUTE_PGM_RSRC2:TGID_Y_EN: 1
; COMPUTE_PGM_RSRC2:TGID_Z_EN: 0
; COMPUTE_PGM_RSRC2:TIDIG_COMP_CNT: 1
	.section	.text._ZN2at6native12_GLOBAL__N_135GammaBetaBackwardCUDAKernelTemplateIN3c108BFloat16EfLj64ELj8ELj64ELb0ELb1ELb1EEEvllPKT_S7_PKT0_SA_PS5_SB_,"axG",@progbits,_ZN2at6native12_GLOBAL__N_135GammaBetaBackwardCUDAKernelTemplateIN3c108BFloat16EfLj64ELj8ELj64ELb0ELb1ELb1EEEvllPKT_S7_PKT0_SA_PS5_SB_,comdat
	.globl	_ZN2at6native12_GLOBAL__N_135GammaBetaBackwardCUDAKernelTemplateIN3c108BFloat16EfLj64ELj8ELj64ELb0ELb1ELb1EEEvllPKT_S7_PKT0_SA_PS5_SB_ ; -- Begin function _ZN2at6native12_GLOBAL__N_135GammaBetaBackwardCUDAKernelTemplateIN3c108BFloat16EfLj64ELj8ELj64ELb0ELb1ELb1EEEvllPKT_S7_PKT0_SA_PS5_SB_
	.p2align	8
	.type	_ZN2at6native12_GLOBAL__N_135GammaBetaBackwardCUDAKernelTemplateIN3c108BFloat16EfLj64ELj8ELj64ELb0ELb1ELb1EEEvllPKT_S7_PKT0_SA_PS5_SB_,@function
_ZN2at6native12_GLOBAL__N_135GammaBetaBackwardCUDAKernelTemplateIN3c108BFloat16EfLj64ELj8ELj64ELb0ELb1ELb1EEEvllPKT_S7_PKT0_SA_PS5_SB_: ; @_ZN2at6native12_GLOBAL__N_135GammaBetaBackwardCUDAKernelTemplateIN3c108BFloat16EfLj64ELj8ELj64ELb0ELb1ELb1EEEvllPKT_S7_PKT0_SA_PS5_SB_
; %bb.0:
	s_load_b128 s[4:7], s[0:1], 0x0
	s_lshl_b32 s12, ttmp7, 6
	s_mov_b32 s13, 0
	v_bfe_u32 v7, v0, 10, 10
	s_wait_kmcnt 0x0
	v_cmp_gt_i64_e64 s2, s[4:5], s[12:13]
	s_and_b32 vcc_lo, exec_lo, s2
	s_cbranch_vccnz .LBB192_2
; %bb.1:
	v_bfe_u32 v1, v0, 10, 10
	s_mov_b32 s2, s13
	v_and_b32_e32 v6, 0x3ff, v0
	v_mov_b32_e32 v0, 0
	s_and_not1_b32 vcc_lo, exec_lo, s2
	s_cbranch_vccz .LBB192_3
	s_branch .LBB192_10
.LBB192_2:
                                        ; implicit-def: $vgpr1
	v_and_b32_e32 v6, 0x3ff, v0
	v_mov_b32_e32 v0, 0
.LBB192_3:
	s_load_b32 s2, s[0:1], 0x4c
	v_dual_mov_b32 v1, 0 :: v_dual_lshlrev_b32 v0, 3, v7
	s_clause 0x2
	s_load_b32 s3, s[0:1], 0x44
	s_load_b128 s[8:11], s[0:1], 0x10
	s_load_b64 s[16:17], s[0:1], 0x28
	s_mov_b32 s15, 0
	v_dual_mov_b32 v8, 8 :: v_dual_mov_b32 v9, 4
	v_add_co_u32 v2, s14, v0, s12
	s_delay_alu instid0(VALU_DEP_1) | instskip(SKIP_1) | instid1(VALU_DEP_3)
	v_add_co_ci_u32_e64 v3, null, 0, 0, s14
	v_lshl_add_u32 v0, ttmp9, 6, v6
	v_mul_lo_u32 v13, s7, v2
	v_mad_co_u64_u32 v[4:5], null, s6, v2, 0
	s_delay_alu instid0(VALU_DEP_4) | instskip(NEXT) | instid1(VALU_DEP_4)
	v_mul_lo_u32 v14, s6, v3
	v_lshlrev_b64_e32 v[15:16], 1, v[0:1]
	v_dual_mov_b32 v10, 12 :: v_dual_mov_b32 v11, 16
	v_mov_b32_e32 v0, 0
	s_wait_kmcnt 0x0
	s_and_b32 s2, s2, 0xffff
	s_lshl_b32 s14, s3, 6
	v_mad_u32_u24 v12, v7, s2, v6
	v_add3_u32 v5, v5, v14, v13
	v_dual_mov_b32 v13, 24 :: v_dual_mov_b32 v14, 28
	s_wait_alu 0xfffe
	s_mul_u64 s[18:19], s[6:7], s[14:15]
	v_dual_mov_b32 v12, 20 :: v_dual_and_b32 v19, 31, v12
	v_lshlrev_b64_e32 v[4:5], 1, v[4:5]
	s_lshl_b64 s[18:19], s[18:19], 1
	s_lshl_b64 s[6:7], s[6:7], 1
	s_delay_alu instid0(VALU_DEP_2) | instskip(NEXT) | instid1(VALU_DEP_1)
	v_add_co_u32 v2, vcc_lo, v2, v19
	v_add_co_ci_u32_e64 v3, null, 0, v3, vcc_lo
	s_delay_alu instid0(VALU_DEP_3) | instskip(SKIP_2) | instid1(VALU_DEP_3)
	v_add_co_u32 v15, vcc_lo, v4, v15
	s_wait_alu 0xfffd
	v_add_co_ci_u32_e64 v16, null, v5, v16, vcc_lo
	v_lshlrev_b64_e32 v[17:18], 2, v[2:3]
	v_cmp_gt_u32_e64 s2, 8, v19
	s_delay_alu instid0(VALU_DEP_2) | instskip(SKIP_1) | instid1(VALU_DEP_3)
	v_add_co_u32 v4, vcc_lo, s16, v17
	s_wait_alu 0xfffd
	v_add_co_ci_u32_e64 v5, null, s17, v18, vcc_lo
	s_lshl_b64 s[16:17], s[14:15], 2
	s_branch .LBB192_6
.LBB192_4:                              ;   in Loop: Header=BB192_6 Depth=1
	s_or_b32 exec_lo, exec_lo, s20
.LBB192_5:                              ;   in Loop: Header=BB192_6 Depth=1
	s_wait_alu 0xfffe
	s_or_b32 exec_lo, exec_lo, s3
	v_add_co_u32 v18, vcc_lo, s8, v15
	s_wait_alu 0xfffd
	v_add_co_ci_u32_e64 v19, null, s9, v16, vcc_lo
	v_add_co_u32 v20, vcc_lo, s10, v15
	s_wait_alu 0xfffd
	v_add_co_ci_u32_e64 v21, null, s11, v16, vcc_lo
	global_load_u16 v28, v[18:19], off
	global_load_u16 v29, v[20:21], off
	v_add_co_u32 v18, vcc_lo, v18, s6
	s_wait_alu 0xfffd
	v_add_co_ci_u32_e64 v19, null, s7, v19, vcc_lo
	v_add_co_u32 v20, vcc_lo, v20, s6
	s_wait_alu 0xfffd
	v_add_co_ci_u32_e64 v21, null, s7, v21, vcc_lo
	global_load_u16 v30, v[18:19], off
	v_add_co_u32 v18, vcc_lo, v18, s6
	s_wait_alu 0xfffd
	v_add_co_ci_u32_e64 v19, null, s7, v19, vcc_lo
	v_add_co_u32 v22, vcc_lo, v20, s6
	s_wait_alu 0xfffd
	v_add_co_ci_u32_e64 v23, null, s7, v21, vcc_lo
	;; [unrolled: 3-line block ×4, first 2 shown]
	global_load_u16 v31, v[20:21], off
	global_load_u16 v32, v[18:19], off
	;; [unrolled: 1-line block ×5, first 2 shown]
	v_add_co_u32 v18, vcc_lo, v26, s6
	s_wait_alu 0xfffd
	v_add_co_ci_u32_e64 v19, null, s7, v27, vcc_lo
	v_add_co_u32 v20, vcc_lo, v24, s6
	s_wait_alu 0xfffd
	v_add_co_ci_u32_e64 v21, null, s7, v25, vcc_lo
	global_load_u16 v36, v[18:19], off
	v_add_co_u32 v22, vcc_lo, v20, s6
	s_wait_alu 0xfffd
	v_add_co_ci_u32_e64 v23, null, s7, v21, vcc_lo
	v_add_co_u32 v18, vcc_lo, v18, s6
	s_wait_alu 0xfffd
	v_add_co_ci_u32_e64 v19, null, s7, v19, vcc_lo
	;; [unrolled: 3-line block ×4, first 2 shown]
	s_clause 0x1
	global_load_u16 v37, v[20:21], off
	global_load_u16 v22, v[22:23], off
	;; [unrolled: 1-line block ×5, first 2 shown]
	v_add_co_u32 v18, vcc_lo, v26, s6
	s_wait_alu 0xfffd
	v_add_co_ci_u32_e64 v19, null, s7, v27, vcc_lo
	v_add_co_u32 v20, vcc_lo, v24, s6
	s_wait_alu 0xfffd
	v_add_co_ci_u32_e64 v21, null, s7, v25, vcc_lo
	global_load_u16 v18, v[18:19], off
	global_load_u16 v19, v[20:21], off
	s_wait_loadcnt 0x10
	ds_bpermute_b32 v20, v1, v17
	ds_bpermute_b32 v21, v9, v17
	;; [unrolled: 1-line block ×3, first 2 shown]
	v_add_co_u32 v4, vcc_lo, v4, s16
	s_add_nc_u64 s[12:13], s[12:13], s[14:15]
	s_wait_alu 0xfffd
	v_add_co_ci_u32_e64 v5, null, s17, v5, vcc_lo
	v_add_co_u32 v2, vcc_lo, v2, s14
	s_wait_alu 0xfffe
	v_cmp_lt_i64_e64 s3, s[12:13], s[4:5]
	s_wait_alu 0xfffd
	v_add_co_ci_u32_e64 v3, null, 0, v3, vcc_lo
	v_add_co_u32 v15, vcc_lo, v15, s18
	s_wait_alu 0xfffd
	v_add_co_ci_u32_e64 v16, null, s19, v16, vcc_lo
	s_and_b32 vcc_lo, exec_lo, s3
	s_wait_loadcnt 0xf
	v_lshlrev_b32_e32 v25, 16, v28
	s_wait_loadcnt 0xe
	v_lshlrev_b32_e32 v24, 16, v29
	ds_bpermute_b32 v28, v10, v17
	s_wait_loadcnt 0xd
	v_dual_mul_f32 v24, v25, v24 :: v_dual_lshlrev_b32 v25, 16, v30
	s_wait_loadcnt_dscnt 0xc03
	s_delay_alu instid0(VALU_DEP_1) | instskip(SKIP_3) | instid1(VALU_DEP_2)
	v_dual_fmac_f32 v0, v24, v20 :: v_dual_lshlrev_b32 v27, 16, v31
	s_wait_loadcnt 0xb
	v_lshlrev_b32_e32 v24, 16, v32
	s_wait_loadcnt 0xa
	v_dual_mul_f32 v20, v25, v27 :: v_dual_lshlrev_b32 v29, 16, v33
	ds_bpermute_b32 v25, v11, v17
	s_wait_loadcnt_dscnt 0x803
	v_dual_fmac_f32 v0, v20, v21 :: v_dual_lshlrev_b32 v27, 16, v35
	v_mul_f32_e32 v20, v24, v29
	ds_bpermute_b32 v24, v12, v17
	s_wait_loadcnt_dscnt 0x703
	v_dual_fmac_f32 v0, v20, v26 :: v_dual_lshlrev_b32 v29, 16, v36
	v_lshlrev_b32_e32 v21, 16, v34
	ds_bpermute_b32 v26, v13, v17
	ds_bpermute_b32 v17, v14, v17
	s_wait_loadcnt 0x6
	v_dual_mul_f32 v20, v21, v27 :: v_dual_lshlrev_b32 v21, 16, v37
	s_wait_loadcnt_dscnt 0x404
	s_delay_alu instid0(VALU_DEP_1) | instskip(NEXT) | instid1(VALU_DEP_2)
	v_dual_fmac_f32 v0, v20, v28 :: v_dual_lshlrev_b32 v23, 16, v23
	v_dual_mul_f32 v20, v21, v29 :: v_dual_lshlrev_b32 v21, 16, v22
	s_wait_loadcnt 0x2
	v_lshlrev_b32_e32 v22, 16, v39
	s_wait_dscnt 0x3
	s_delay_alu instid0(VALU_DEP_2) | instskip(SKIP_4) | instid1(VALU_DEP_2)
	v_dual_fmac_f32 v0, v20, v25 :: v_dual_lshlrev_b32 v27, 16, v38
	v_mul_f32_e32 v20, v21, v23
	s_wait_loadcnt 0x1
	v_lshlrev_b32_e32 v18, 16, v18
	s_wait_loadcnt_dscnt 0x2
	v_dual_fmac_f32 v0, v20, v24 :: v_dual_lshlrev_b32 v19, 16, v19
	v_mul_f32_e32 v20, v27, v22
	s_delay_alu instid0(VALU_DEP_2) | instskip(SKIP_1) | instid1(VALU_DEP_2)
	v_mul_f32_e32 v18, v19, v18
	s_wait_dscnt 0x1
	v_fmac_f32_e32 v0, v20, v26
	s_wait_dscnt 0x0
	s_delay_alu instid0(VALU_DEP_1)
	v_fmac_f32_e32 v0, v18, v17
	s_wait_alu 0xfffe
	s_cbranch_vccz .LBB192_9
.LBB192_6:                              ; =>This Inner Loop Header: Depth=1
	v_mov_b32_e32 v17, 0
	s_and_saveexec_b32 s3, s2
	s_cbranch_execz .LBB192_5
; %bb.7:                                ;   in Loop: Header=BB192_6 Depth=1
	v_mov_b32_e32 v17, 0
	s_mov_b32 s20, exec_lo
	v_cmpx_gt_i64_e64 s[4:5], v[2:3]
	s_cbranch_execz .LBB192_4
; %bb.8:                                ;   in Loop: Header=BB192_6 Depth=1
	global_load_b32 v17, v[4:5], off
	s_branch .LBB192_4
.LBB192_9:
	v_mov_b32_e32 v1, v7
.LBB192_10:
	s_load_b64 s[2:3], s[0:1], 0x30
	s_delay_alu instid0(VALU_DEP_1) | instskip(SKIP_2) | instid1(VALU_DEP_2)
	v_mad_u32_u24 v2, 0x41, v1, v6
	v_mov_b32_e32 v4, 0
	s_mov_b32 s0, exec_lo
	v_lshl_add_u32 v3, v2, 2, 0
	v_sub_nc_u32_e32 v1, v2, v1
	ds_store_b32 v3, v0
	ds_store_b32 v3, v4 offset:2080
	s_wait_dscnt 0x0
	s_barrier_signal -1
	s_barrier_wait -1
	global_inv scope:SCOPE_SE
	v_cmpx_gt_u32_e32 0x800, v1
	s_cbranch_execz .LBB192_30
; %bb.11:
	v_and_b32_e32 v2, 31, v6
	v_lshrrev_b32_e32 v0, 5, v1
                                        ; implicit-def: $vgpr5
	s_delay_alu instid0(VALU_DEP_2)
	v_cmp_gt_u32_e32 vcc_lo, 8, v2
	v_mul_u32_u24_e32 v2, 0x41, v2
	s_and_saveexec_b32 s0, vcc_lo
	s_cbranch_execz .LBB192_13
; %bb.12:
	v_lshlrev_b32_e32 v3, 2, v0
	s_delay_alu instid0(VALU_DEP_2) | instskip(NEXT) | instid1(VALU_DEP_1)
	v_lshlrev_b32_e32 v4, 2, v2
	v_add3_u32 v3, 0, v3, v4
	ds_load_b32 v5, v3
.LBB192_13:
	s_wait_alu 0xfffe
	s_or_b32 exec_lo, exec_lo, s0
	v_mbcnt_lo_u32_b32 v7, -1, 0
	s_mov_b32 s4, ttmp9
	s_wait_kmcnt 0x0
	s_cmp_lg_u64 s[2:3], 0
	s_mov_b32 s5, 0
	s_cselect_b32 s1, -1, 0
	v_xor_b32_e32 v3, 4, v7
	v_xor_b32_e32 v4, 2, v7
	;; [unrolled: 1-line block ×3, first 2 shown]
	s_wait_alu 0xfffe
	s_lshl_b64 s[4:5], s[4:5], 7
	s_wait_alu 0xfffe
	s_add_nc_u64 s[2:3], s[2:3], s[4:5]
	v_cmp_gt_i32_e64 s0, 32, v3
	s_wait_alu 0xf1ff
	s_delay_alu instid0(VALU_DEP_1) | instskip(SKIP_1) | instid1(VALU_DEP_2)
	v_cndmask_b32_e64 v3, v7, v3, s0
	v_cmp_gt_i32_e64 s0, 32, v4
	v_lshlrev_b32_e32 v3, 2, v3
	s_wait_alu 0xf1ff
	s_delay_alu instid0(VALU_DEP_2)
	v_cndmask_b32_e64 v4, v7, v4, s0
	v_cmp_gt_i32_e64 s0, 32, v9
	s_wait_dscnt 0x0
	ds_bpermute_b32 v8, v3, v5
	v_lshlrev_b32_e32 v4, 2, v4
	s_wait_alu 0xf1ff
	v_cndmask_b32_e64 v7, v7, v9, s0
	v_cmp_eq_u32_e64 s0, 0, v6
	s_and_b32 s1, s0, s1
	s_wait_dscnt 0x0
	v_add_f32_e32 v5, v5, v8
	ds_bpermute_b32 v8, v4, v5
	s_wait_dscnt 0x0
	v_dual_add_f32 v8, v5, v8 :: v_dual_lshlrev_b32 v5, 2, v7
	ds_bpermute_b32 v7, v5, v8
	s_wait_dscnt 0x0
	v_add_f32_e32 v6, v8, v7
	s_wait_alu 0xfffe
	s_and_saveexec_b32 s4, s1
	s_cbranch_execz .LBB192_15
; %bb.14:
	s_delay_alu instid0(VALU_DEP_1) | instskip(SKIP_2) | instid1(VALU_DEP_3)
	v_bfe_u32 v7, v6, 16, 1
	v_cmp_o_f32_e64 s0, v6, v6
	v_lshlrev_b32_e32 v8, 1, v0
	v_add3_u32 v7, v6, v7, 0x7fff
	s_delay_alu instid0(VALU_DEP_1) | instskip(SKIP_1) | instid1(VALU_DEP_1)
	v_lshrrev_b32_e32 v7, 16, v7
	s_wait_alu 0xf1ff
	v_cndmask_b32_e64 v7, 0x7fc0, v7, s0
	global_store_b16 v8, v7, s[2:3]
.LBB192_15:
	s_wait_alu 0xfffe
	s_or_b32 exec_lo, exec_lo, s4
	v_cmp_gt_u32_e64 s0, 0x600, v1
	s_and_b32 exec_lo, exec_lo, s0
	s_cbranch_execz .LBB192_30
; %bb.16:
	s_and_saveexec_b32 s0, vcc_lo
	s_cbranch_execz .LBB192_18
; %bb.17:
	v_lshlrev_b32_e32 v6, 2, v0
	v_lshlrev_b32_e32 v7, 2, v2
	s_delay_alu instid0(VALU_DEP_1)
	v_add3_u32 v6, 0, v6, v7
	ds_load_b32 v6, v6 offset:64
.LBB192_18:
	s_wait_alu 0xfffe
	s_or_b32 exec_lo, exec_lo, s0
	s_wait_dscnt 0x0
	ds_bpermute_b32 v7, v3, v6
	s_wait_dscnt 0x0
	v_add_f32_e32 v6, v6, v7
	ds_bpermute_b32 v7, v4, v6
	s_wait_dscnt 0x0
	v_add_f32_e32 v6, v6, v7
	;; [unrolled: 3-line block ×3, first 2 shown]
	s_and_saveexec_b32 s4, s1
	s_cbranch_execz .LBB192_20
; %bb.19:
	s_delay_alu instid0(VALU_DEP_1) | instskip(SKIP_2) | instid1(VALU_DEP_3)
	v_bfe_u32 v7, v6, 16, 1
	v_cmp_o_f32_e64 s0, v6, v6
	v_lshlrev_b32_e32 v8, 1, v0
	v_add3_u32 v7, v6, v7, 0x7fff
	s_delay_alu instid0(VALU_DEP_1) | instskip(SKIP_1) | instid1(VALU_DEP_1)
	v_lshrrev_b32_e32 v7, 16, v7
	s_wait_alu 0xf1ff
	v_cndmask_b32_e64 v7, 0x7fc0, v7, s0
	global_store_b16 v8, v7, s[2:3] offset:32
.LBB192_20:
	s_wait_alu 0xfffe
	s_or_b32 exec_lo, exec_lo, s4
	v_cmp_gt_u32_e64 s0, 0x400, v1
	s_and_b32 exec_lo, exec_lo, s0
	s_cbranch_execz .LBB192_30
; %bb.21:
	s_and_saveexec_b32 s0, vcc_lo
	s_cbranch_execz .LBB192_23
; %bb.22:
	v_lshlrev_b32_e32 v6, 2, v0
	v_lshlrev_b32_e32 v7, 2, v2
	s_delay_alu instid0(VALU_DEP_1)
	v_add3_u32 v6, 0, v6, v7
	ds_load_b32 v6, v6 offset:128
.LBB192_23:
	s_wait_alu 0xfffe
	s_or_b32 exec_lo, exec_lo, s0
	s_wait_dscnt 0x0
	ds_bpermute_b32 v7, v3, v6
	s_wait_dscnt 0x0
	v_add_f32_e32 v6, v6, v7
	ds_bpermute_b32 v7, v4, v6
	s_wait_dscnt 0x0
	v_add_f32_e32 v6, v6, v7
	;; [unrolled: 3-line block ×3, first 2 shown]
	s_and_saveexec_b32 s4, s1
	s_cbranch_execz .LBB192_25
; %bb.24:
	s_delay_alu instid0(VALU_DEP_1) | instskip(SKIP_2) | instid1(VALU_DEP_3)
	v_bfe_u32 v7, v6, 16, 1
	v_cmp_o_f32_e64 s0, v6, v6
	v_lshlrev_b32_e32 v8, 1, v0
	v_add3_u32 v7, v6, v7, 0x7fff
	s_delay_alu instid0(VALU_DEP_1) | instskip(SKIP_1) | instid1(VALU_DEP_1)
	v_lshrrev_b32_e32 v7, 16, v7
	s_wait_alu 0xf1ff
	v_cndmask_b32_e64 v7, 0x7fc0, v7, s0
	global_store_b16 v8, v7, s[2:3] offset:64
.LBB192_25:
	s_wait_alu 0xfffe
	s_or_b32 exec_lo, exec_lo, s4
	v_cmp_gt_u32_e64 s0, 0x200, v1
	s_and_b32 exec_lo, exec_lo, s0
	s_cbranch_execz .LBB192_30
; %bb.26:
	s_and_saveexec_b32 s0, vcc_lo
	s_cbranch_execz .LBB192_28
; %bb.27:
	v_lshlrev_b32_e32 v1, 2, v0
	v_lshlrev_b32_e32 v2, 2, v2
	s_delay_alu instid0(VALU_DEP_1)
	v_add3_u32 v1, 0, v1, v2
	ds_load_b32 v6, v1 offset:192
.LBB192_28:
	s_wait_alu 0xfffe
	s_or_b32 exec_lo, exec_lo, s0
	s_wait_dscnt 0x0
	ds_bpermute_b32 v1, v3, v6
	s_wait_dscnt 0x0
	v_add_f32_e32 v1, v6, v1
	ds_bpermute_b32 v2, v4, v1
	s_wait_dscnt 0x0
	v_add_f32_e32 v1, v1, v2
	ds_bpermute_b32 v2, v5, v1
	s_and_saveexec_b32 s0, s1
	s_wait_alu 0xfffe
	s_xor_b32 s0, exec_lo, s0
	s_cbranch_execz .LBB192_30
; %bb.29:
	s_wait_dscnt 0x0
	v_dual_add_f32 v1, v1, v2 :: v_dual_lshlrev_b32 v0, 1, v0
	s_delay_alu instid0(VALU_DEP_1) | instskip(SKIP_1) | instid1(VALU_DEP_2)
	v_bfe_u32 v2, v1, 16, 1
	v_cmp_o_f32_e32 vcc_lo, v1, v1
	v_add3_u32 v2, v1, v2, 0x7fff
	s_delay_alu instid0(VALU_DEP_1) | instskip(SKIP_1) | instid1(VALU_DEP_1)
	v_lshrrev_b32_e32 v2, 16, v2
	s_wait_alu 0xfffd
	v_cndmask_b32_e32 v1, 0x7fc0, v2, vcc_lo
	global_store_b16 v0, v1, s[2:3] offset:96
.LBB192_30:
	s_endpgm
	.section	.rodata,"a",@progbits
	.p2align	6, 0x0
	.amdhsa_kernel _ZN2at6native12_GLOBAL__N_135GammaBetaBackwardCUDAKernelTemplateIN3c108BFloat16EfLj64ELj8ELj64ELb0ELb1ELb1EEEvllPKT_S7_PKT0_SA_PS5_SB_
		.amdhsa_group_segment_fixed_size 0
		.amdhsa_private_segment_fixed_size 0
		.amdhsa_kernarg_size 320
		.amdhsa_user_sgpr_count 2
		.amdhsa_user_sgpr_dispatch_ptr 0
		.amdhsa_user_sgpr_queue_ptr 0
		.amdhsa_user_sgpr_kernarg_segment_ptr 1
		.amdhsa_user_sgpr_dispatch_id 0
		.amdhsa_user_sgpr_private_segment_size 0
		.amdhsa_wavefront_size32 1
		.amdhsa_uses_dynamic_stack 0
		.amdhsa_enable_private_segment 0
		.amdhsa_system_sgpr_workgroup_id_x 1
		.amdhsa_system_sgpr_workgroup_id_y 1
		.amdhsa_system_sgpr_workgroup_id_z 0
		.amdhsa_system_sgpr_workgroup_info 0
		.amdhsa_system_vgpr_workitem_id 1
		.amdhsa_next_free_vgpr 40
		.amdhsa_next_free_sgpr 21
		.amdhsa_reserve_vcc 1
		.amdhsa_float_round_mode_32 0
		.amdhsa_float_round_mode_16_64 0
		.amdhsa_float_denorm_mode_32 3
		.amdhsa_float_denorm_mode_16_64 3
		.amdhsa_fp16_overflow 0
		.amdhsa_workgroup_processor_mode 1
		.amdhsa_memory_ordered 1
		.amdhsa_forward_progress 1
		.amdhsa_inst_pref_size 19
		.amdhsa_round_robin_scheduling 0
		.amdhsa_exception_fp_ieee_invalid_op 0
		.amdhsa_exception_fp_denorm_src 0
		.amdhsa_exception_fp_ieee_div_zero 0
		.amdhsa_exception_fp_ieee_overflow 0
		.amdhsa_exception_fp_ieee_underflow 0
		.amdhsa_exception_fp_ieee_inexact 0
		.amdhsa_exception_int_div_zero 0
	.end_amdhsa_kernel
	.section	.text._ZN2at6native12_GLOBAL__N_135GammaBetaBackwardCUDAKernelTemplateIN3c108BFloat16EfLj64ELj8ELj64ELb0ELb1ELb1EEEvllPKT_S7_PKT0_SA_PS5_SB_,"axG",@progbits,_ZN2at6native12_GLOBAL__N_135GammaBetaBackwardCUDAKernelTemplateIN3c108BFloat16EfLj64ELj8ELj64ELb0ELb1ELb1EEEvllPKT_S7_PKT0_SA_PS5_SB_,comdat
.Lfunc_end192:
	.size	_ZN2at6native12_GLOBAL__N_135GammaBetaBackwardCUDAKernelTemplateIN3c108BFloat16EfLj64ELj8ELj64ELb0ELb1ELb1EEEvllPKT_S7_PKT0_SA_PS5_SB_, .Lfunc_end192-_ZN2at6native12_GLOBAL__N_135GammaBetaBackwardCUDAKernelTemplateIN3c108BFloat16EfLj64ELj8ELj64ELb0ELb1ELb1EEEvllPKT_S7_PKT0_SA_PS5_SB_
                                        ; -- End function
	.set _ZN2at6native12_GLOBAL__N_135GammaBetaBackwardCUDAKernelTemplateIN3c108BFloat16EfLj64ELj8ELj64ELb0ELb1ELb1EEEvllPKT_S7_PKT0_SA_PS5_SB_.num_vgpr, 40
	.set _ZN2at6native12_GLOBAL__N_135GammaBetaBackwardCUDAKernelTemplateIN3c108BFloat16EfLj64ELj8ELj64ELb0ELb1ELb1EEEvllPKT_S7_PKT0_SA_PS5_SB_.num_agpr, 0
	.set _ZN2at6native12_GLOBAL__N_135GammaBetaBackwardCUDAKernelTemplateIN3c108BFloat16EfLj64ELj8ELj64ELb0ELb1ELb1EEEvllPKT_S7_PKT0_SA_PS5_SB_.numbered_sgpr, 21
	.set _ZN2at6native12_GLOBAL__N_135GammaBetaBackwardCUDAKernelTemplateIN3c108BFloat16EfLj64ELj8ELj64ELb0ELb1ELb1EEEvllPKT_S7_PKT0_SA_PS5_SB_.num_named_barrier, 0
	.set _ZN2at6native12_GLOBAL__N_135GammaBetaBackwardCUDAKernelTemplateIN3c108BFloat16EfLj64ELj8ELj64ELb0ELb1ELb1EEEvllPKT_S7_PKT0_SA_PS5_SB_.private_seg_size, 0
	.set _ZN2at6native12_GLOBAL__N_135GammaBetaBackwardCUDAKernelTemplateIN3c108BFloat16EfLj64ELj8ELj64ELb0ELb1ELb1EEEvllPKT_S7_PKT0_SA_PS5_SB_.uses_vcc, 1
	.set _ZN2at6native12_GLOBAL__N_135GammaBetaBackwardCUDAKernelTemplateIN3c108BFloat16EfLj64ELj8ELj64ELb0ELb1ELb1EEEvllPKT_S7_PKT0_SA_PS5_SB_.uses_flat_scratch, 0
	.set _ZN2at6native12_GLOBAL__N_135GammaBetaBackwardCUDAKernelTemplateIN3c108BFloat16EfLj64ELj8ELj64ELb0ELb1ELb1EEEvllPKT_S7_PKT0_SA_PS5_SB_.has_dyn_sized_stack, 0
	.set _ZN2at6native12_GLOBAL__N_135GammaBetaBackwardCUDAKernelTemplateIN3c108BFloat16EfLj64ELj8ELj64ELb0ELb1ELb1EEEvllPKT_S7_PKT0_SA_PS5_SB_.has_recursion, 0
	.set _ZN2at6native12_GLOBAL__N_135GammaBetaBackwardCUDAKernelTemplateIN3c108BFloat16EfLj64ELj8ELj64ELb0ELb1ELb1EEEvllPKT_S7_PKT0_SA_PS5_SB_.has_indirect_call, 0
	.section	.AMDGPU.csdata,"",@progbits
; Kernel info:
; codeLenInByte = 2388
; TotalNumSgprs: 23
; NumVgprs: 40
; ScratchSize: 0
; MemoryBound: 0
; FloatMode: 240
; IeeeMode: 1
; LDSByteSize: 0 bytes/workgroup (compile time only)
; SGPRBlocks: 0
; VGPRBlocks: 4
; NumSGPRsForWavesPerEU: 23
; NumVGPRsForWavesPerEU: 40
; Occupancy: 16
; WaveLimiterHint : 0
; COMPUTE_PGM_RSRC2:SCRATCH_EN: 0
; COMPUTE_PGM_RSRC2:USER_SGPR: 2
; COMPUTE_PGM_RSRC2:TRAP_HANDLER: 0
; COMPUTE_PGM_RSRC2:TGID_X_EN: 1
; COMPUTE_PGM_RSRC2:TGID_Y_EN: 1
; COMPUTE_PGM_RSRC2:TGID_Z_EN: 0
; COMPUTE_PGM_RSRC2:TIDIG_COMP_CNT: 1
	.section	.text._ZN2at6native12_GLOBAL__N_135GammaBetaBackwardCUDAKernelTemplateIN3c108BFloat16EfLj64ELj8ELj64ELb0ELb0ELb1EEEvllPKT_S7_PKT0_SA_PS5_SB_,"axG",@progbits,_ZN2at6native12_GLOBAL__N_135GammaBetaBackwardCUDAKernelTemplateIN3c108BFloat16EfLj64ELj8ELj64ELb0ELb0ELb1EEEvllPKT_S7_PKT0_SA_PS5_SB_,comdat
	.globl	_ZN2at6native12_GLOBAL__N_135GammaBetaBackwardCUDAKernelTemplateIN3c108BFloat16EfLj64ELj8ELj64ELb0ELb0ELb1EEEvllPKT_S7_PKT0_SA_PS5_SB_ ; -- Begin function _ZN2at6native12_GLOBAL__N_135GammaBetaBackwardCUDAKernelTemplateIN3c108BFloat16EfLj64ELj8ELj64ELb0ELb0ELb1EEEvllPKT_S7_PKT0_SA_PS5_SB_
	.p2align	8
	.type	_ZN2at6native12_GLOBAL__N_135GammaBetaBackwardCUDAKernelTemplateIN3c108BFloat16EfLj64ELj8ELj64ELb0ELb0ELb1EEEvllPKT_S7_PKT0_SA_PS5_SB_,@function
_ZN2at6native12_GLOBAL__N_135GammaBetaBackwardCUDAKernelTemplateIN3c108BFloat16EfLj64ELj8ELj64ELb0ELb0ELb1EEEvllPKT_S7_PKT0_SA_PS5_SB_: ; @_ZN2at6native12_GLOBAL__N_135GammaBetaBackwardCUDAKernelTemplateIN3c108BFloat16EfLj64ELj8ELj64ELb0ELb0ELb1EEEvllPKT_S7_PKT0_SA_PS5_SB_
; %bb.0:
	s_clause 0x1
	s_load_b256 s[4:11], s[0:1], 0x0
	s_load_b64 s[12:13], s[0:1], 0x28
	s_lshl_b32 s28, ttmp9, 6
	s_mov_b32 s15, 0
	s_or_b32 s14, s28, 63
	s_wait_kmcnt 0x0
	v_cmp_le_i64_e64 s2, s[6:7], s[14:15]
	s_lshl_b32 s14, ttmp7, 6
	s_wait_alu 0xfffe
	v_cmp_gt_i64_e64 s29, s[4:5], s[14:15]
	s_and_b32 vcc_lo, exec_lo, s2
	v_cndmask_b32_e64 v1, 0, 1, s29
	s_delay_alu instid0(VALU_DEP_1)
	v_cmp_ne_u32_e64 s2, 1, v1
	s_cbranch_vccz .LBB193_49
; %bb.1:
	v_mov_b32_e32 v86, 0
	s_and_b32 vcc_lo, exec_lo, s2
	s_cbranch_vccnz .LBB193_50
; %bb.2:
	v_bfe_u32 v20, v0, 10, 10
	v_dual_mov_b32 v1, 0 :: v_dual_and_b32 v22, 0x3ff, v0
	s_load_b32 s3, s[0:1], 0x44
	s_mov_b32 s17, 0
	s_delay_alu instid0(VALU_DEP_2) | instskip(NEXT) | instid1(VALU_DEP_2)
	v_lshlrev_b32_e32 v21, 3, v20
	v_dual_mov_b32 v3, v1 :: v_dual_add_nc_u32 v2, s28, v22
	s_mov_b32 s21, s17
	v_mov_b32_e32 v55, 0
	s_delay_alu instid0(VALU_DEP_3) | instskip(NEXT) | instid1(VALU_DEP_1)
	v_add_co_u32 v10, s2, v21, s14
	v_add_co_ci_u32_e64 v11, null, 0, 0, s2
	v_cmp_gt_i64_e64 s2, s[6:7], v[2:3]
	s_delay_alu instid0(VALU_DEP_3) | instskip(SKIP_1) | instid1(VALU_DEP_4)
	v_mul_lo_u32 v6, s7, v10
	v_mad_co_u64_u32 v[4:5], null, s6, v10, 0
	v_mul_lo_u32 v7, s6, v11
	v_add_co_u32 v8, vcc_lo, v10, 7
	s_delay_alu instid0(VALU_DEP_1) | instskip(SKIP_1) | instid1(VALU_DEP_3)
	v_add_co_ci_u32_e64 v9, null, 0, v11, vcc_lo
	v_lshlrev_b64_e32 v[18:19], 1, v[2:3]
	v_mul_lo_u32 v12, s7, v8
	s_wait_kmcnt 0x0
	s_lshl_b32 s20, s3, 6
	v_add3_u32 v5, v5, v7, v6
	v_mad_co_u64_u32 v[6:7], null, s6, v8, 0
	v_add_co_u32 v8, vcc_lo, v10, 6
	v_mul_lo_u32 v13, s6, v9
	s_wait_alu 0xfffd
	v_add_co_ci_u32_e64 v9, null, 0, v11, vcc_lo
	v_lshlrev_b64_e32 v[2:3], 1, v[4:5]
	v_mul_lo_u32 v14, s7, v8
	s_mul_u64 s[22:23], s[6:7], s[20:21]
	s_delay_alu instid0(VALU_DEP_3) | instskip(SKIP_1) | instid1(VALU_DEP_4)
	v_mul_lo_u32 v15, s6, v9
	v_mad_co_u64_u32 v[8:9], null, s6, v8, 0
	v_add_co_u32 v23, vcc_lo, s8, v2
	s_wait_alu 0xfffd
	v_add_co_ci_u32_e64 v24, null, s9, v3, vcc_lo
	v_add_co_u32 v25, vcc_lo, s10, v2
	v_add3_u32 v7, v7, v13, v12
	s_wait_alu 0xfffd
	v_add_co_ci_u32_e64 v26, null, s11, v3, vcc_lo
	v_add_co_u32 v12, vcc_lo, v10, 5
	v_add3_u32 v9, v9, v15, v14
	s_wait_alu 0xfffd
	v_add_co_ci_u32_e64 v13, null, 0, v11, vcc_lo
	v_lshlrev_b64_e32 v[2:3], 1, v[6:7]
	v_mul_lo_u32 v14, s7, v12
	v_lshlrev_b64_e32 v[6:7], 1, v[8:9]
	s_delay_alu instid0(VALU_DEP_4)
	v_mul_lo_u32 v13, s6, v13
	v_mad_co_u64_u32 v[8:9], null, s6, v12, 0
	v_add_co_u32 v27, vcc_lo, s8, v2
	s_wait_alu 0xfffd
	v_add_co_ci_u32_e64 v28, null, s9, v3, vcc_lo
	v_add_co_u32 v29, vcc_lo, s10, v2
	s_wait_alu 0xfffd
	v_add_co_ci_u32_e64 v30, null, s11, v3, vcc_lo
	v_add_co_u32 v31, vcc_lo, s8, v6
	v_add3_u32 v9, v9, v13, v14
	s_wait_alu 0xfffd
	v_add_co_ci_u32_e64 v32, null, s9, v7, vcc_lo
	v_add_co_u32 v12, vcc_lo, v10, 4
	v_add_co_u32 v33, s3, s10, v6
	s_wait_alu 0xfffd
	v_add_co_ci_u32_e64 v6, null, 0, v11, vcc_lo
	v_lshlrev_b64_e32 v[2:3], 1, v[8:9]
	v_add_co_u32 v8, vcc_lo, v10, 3
	s_wait_alu 0xfffd
	v_add_co_ci_u32_e64 v9, null, 0, v11, vcc_lo
	s_wait_alu 0xf1ff
	v_add_co_ci_u32_e64 v34, null, s11, v7, s3
	v_mul_lo_u32 v13, s7, v12
	v_mul_lo_u32 v14, s6, v6
	v_mad_co_u64_u32 v[6:7], null, s6, v12, 0
	v_mul_lo_u32 v12, s7, v8
	v_mul_lo_u32 v15, s6, v9
	v_mad_co_u64_u32 v[8:9], null, s6, v8, 0
	v_add_co_u32 v35, vcc_lo, s8, v2
	s_wait_alu 0xfffd
	v_add_co_ci_u32_e64 v36, null, s9, v3, vcc_lo
	v_add3_u32 v7, v7, v14, v13
	v_add_co_u32 v37, vcc_lo, s10, v2
	s_wait_alu 0xfffd
	v_add_co_ci_u32_e64 v38, null, s11, v3, vcc_lo
	v_add_co_u32 v10, vcc_lo, v10, 2
	v_add3_u32 v9, v9, v15, v12
	s_wait_alu 0xfffd
	v_add_co_ci_u32_e64 v11, null, 0, v11, vcc_lo
	v_lshlrev_b64_e32 v[2:3], 1, v[6:7]
	v_mul_lo_u32 v12, s7, v10
	v_lshlrev_b64_e32 v[6:7], 1, v[8:9]
	s_delay_alu instid0(VALU_DEP_4)
	v_mul_lo_u32 v11, s6, v11
	v_mad_co_u64_u32 v[8:9], null, s6, v10, 0
	v_add_co_u32 v39, vcc_lo, s8, v2
	s_wait_alu 0xfffd
	v_add_co_ci_u32_e64 v40, null, s9, v3, vcc_lo
	v_add_co_u32 v41, vcc_lo, s10, v2
	s_wait_alu 0xfffd
	v_add_co_ci_u32_e64 v42, null, s11, v3, vcc_lo
	;; [unrolled: 3-line block ×3, first 2 shown]
	v_add3_u32 v9, v9, v11, v12
	v_add_co_u32 v45, vcc_lo, s10, v6
	s_wait_alu 0xfffd
	v_add_co_ci_u32_e64 v46, null, s11, v7, vcc_lo
	v_add_co_u32 v4, vcc_lo, v4, s6
	s_wait_alu 0xfffd
	v_add_co_ci_u32_e64 v5, null, s7, v5, vcc_lo
	v_lshlrev_b64_e32 v[2:3], 1, v[8:9]
	s_add_nc_u64 s[18:19], s[0:1], 64
	s_lshl_b64 s[22:23], s[22:23], 1
	s_delay_alu instid0(VALU_DEP_2)
	v_lshlrev_b64_e32 v[4:5], 1, v[4:5]
	s_add_nc_u64 s[24:25], s[14:15], 63
	s_mov_b64 s[26:27], s[14:15]
	v_add_co_u32 v47, vcc_lo, s8, v2
	s_wait_alu 0xfffd
	v_add_co_ci_u32_e64 v48, null, s9, v3, vcc_lo
	v_add_co_u32 v49, vcc_lo, s10, v2
	s_wait_alu 0xfffd
	v_add_co_ci_u32_e64 v50, null, s11, v3, vcc_lo
	;; [unrolled: 3-line block ×4, first 2 shown]
.LBB193_3:                              ; =>This Inner Loop Header: Depth=1
	v_cmp_ge_i64_e64 s3, s[24:25], s[4:5]
	v_add_co_u32 v56, s16, v21, s24
	s_wait_alu 0xf1ff
	v_add_co_ci_u32_e64 v57, null, 0, s25, s16
                                        ; implicit-def: $vgpr2_vgpr3_vgpr4_vgpr5_vgpr6_vgpr7_vgpr8_vgpr9
                                        ; implicit-def: $vgpr86
                                        ; implicit-def: $vgpr10_vgpr11_vgpr12_vgpr13_vgpr14_vgpr15_vgpr16_vgpr17
                                        ; implicit-def: $vgpr2
	s_and_b32 vcc_lo, exec_lo, s3
	s_mov_b32 s3, -1
	s_wait_alu 0xfffe
	s_cbranch_vccz .LBB193_25
; %bb.4:                                ;   in Loop: Header=BB193_3 Depth=1
	s_load_b32 s3, s[18:19], 0xc
	v_mov_b32_e32 v58, 0
	s_wait_kmcnt 0x0
	s_and_b32 s3, s3, 0xffff
	s_wait_alu 0xfffe
	v_mad_u32_u24 v2, v20, s3, v22
	s_mov_b32 s3, exec_lo
	s_delay_alu instid0(VALU_DEP_1) | instskip(NEXT) | instid1(VALU_DEP_1)
	v_and_b32_e32 v2, 31, v2
	v_cmpx_gt_u32_e32 8, v2
	s_cbranch_execz .LBB193_8
; %bb.5:                                ;   in Loop: Header=BB193_3 Depth=1
	v_add_co_u32 v2, vcc_lo, v56, v2
	s_wait_alu 0xfffd
	v_add_co_ci_u32_e64 v3, null, 0, v57, vcc_lo
	v_mov_b32_e32 v58, 0
	s_delay_alu instid0(VALU_DEP_3) | instskip(SKIP_1) | instid1(VALU_DEP_3)
	v_add_co_u32 v2, vcc_lo, 0xffffffc1, v2
	s_wait_alu 0xfffd
	v_add_co_ci_u32_e64 v3, null, -1, v3, vcc_lo
	s_mov_b32 s16, exec_lo
	v_cmpx_gt_i64_e64 s[4:5], v[2:3]
	s_cbranch_execz .LBB193_7
; %bb.6:                                ;   in Loop: Header=BB193_3 Depth=1
	v_lshlrev_b64_e32 v[2:3], 2, v[2:3]
	s_delay_alu instid0(VALU_DEP_1) | instskip(SKIP_1) | instid1(VALU_DEP_2)
	v_add_co_u32 v2, vcc_lo, s12, v2
	s_wait_alu 0xfffd
	v_add_co_ci_u32_e64 v3, null, s13, v3, vcc_lo
	global_load_b32 v58, v[2:3], off
.LBB193_7:                              ;   in Loop: Header=BB193_3 Depth=1
	s_wait_alu 0xfffe
	s_or_b32 exec_lo, exec_lo, s16
.LBB193_8:                              ;   in Loop: Header=BB193_3 Depth=1
	s_wait_alu 0xfffe
	s_or_b32 exec_lo, exec_lo, s3
	v_add_co_u32 v9, vcc_lo, 0xffffffc1, v56
	s_wait_alu 0xfffd
	v_add_co_ci_u32_e64 v10, null, -1, v57, vcc_lo
	v_mov_b32_e32 v8, v1
	v_dual_mov_b32 v2, v1 :: v_dual_mov_b32 v3, v1
	v_dual_mov_b32 v4, v1 :: v_dual_mov_b32 v5, v1
	;; [unrolled: 1-line block ×3, first 2 shown]
	v_cmp_gt_i64_e32 vcc_lo, s[4:5], v[9:10]
	s_delay_alu instid0(VALU_DEP_3) | instskip(NEXT) | instid1(VALU_DEP_3)
	v_dual_mov_b32 v17, v8 :: v_dual_mov_b32 v14, v5
	v_dual_mov_b32 v15, v6 :: v_dual_mov_b32 v16, v7
	;; [unrolled: 1-line block ×4, first 2 shown]
	v_mov_b32_e32 v9, v8
	v_mov_b32_e32 v8, v7
	;; [unrolled: 1-line block ×8, first 2 shown]
	s_and_b32 s16, s2, vcc_lo
	s_wait_alu 0xfffe
	s_and_saveexec_b32 s3, s16
	s_cbranch_execz .LBB193_10
; %bb.9:                                ;   in Loop: Header=BB193_3 Depth=1
	v_add_co_u32 v2, vcc_lo, v23, v18
	s_wait_alu 0xfffd
	v_add_co_ci_u32_e64 v3, null, v24, v19, vcc_lo
	v_add_co_u32 v4, vcc_lo, v25, v18
	s_wait_alu 0xfffd
	v_add_co_ci_u32_e64 v5, null, v26, v19, vcc_lo
	global_load_u16 v2, v[2:3], off
	global_load_u16 v10, v[4:5], off
	v_dual_mov_b32 v3, v1 :: v_dual_mov_b32 v4, v1
	v_dual_mov_b32 v5, v1 :: v_dual_mov_b32 v6, v1
	;; [unrolled: 1-line block ×6, first 2 shown]
	v_mov_b32_e32 v15, v1
	s_wait_loadcnt 0x1
	v_dual_mov_b32 v17, v1 :: v_dual_lshlrev_b32 v2, 16, v2
	s_wait_loadcnt 0x0
	v_lshlrev_b32_e32 v10, 16, v10
.LBB193_10:                             ;   in Loop: Header=BB193_3 Depth=1
	s_wait_alu 0xfffe
	s_or_b32 exec_lo, exec_lo, s3
	v_add_co_u32 v59, vcc_lo, 0xffffffc2, v56
	s_wait_alu 0xfffd
	v_add_co_ci_u32_e64 v60, null, -1, v57, vcc_lo
	s_delay_alu instid0(VALU_DEP_1)
	v_cmp_gt_i64_e32 vcc_lo, s[4:5], v[59:60]
	s_and_b32 s16, s2, vcc_lo
	s_wait_alu 0xfffe
	s_and_saveexec_b32 s3, s16
	s_cbranch_execz .LBB193_12
; %bb.11:                               ;   in Loop: Header=BB193_3 Depth=1
	v_add_co_u32 v59, vcc_lo, v51, v18
	s_wait_alu 0xfffd
	v_add_co_ci_u32_e64 v60, null, v52, v19, vcc_lo
	v_add_co_u32 v61, vcc_lo, v53, v18
	s_wait_alu 0xfffd
	v_add_co_ci_u32_e64 v62, null, v54, v19, vcc_lo
	global_load_u16 v3, v[59:60], off
	global_load_u16 v11, v[61:62], off
	s_wait_loadcnt 0x1
	v_lshlrev_b32_e32 v3, 16, v3
	s_wait_loadcnt 0x0
	v_lshlrev_b32_e32 v11, 16, v11
.LBB193_12:                             ;   in Loop: Header=BB193_3 Depth=1
	s_wait_alu 0xfffe
	s_or_b32 exec_lo, exec_lo, s3
	v_add_co_u32 v59, vcc_lo, 0xffffffc3, v56
	s_wait_alu 0xfffd
	v_add_co_ci_u32_e64 v60, null, -1, v57, vcc_lo
	s_delay_alu instid0(VALU_DEP_1)
	v_cmp_gt_i64_e32 vcc_lo, s[4:5], v[59:60]
	s_and_b32 s16, s2, vcc_lo
	s_wait_alu 0xfffe
	s_and_saveexec_b32 s3, s16
	s_cbranch_execz .LBB193_14
; %bb.13:                               ;   in Loop: Header=BB193_3 Depth=1
	v_add_co_u32 v59, vcc_lo, v47, v18
	s_wait_alu 0xfffd
	v_add_co_ci_u32_e64 v60, null, v48, v19, vcc_lo
	v_add_co_u32 v61, vcc_lo, v49, v18
	s_wait_alu 0xfffd
	v_add_co_ci_u32_e64 v62, null, v50, v19, vcc_lo
	global_load_u16 v4, v[59:60], off
	global_load_u16 v12, v[61:62], off
	s_wait_loadcnt 0x1
	v_lshlrev_b32_e32 v4, 16, v4
	s_wait_loadcnt 0x0
	v_lshlrev_b32_e32 v12, 16, v12
.LBB193_14:                             ;   in Loop: Header=BB193_3 Depth=1
	;; [unrolled: 25-line block ×7, first 2 shown]
	s_wait_alu 0xfffe
	s_or_b32 exec_lo, exec_lo, s3
	s_wait_loadcnt 0x0
	ds_bpermute_b32 v59, v1, v58
	ds_bpermute_b32 v60, v1, v58 offset:4
	ds_bpermute_b32 v61, v1, v58 offset:8
	v_dual_mul_f32 v2, v10, v2 :: v_dual_mul_f32 v3, v11, v3
	ds_bpermute_b32 v10, v1, v58 offset:12
	ds_bpermute_b32 v11, v1, v58 offset:16
	v_mul_f32_e32 v6, v14, v6
	s_mov_b32 s3, 0
	s_wait_dscnt 0x4
	v_fma_f32 v86, v2, v59, v55
	v_mul_f32_e32 v2, v12, v4
	ds_bpermute_b32 v4, v1, v58 offset:20
	s_wait_dscnt 0x4
	v_dual_fmac_f32 v86, v3, v60 :: v_dual_mul_f32 v3, v13, v5
	ds_bpermute_b32 v5, v1, v58 offset:24
	s_wait_dscnt 0x4
	v_fmac_f32_e32 v86, v2, v61
	ds_bpermute_b32 v2, v1, v58 offset:28
	s_wait_dscnt 0x4
	v_fmac_f32_e32 v86, v3, v10
	v_mul_f32_e32 v3, v15, v7
	s_wait_dscnt 0x3
	s_delay_alu instid0(VALU_DEP_2) | instskip(SKIP_1) | instid1(VALU_DEP_1)
	v_fmac_f32_e32 v86, v6, v11
	s_wait_dscnt 0x2
	v_fmac_f32_e32 v86, v3, v4
	v_mul_f32_e32 v3, v16, v8
	s_wait_dscnt 0x1
	s_delay_alu instid0(VALU_DEP_1)
	v_fmac_f32_e32 v86, v3, v5
.LBB193_25:                             ;   in Loop: Header=BB193_3 Depth=1
	s_wait_alu 0xfffe
	s_and_b32 vcc_lo, exec_lo, s3
	s_wait_alu 0xfffe
	s_cbranch_vccz .LBB193_40
; %bb.26:                               ;   in Loop: Header=BB193_3 Depth=1
	s_load_b32 s3, s[18:19], 0x0
	v_mov_b32_e32 v58, 0
	s_wait_kmcnt 0x0
	s_cmp_lt_u32 ttmp9, s3
	s_cselect_b32 s16, 12, 18
	s_wait_alu 0xfffe
	s_add_nc_u64 s[30:31], s[18:19], s[16:17]
	s_load_u16 s3, s[30:31], 0x0
	s_wait_dscnt 0x0
	s_wait_kmcnt 0x0
	v_mad_u32_u24 v2, v20, s3, v22
	s_mov_b32 s3, exec_lo
	s_delay_alu instid0(VALU_DEP_1) | instskip(NEXT) | instid1(VALU_DEP_1)
	v_and_b32_e32 v2, 31, v2
	v_cmpx_gt_u32_e32 8, v2
	s_cbranch_execz .LBB193_30
; %bb.27:                               ;   in Loop: Header=BB193_3 Depth=1
	v_add_co_u32 v2, vcc_lo, v56, v2
	s_wait_alu 0xfffd
	v_add_co_ci_u32_e64 v3, null, 0, v57, vcc_lo
	v_mov_b32_e32 v58, 0
	s_delay_alu instid0(VALU_DEP_3) | instskip(SKIP_1) | instid1(VALU_DEP_3)
	v_add_co_u32 v2, vcc_lo, 0xffffffc1, v2
	s_wait_alu 0xfffd
	v_add_co_ci_u32_e64 v3, null, -1, v3, vcc_lo
	s_mov_b32 s16, exec_lo
	v_cmpx_gt_i64_e64 s[4:5], v[2:3]
	s_cbranch_execz .LBB193_29
; %bb.28:                               ;   in Loop: Header=BB193_3 Depth=1
	v_lshlrev_b64_e32 v[2:3], 2, v[2:3]
	s_delay_alu instid0(VALU_DEP_1) | instskip(SKIP_1) | instid1(VALU_DEP_2)
	v_add_co_u32 v2, vcc_lo, s12, v2
	s_wait_alu 0xfffd
	v_add_co_ci_u32_e64 v3, null, s13, v3, vcc_lo
	global_load_b32 v58, v[2:3], off
.LBB193_29:                             ;   in Loop: Header=BB193_3 Depth=1
	s_wait_alu 0xfffe
	s_or_b32 exec_lo, exec_lo, s16
.LBB193_30:                             ;   in Loop: Header=BB193_3 Depth=1
	s_wait_alu 0xfffe
	s_or_b32 exec_lo, exec_lo, s3
	v_mov_b32_e32 v8, v1
	v_dual_mov_b32 v2, v1 :: v_dual_mov_b32 v3, v1
	v_dual_mov_b32 v4, v1 :: v_dual_mov_b32 v5, v1
	v_dual_mov_b32 v6, v1 :: v_dual_mov_b32 v7, v1
	s_delay_alu instid0(VALU_DEP_4) | instskip(NEXT) | instid1(VALU_DEP_3)
	v_mov_b32_e32 v17, v8
	v_dual_mov_b32 v13, v4 :: v_dual_mov_b32 v12, v3
	s_delay_alu instid0(VALU_DEP_3) | instskip(NEXT) | instid1(VALU_DEP_4)
	v_dual_mov_b32 v15, v6 :: v_dual_mov_b32 v14, v5
	v_dual_mov_b32 v16, v7 :: v_dual_mov_b32 v11, v2
	;; [unrolled: 1-line block ×3, first 2 shown]
	v_mov_b32_e32 v8, v7
	v_mov_b32_e32 v7, v6
	;; [unrolled: 1-line block ×7, first 2 shown]
	s_and_saveexec_b32 s3, s2
	s_cbranch_execnz .LBB193_42
; %bb.31:                               ;   in Loop: Header=BB193_3 Depth=1
	s_wait_alu 0xfffe
	s_or_b32 exec_lo, exec_lo, s3
	s_and_saveexec_b32 s3, s2
	s_cbranch_execnz .LBB193_43
.LBB193_32:                             ;   in Loop: Header=BB193_3 Depth=1
	s_wait_alu 0xfffe
	s_or_b32 exec_lo, exec_lo, s3
	s_and_saveexec_b32 s3, s2
	s_cbranch_execnz .LBB193_44
.LBB193_33:                             ;   in Loop: Header=BB193_3 Depth=1
	s_wait_alu 0xfffe
	s_or_b32 exec_lo, exec_lo, s3
	s_and_saveexec_b32 s3, s2
	s_cbranch_execnz .LBB193_45
.LBB193_34:                             ;   in Loop: Header=BB193_3 Depth=1
	s_wait_alu 0xfffe
	s_or_b32 exec_lo, exec_lo, s3
	s_and_saveexec_b32 s3, s2
	s_cbranch_execnz .LBB193_46
.LBB193_35:                             ;   in Loop: Header=BB193_3 Depth=1
	s_wait_alu 0xfffe
	s_or_b32 exec_lo, exec_lo, s3
	s_and_saveexec_b32 s3, s2
	s_cbranch_execnz .LBB193_47
.LBB193_36:                             ;   in Loop: Header=BB193_3 Depth=1
	s_wait_alu 0xfffe
	s_or_b32 exec_lo, exec_lo, s3
	s_and_saveexec_b32 s3, s2
	s_cbranch_execnz .LBB193_48
.LBB193_37:                             ;   in Loop: Header=BB193_3 Depth=1
	s_wait_alu 0xfffe
	s_or_b32 exec_lo, exec_lo, s3
	s_and_saveexec_b32 s3, s2
	s_cbranch_execz .LBB193_39
.LBB193_38:                             ;   in Loop: Header=BB193_3 Depth=1
	v_add_co_u32 v56, vcc_lo, v27, v18
	s_wait_alu 0xfffd
	v_add_co_ci_u32_e64 v57, null, v28, v19, vcc_lo
	v_add_co_u32 v59, vcc_lo, v29, v18
	s_wait_alu 0xfffd
	v_add_co_ci_u32_e64 v60, null, v30, v19, vcc_lo
	global_load_u16 v9, v[56:57], off
	global_load_u16 v17, v[59:60], off
	s_wait_loadcnt 0x1
	v_lshlrev_b32_e32 v9, 16, v9
	s_wait_loadcnt 0x0
	v_lshlrev_b32_e32 v17, 16, v17
.LBB193_39:                             ;   in Loop: Header=BB193_3 Depth=1
	s_wait_alu 0xfffe
	s_or_b32 exec_lo, exec_lo, s3
	s_wait_loadcnt 0x0
	ds_bpermute_b32 v56, v1, v58
	ds_bpermute_b32 v57, v1, v58 offset:4
	ds_bpermute_b32 v59, v1, v58 offset:8
	v_dual_mul_f32 v2, v10, v2 :: v_dual_mul_f32 v3, v11, v3
	ds_bpermute_b32 v10, v1, v58 offset:12
	ds_bpermute_b32 v11, v1, v58 offset:16
	s_wait_dscnt 0x4
	v_fmac_f32_e32 v55, v2, v56
	v_mul_f32_e32 v2, v12, v4
	ds_bpermute_b32 v4, v1, v58 offset:20
	s_wait_dscnt 0x4
	v_fmac_f32_e32 v55, v3, v57
	v_mul_f32_e32 v3, v13, v5
	;; [unrolled: 4-line block ×3, first 2 shown]
	s_wait_dscnt 0x3
	s_delay_alu instid0(VALU_DEP_2) | instskip(SKIP_2) | instid1(VALU_DEP_2)
	v_fmac_f32_e32 v55, v3, v10
	v_mul_f32_e32 v3, v15, v7
	s_wait_dscnt 0x2
	v_fmac_f32_e32 v55, v2, v11
	ds_bpermute_b32 v2, v1, v58 offset:28
	s_wait_dscnt 0x2
	v_fmac_f32_e32 v55, v3, v4
	v_mul_f32_e32 v3, v16, v8
	s_wait_dscnt 0x1
	s_delay_alu instid0(VALU_DEP_1) | instskip(NEXT) | instid1(VALU_DEP_1)
	v_fmac_f32_e32 v55, v3, v5
	v_mov_b32_e32 v86, v55
.LBB193_40:                             ;   in Loop: Header=BB193_3 Depth=1
	v_add_co_u32 v23, vcc_lo, v23, s22
	s_wait_alu 0xfffd
	v_add_co_ci_u32_e64 v24, null, s23, v24, vcc_lo
	v_add_co_u32 v25, vcc_lo, v25, s22
	s_wait_alu 0xfffd
	v_add_co_ci_u32_e64 v26, null, s23, v26, vcc_lo
	;; [unrolled: 3-line block ×13, first 2 shown]
	v_add_co_u32 v49, vcc_lo, v49, s22
	v_mul_f32_e32 v3, v9, v17
	s_add_nc_u64 s[26:27], s[26:27], s[20:21]
	s_wait_alu 0xfffd
	v_add_co_ci_u32_e64 v50, null, s23, v50, vcc_lo
	v_add_co_u32 v51, vcc_lo, v51, s22
	s_wait_alu 0xfffe
	v_cmp_lt_i64_e64 s3, s[26:27], s[4:5]
	s_wait_alu 0xfffd
	v_add_co_ci_u32_e64 v52, null, s23, v52, vcc_lo
	v_add_co_u32 v53, vcc_lo, v53, s22
	s_wait_dscnt 0x0
	v_fmac_f32_e32 v86, v3, v2
	s_wait_alu 0xfffd
	v_add_co_ci_u32_e64 v54, null, s23, v54, vcc_lo
	s_and_b32 vcc_lo, exec_lo, s3
	s_add_nc_u64 s[24:25], s[24:25], s[20:21]
	s_wait_alu 0xfffe
	s_cbranch_vccz .LBB193_50
; %bb.41:                               ;   in Loop: Header=BB193_3 Depth=1
	v_mov_b32_e32 v55, v86
	s_branch .LBB193_3
.LBB193_42:                             ;   in Loop: Header=BB193_3 Depth=1
	v_add_co_u32 v2, vcc_lo, v23, v18
	s_wait_alu 0xfffd
	v_add_co_ci_u32_e64 v3, null, v24, v19, vcc_lo
	v_add_co_u32 v4, vcc_lo, v25, v18
	s_wait_alu 0xfffd
	v_add_co_ci_u32_e64 v5, null, v26, v19, vcc_lo
	global_load_u16 v2, v[2:3], off
	global_load_u16 v10, v[4:5], off
	v_dual_mov_b32 v3, v1 :: v_dual_mov_b32 v4, v1
	v_dual_mov_b32 v5, v1 :: v_dual_mov_b32 v6, v1
	;; [unrolled: 1-line block ×6, first 2 shown]
	v_mov_b32_e32 v15, v1
	s_wait_loadcnt 0x1
	v_dual_mov_b32 v17, v1 :: v_dual_lshlrev_b32 v2, 16, v2
	s_wait_loadcnt 0x0
	v_lshlrev_b32_e32 v10, 16, v10
	s_wait_alu 0xfffe
	s_or_b32 exec_lo, exec_lo, s3
	s_and_saveexec_b32 s3, s2
	s_cbranch_execz .LBB193_32
.LBB193_43:                             ;   in Loop: Header=BB193_3 Depth=1
	v_add_co_u32 v56, vcc_lo, v51, v18
	s_wait_alu 0xfffd
	v_add_co_ci_u32_e64 v57, null, v52, v19, vcc_lo
	v_add_co_u32 v59, vcc_lo, v53, v18
	s_wait_alu 0xfffd
	v_add_co_ci_u32_e64 v60, null, v54, v19, vcc_lo
	global_load_u16 v3, v[56:57], off
	global_load_u16 v11, v[59:60], off
	s_wait_loadcnt 0x1
	v_lshlrev_b32_e32 v3, 16, v3
	s_wait_loadcnt 0x0
	v_lshlrev_b32_e32 v11, 16, v11
	s_wait_alu 0xfffe
	s_or_b32 exec_lo, exec_lo, s3
	s_and_saveexec_b32 s3, s2
	s_cbranch_execz .LBB193_33
.LBB193_44:                             ;   in Loop: Header=BB193_3 Depth=1
	v_add_co_u32 v56, vcc_lo, v47, v18
	s_wait_alu 0xfffd
	v_add_co_ci_u32_e64 v57, null, v48, v19, vcc_lo
	v_add_co_u32 v59, vcc_lo, v49, v18
	s_wait_alu 0xfffd
	v_add_co_ci_u32_e64 v60, null, v50, v19, vcc_lo
	global_load_u16 v4, v[56:57], off
	global_load_u16 v12, v[59:60], off
	s_wait_loadcnt 0x1
	v_lshlrev_b32_e32 v4, 16, v4
	s_wait_loadcnt 0x0
	v_lshlrev_b32_e32 v12, 16, v12
	s_wait_alu 0xfffe
	s_or_b32 exec_lo, exec_lo, s3
	s_and_saveexec_b32 s3, s2
	s_cbranch_execz .LBB193_34
.LBB193_45:                             ;   in Loop: Header=BB193_3 Depth=1
	v_add_co_u32 v56, vcc_lo, v43, v18
	s_wait_alu 0xfffd
	v_add_co_ci_u32_e64 v57, null, v44, v19, vcc_lo
	v_add_co_u32 v59, vcc_lo, v45, v18
	s_wait_alu 0xfffd
	v_add_co_ci_u32_e64 v60, null, v46, v19, vcc_lo
	global_load_u16 v5, v[56:57], off
	global_load_u16 v13, v[59:60], off
	s_wait_loadcnt 0x1
	v_lshlrev_b32_e32 v5, 16, v5
	s_wait_loadcnt 0x0
	v_lshlrev_b32_e32 v13, 16, v13
	s_wait_alu 0xfffe
	s_or_b32 exec_lo, exec_lo, s3
	s_and_saveexec_b32 s3, s2
	s_cbranch_execz .LBB193_35
.LBB193_46:                             ;   in Loop: Header=BB193_3 Depth=1
	v_add_co_u32 v56, vcc_lo, v39, v18
	s_wait_alu 0xfffd
	v_add_co_ci_u32_e64 v57, null, v40, v19, vcc_lo
	v_add_co_u32 v59, vcc_lo, v41, v18
	s_wait_alu 0xfffd
	v_add_co_ci_u32_e64 v60, null, v42, v19, vcc_lo
	global_load_u16 v6, v[56:57], off
	global_load_u16 v14, v[59:60], off
	s_wait_loadcnt 0x1
	v_lshlrev_b32_e32 v6, 16, v6
	s_wait_loadcnt 0x0
	v_lshlrev_b32_e32 v14, 16, v14
	s_wait_alu 0xfffe
	s_or_b32 exec_lo, exec_lo, s3
	s_and_saveexec_b32 s3, s2
	s_cbranch_execz .LBB193_36
.LBB193_47:                             ;   in Loop: Header=BB193_3 Depth=1
	v_add_co_u32 v56, vcc_lo, v35, v18
	s_wait_alu 0xfffd
	v_add_co_ci_u32_e64 v57, null, v36, v19, vcc_lo
	v_add_co_u32 v59, vcc_lo, v37, v18
	s_wait_alu 0xfffd
	v_add_co_ci_u32_e64 v60, null, v38, v19, vcc_lo
	global_load_u16 v7, v[56:57], off
	global_load_u16 v15, v[59:60], off
	s_wait_loadcnt 0x1
	v_lshlrev_b32_e32 v7, 16, v7
	s_wait_loadcnt 0x0
	v_lshlrev_b32_e32 v15, 16, v15
	s_wait_alu 0xfffe
	s_or_b32 exec_lo, exec_lo, s3
	s_and_saveexec_b32 s3, s2
	s_cbranch_execz .LBB193_37
.LBB193_48:                             ;   in Loop: Header=BB193_3 Depth=1
	v_add_co_u32 v56, vcc_lo, v31, v18
	s_wait_alu 0xfffd
	v_add_co_ci_u32_e64 v57, null, v32, v19, vcc_lo
	v_add_co_u32 v59, vcc_lo, v33, v18
	s_wait_alu 0xfffd
	v_add_co_ci_u32_e64 v60, null, v34, v19, vcc_lo
	global_load_u16 v8, v[56:57], off
	global_load_u16 v16, v[59:60], off
	s_wait_loadcnt 0x1
	v_lshlrev_b32_e32 v8, 16, v8
	s_wait_loadcnt 0x0
	v_lshlrev_b32_e32 v16, 16, v16
	s_wait_alu 0xfffe
	s_or_b32 exec_lo, exec_lo, s3
	s_and_saveexec_b32 s3, s2
	s_cbranch_execnz .LBB193_38
	s_branch .LBB193_39
.LBB193_49:
                                        ; implicit-def: $vgpr86
	s_branch .LBB193_51
.LBB193_50:
	s_cbranch_execnz .LBB193_83
.LBB193_51:
	v_mov_b32_e32 v86, 0
	s_and_not1_b32 vcc_lo, exec_lo, s29
	s_wait_alu 0xfffe
	s_cbranch_vccnz .LBB193_83
; %bb.52:
	v_bfe_u32 v48, v0, 10, 10
	v_dual_mov_b32 v1, 0 :: v_dual_and_b32 v50, 0x3ff, v0
	s_lshl_b64 s[18:19], s[14:15], 1
	s_mov_b32 s3, 0
	s_delay_alu instid0(VALU_DEP_2) | instskip(SKIP_2) | instid1(VALU_DEP_3)
	v_lshlrev_b32_e32 v49, 3, v48
	v_dual_mov_b32 v83, 0 :: v_dual_lshlrev_b32 v8, 4, v48
	v_dual_mov_b32 v5, v1 :: v_dual_add_nc_u32 v4, s28, v50
	v_add_co_u32 v10, s2, v49, s14
	s_wait_alu 0xf1ff
	v_add_co_ci_u32_e64 v11, null, 0, 0, s2
	s_delay_alu instid0(VALU_DEP_3) | instskip(NEXT) | instid1(VALU_DEP_3)
	v_lshlrev_b64_e32 v[18:19], 1, v[4:5]
	v_mul_lo_u32 v6, s7, v10
	v_mad_co_u64_u32 v[2:3], null, s6, v10, 0
	s_delay_alu instid0(VALU_DEP_4) | instskip(SKIP_2) | instid1(VALU_DEP_1)
	v_mul_lo_u32 v7, s6, v11
	s_load_b32 s2, s[0:1], 0x44
	s_mov_b32 s17, s3
	v_add3_u32 v3, v3, v7, v6
	v_add_co_u32 v6, s16, v8, s18
	s_wait_alu 0xf1ff
	v_add_co_ci_u32_e64 v7, null, 0, s19, s16
	s_delay_alu instid0(VALU_DEP_3) | instskip(NEXT) | instid1(VALU_DEP_3)
	v_lshlrev_b64_e32 v[4:5], 1, v[2:3]
	v_add_co_u32 v8, vcc_lo, v6, 2
	s_wait_alu 0xfffd
	s_delay_alu instid0(VALU_DEP_3) | instskip(NEXT) | instid1(VALU_DEP_3)
	v_add_co_ci_u32_e64 v9, null, 0, v7, vcc_lo
	v_add_co_u32 v51, vcc_lo, s8, v4
	s_wait_alu 0xfffd
	v_add_co_ci_u32_e64 v52, null, s9, v5, vcc_lo
	v_add_co_u32 v53, vcc_lo, s10, v4
	s_wait_alu 0xfffd
	;; [unrolled: 3-line block ×5, first 2 shown]
	v_add_co_ci_u32_e64 v28, null, 0, v7, vcc_lo
	v_add_co_u32 v42, vcc_lo, v6, 10
	v_mad_co_u64_u32 v[22:23], null, s6, v4, s[8:9]
	v_mul_lo_u32 v5, s6, v5
	v_mul_lo_u32 v15, s7, v4
	v_mad_co_u64_u32 v[36:37], null, s6, v4, s[10:11]
	s_wait_alu 0xfffd
	v_add_co_ci_u32_e64 v30, null, 0, v7, vcc_lo
	v_add_co_u32 v44, vcc_lo, v6, 12
	s_wait_alu 0xfffd
	v_add_co_ci_u32_e64 v32, null, 0, v7, vcc_lo
	v_add_co_u32 v6, vcc_lo, v6, 14
	v_mad_co_u64_u32 v[20:21], null, s6, v8, s[8:9]
	v_mul_lo_u32 v9, s6, v9
	v_mul_lo_u32 v12, s7, v8
	v_mad_co_u64_u32 v[34:35], null, s6, v8, s[10:11]
	s_wait_alu 0xfffd
	v_add_co_ci_u32_e64 v7, null, 0, v7, vcc_lo
	v_add_co_u32 v4, vcc_lo, v10, 7
	v_add3_u32 v23, v15, v23, v5
	v_add3_u32 v37, v15, v37, v5
	s_wait_alu 0xfffd
	v_add_co_ci_u32_e64 v5, null, 0, v11, vcc_lo
	v_mul_lo_u32 v61, s6, v7
	v_add_co_u32 v7, vcc_lo, v10, 6
	v_add3_u32 v21, v12, v21, v9
	v_add3_u32 v35, v12, v35, v9
	s_wait_alu 0xfffd
	v_add_co_ci_u32_e64 v12, null, 0, v11, vcc_lo
	v_mul_lo_u32 v8, s7, v4
	v_mul_lo_u32 v9, s6, v5
	v_mad_co_u64_u32 v[4:5], null, s6, v4, 0
	v_mad_co_u64_u32 v[24:25], null, s6, v13, s[8:9]
	v_mul_lo_u32 v17, s7, v13
	v_mul_lo_u32 v59, s6, v32
	v_mad_co_u64_u32 v[32:33], null, s6, v6, s[8:9]
	v_mul_lo_u32 v62, s7, v6
	v_mad_co_u64_u32 v[38:39], null, s6, v13, s[10:11]
	v_mad_co_u64_u32 v[46:47], null, s6, v6, s[10:11]
	v_mul_lo_u32 v13, s7, v7
	v_mul_lo_u32 v12, s6, v12
	v_mad_co_u64_u32 v[6:7], null, s6, v7, 0
	v_add3_u32 v5, v5, v9, v8
	v_add_co_u32 v8, vcc_lo, v10, 5
	v_mad_co_u64_u32 v[26:27], null, s6, v16, s[8:9]
	v_mul_lo_u32 v55, s6, v28
	v_mul_lo_u32 v56, s7, v16
	v_mad_co_u64_u32 v[40:41], null, s6, v16, s[10:11]
	s_wait_alu 0xfffd
	v_add_co_ci_u32_e64 v9, null, 0, v11, vcc_lo
	v_add3_u32 v7, v7, v12, v13
	v_mad_co_u64_u32 v[28:29], null, s6, v42, s[8:9]
	v_mul_lo_u32 v57, s6, v30
	v_mul_lo_u32 v58, s7, v42
	v_mad_co_u64_u32 v[42:43], null, s6, v42, s[10:11]
	v_lshlrev_b64_e32 v[4:5], 1, v[4:5]
	v_mad_co_u64_u32 v[30:31], null, s6, v44, s[8:9]
	v_mul_lo_u32 v60, s7, v44
	v_mad_co_u64_u32 v[44:45], null, s6, v44, s[10:11]
	v_mul_lo_u32 v12, s7, v8
	v_mul_lo_u32 v13, s6, v9
	v_mad_co_u64_u32 v[8:9], null, s6, v8, 0
	v_lshlrev_b64_e32 v[6:7], 1, v[6:7]
	v_add3_u32 v27, v56, v27, v55
	v_add3_u32 v41, v56, v41, v55
	v_add_co_u32 v55, vcc_lo, s8, v4
	v_add3_u32 v29, v58, v29, v57
	v_add3_u32 v43, v58, v43, v57
	s_wait_alu 0xfffd
	v_add_co_ci_u32_e64 v56, null, s9, v5, vcc_lo
	v_add_co_u32 v57, vcc_lo, s10, v4
	v_add3_u32 v31, v60, v31, v59
	v_add3_u32 v45, v60, v45, v59
	s_wait_alu 0xfffd
	v_add_co_ci_u32_e64 v58, null, s11, v5, vcc_lo
	v_add_co_u32 v59, vcc_lo, s8, v6
	v_mul_lo_u32 v14, s6, v14
	v_add3_u32 v9, v9, v13, v12
	s_wait_alu 0xfffd
	v_add_co_ci_u32_e64 v60, null, s9, v7, vcc_lo
	v_add_co_u32 v12, vcc_lo, v10, 4
	s_wait_kmcnt 0x0
	s_lshl_b32 s16, s2, 6
	v_add3_u32 v33, v62, v33, v61
	v_add3_u32 v47, v62, v47, v61
	v_add_co_u32 v61, s2, s10, v6
	s_wait_alu 0xfffd
	v_add_co_ci_u32_e64 v6, null, 0, v11, vcc_lo
	v_lshlrev_b64_e32 v[4:5], 1, v[8:9]
	v_add_co_u32 v8, vcc_lo, v10, 3
	s_wait_alu 0xfffd
	v_add_co_ci_u32_e64 v9, null, 0, v11, vcc_lo
	v_add3_u32 v25, v17, v25, v14
	v_add3_u32 v39, v17, v39, v14
	s_wait_alu 0xf1ff
	v_add_co_ci_u32_e64 v62, null, s11, v7, s2
	v_mul_lo_u32 v13, s7, v12
	v_mul_lo_u32 v14, s6, v6
	v_mad_co_u64_u32 v[6:7], null, s6, v12, 0
	v_mul_lo_u32 v12, s7, v8
	v_mul_lo_u32 v15, s6, v9
	v_mad_co_u64_u32 v[8:9], null, s6, v8, 0
	v_add_co_u32 v63, vcc_lo, s8, v4
	s_wait_alu 0xfffd
	v_add_co_ci_u32_e64 v64, null, s9, v5, vcc_lo
	v_add3_u32 v7, v7, v14, v13
	v_add_co_u32 v65, vcc_lo, s10, v4
	s_wait_alu 0xfffd
	v_add_co_ci_u32_e64 v66, null, s11, v5, vcc_lo
	v_add_co_u32 v10, vcc_lo, v10, 2
	v_add3_u32 v9, v9, v15, v12
	s_wait_alu 0xfffd
	v_add_co_ci_u32_e64 v11, null, 0, v11, vcc_lo
	v_lshlrev_b64_e32 v[4:5], 1, v[6:7]
	v_mul_lo_u32 v12, s7, v10
	v_lshlrev_b64_e32 v[6:7], 1, v[8:9]
	s_delay_alu instid0(VALU_DEP_4)
	v_mul_lo_u32 v11, s6, v11
	v_mad_co_u64_u32 v[8:9], null, s6, v10, 0
	v_add_co_u32 v67, vcc_lo, s8, v4
	s_wait_alu 0xfffd
	v_add_co_ci_u32_e64 v68, null, s9, v5, vcc_lo
	v_add_co_u32 v69, vcc_lo, s10, v4
	s_wait_alu 0xfffd
	v_add_co_ci_u32_e64 v70, null, s11, v5, vcc_lo
	;; [unrolled: 3-line block ×3, first 2 shown]
	v_add3_u32 v9, v9, v11, v12
	v_add_co_u32 v73, vcc_lo, s10, v6
	s_wait_alu 0xfffd
	v_add_co_ci_u32_e64 v74, null, s11, v7, vcc_lo
	v_add_co_u32 v2, vcc_lo, v2, s6
	s_wait_alu 0xfffd
	v_add_co_ci_u32_e64 v3, null, s7, v3, vcc_lo
	v_lshlrev_b64_e32 v[4:5], 1, v[8:9]
	s_wait_alu 0xfffe
	s_mul_u64 s[18:19], s[6:7], s[16:17]
	s_delay_alu instid0(VALU_DEP_2) | instskip(NEXT) | instid1(VALU_DEP_2)
	v_lshlrev_b64_e32 v[2:3], 1, v[2:3]
	v_add_co_u32 v75, vcc_lo, s8, v4
	s_wait_alu 0xfffd
	v_add_co_ci_u32_e64 v76, null, s9, v5, vcc_lo
	v_add_co_u32 v77, vcc_lo, s10, v4
	s_wait_alu 0xfffd
	v_add_co_ci_u32_e64 v78, null, s11, v5, vcc_lo
	;; [unrolled: 3-line block ×4, first 2 shown]
	s_add_nc_u64 s[8:9], s[0:1], 64
	s_wait_alu 0xfffe
	s_lshl_b64 s[10:11], s[18:19], 1
	s_add_nc_u64 s[18:19], s[14:15], 63
.LBB193_53:                             ; =>This Inner Loop Header: Depth=1
	s_wait_alu 0xfffe
	v_cmp_ge_i64_e64 s2, s[18:19], s[4:5]
	v_add_co_u32 v84, s20, v49, s18
	s_wait_alu 0xf1ff
	v_add_co_ci_u32_e64 v85, null, 0, s19, s20
                                        ; implicit-def: $vgpr86
	s_and_b32 vcc_lo, exec_lo, s2
	s_mov_b32 s2, -1
	s_wait_alu 0xfffe
	s_cbranch_vccz .LBB193_75
; %bb.54:                               ;   in Loop: Header=BB193_53 Depth=1
	s_load_b32 s2, s[8:9], 0xc
	v_mov_b32_e32 v87, 0
	s_wait_kmcnt 0x0
	s_and_b32 s2, s2, 0xffff
	s_wait_alu 0xfffe
	v_mad_u32_u24 v2, v48, s2, v50
	s_mov_b32 s2, exec_lo
	s_delay_alu instid0(VALU_DEP_1) | instskip(NEXT) | instid1(VALU_DEP_1)
	v_and_b32_e32 v2, 31, v2
	v_cmpx_gt_u32_e32 8, v2
	s_cbranch_execz .LBB193_58
; %bb.55:                               ;   in Loop: Header=BB193_53 Depth=1
	v_add_co_u32 v2, vcc_lo, v84, v2
	s_wait_alu 0xfffd
	v_add_co_ci_u32_e64 v3, null, 0, v85, vcc_lo
	v_mov_b32_e32 v87, 0
	s_delay_alu instid0(VALU_DEP_3) | instskip(SKIP_1) | instid1(VALU_DEP_3)
	v_add_co_u32 v2, vcc_lo, 0xffffffc1, v2
	s_wait_alu 0xfffd
	v_add_co_ci_u32_e64 v3, null, -1, v3, vcc_lo
	s_mov_b32 s20, exec_lo
	v_cmpx_gt_i64_e64 s[4:5], v[2:3]
	s_cbranch_execz .LBB193_57
; %bb.56:                               ;   in Loop: Header=BB193_53 Depth=1
	v_lshlrev_b64_e32 v[2:3], 2, v[2:3]
	s_delay_alu instid0(VALU_DEP_1) | instskip(SKIP_1) | instid1(VALU_DEP_2)
	v_add_co_u32 v2, vcc_lo, s12, v2
	s_wait_alu 0xfffd
	v_add_co_ci_u32_e64 v3, null, s13, v3, vcc_lo
	global_load_b32 v87, v[2:3], off
.LBB193_57:                             ;   in Loop: Header=BB193_53 Depth=1
	s_wait_alu 0xfffe
	s_or_b32 exec_lo, exec_lo, s20
.LBB193_58:                             ;   in Loop: Header=BB193_53 Depth=1
	s_wait_alu 0xfffe
	s_or_b32 exec_lo, exec_lo, s2
	v_add_co_u32 v9, vcc_lo, 0xffffffc1, v84
	s_wait_alu 0xfffd
	v_add_co_ci_u32_e64 v10, null, -1, v85, vcc_lo
	v_mov_b32_e32 v8, v1
	v_dual_mov_b32 v2, v1 :: v_dual_mov_b32 v3, v1
	v_dual_mov_b32 v4, v1 :: v_dual_mov_b32 v5, v1
	;; [unrolled: 1-line block ×3, first 2 shown]
	v_cmp_gt_i64_e32 vcc_lo, s[4:5], v[9:10]
	s_delay_alu instid0(VALU_DEP_3) | instskip(NEXT) | instid1(VALU_DEP_3)
	v_dual_mov_b32 v17, v8 :: v_dual_mov_b32 v14, v5
	v_dual_mov_b32 v15, v6 :: v_dual_mov_b32 v16, v7
	;; [unrolled: 1-line block ×4, first 2 shown]
	v_mov_b32_e32 v9, v8
	v_mov_b32_e32 v8, v7
	;; [unrolled: 1-line block ×8, first 2 shown]
	s_and_saveexec_b32 s2, vcc_lo
	s_cbranch_execz .LBB193_60
; %bb.59:                               ;   in Loop: Header=BB193_53 Depth=1
	v_add_co_u32 v2, vcc_lo, v51, v18
	s_wait_alu 0xfffd
	v_add_co_ci_u32_e64 v3, null, v52, v19, vcc_lo
	v_add_co_u32 v4, vcc_lo, v53, v18
	s_wait_alu 0xfffd
	v_add_co_ci_u32_e64 v5, null, v54, v19, vcc_lo
	global_load_u16 v2, v[2:3], off
	global_load_u16 v10, v[4:5], off
	v_dual_mov_b32 v3, v1 :: v_dual_mov_b32 v4, v1
	v_dual_mov_b32 v5, v1 :: v_dual_mov_b32 v6, v1
	;; [unrolled: 1-line block ×6, first 2 shown]
	v_mov_b32_e32 v15, v1
	s_wait_loadcnt 0x1
	v_dual_mov_b32 v17, v1 :: v_dual_lshlrev_b32 v2, 16, v2
	s_wait_loadcnt 0x0
	v_lshlrev_b32_e32 v10, 16, v10
.LBB193_60:                             ;   in Loop: Header=BB193_53 Depth=1
	s_wait_alu 0xfffe
	s_or_b32 exec_lo, exec_lo, s2
	v_add_co_u32 v88, vcc_lo, 0xffffffc2, v84
	s_wait_alu 0xfffd
	v_add_co_ci_u32_e64 v89, null, -1, v85, vcc_lo
	s_mov_b32 s2, exec_lo
	v_cmpx_gt_i64_e64 s[4:5], v[88:89]
	s_cbranch_execz .LBB193_62
; %bb.61:                               ;   in Loop: Header=BB193_53 Depth=1
	v_add_co_u32 v88, vcc_lo, v79, v18
	s_wait_alu 0xfffd
	v_add_co_ci_u32_e64 v89, null, v80, v19, vcc_lo
	v_add_co_u32 v90, vcc_lo, v81, v18
	s_wait_alu 0xfffd
	v_add_co_ci_u32_e64 v91, null, v82, v19, vcc_lo
	global_load_u16 v3, v[88:89], off
	global_load_u16 v11, v[90:91], off
	s_wait_loadcnt 0x1
	v_lshlrev_b32_e32 v3, 16, v3
	s_wait_loadcnt 0x0
	v_lshlrev_b32_e32 v11, 16, v11
.LBB193_62:                             ;   in Loop: Header=BB193_53 Depth=1
	s_wait_alu 0xfffe
	s_or_b32 exec_lo, exec_lo, s2
	v_add_co_u32 v88, vcc_lo, 0xffffffc3, v84
	s_wait_alu 0xfffd
	v_add_co_ci_u32_e64 v89, null, -1, v85, vcc_lo
	s_mov_b32 s2, exec_lo
	v_cmpx_gt_i64_e64 s[4:5], v[88:89]
	s_cbranch_execz .LBB193_64
; %bb.63:                               ;   in Loop: Header=BB193_53 Depth=1
	v_add_co_u32 v88, vcc_lo, v75, v18
	s_wait_alu 0xfffd
	v_add_co_ci_u32_e64 v89, null, v76, v19, vcc_lo
	v_add_co_u32 v90, vcc_lo, v77, v18
	s_wait_alu 0xfffd
	v_add_co_ci_u32_e64 v91, null, v78, v19, vcc_lo
	global_load_u16 v4, v[88:89], off
	global_load_u16 v12, v[90:91], off
	s_wait_loadcnt 0x1
	v_lshlrev_b32_e32 v4, 16, v4
	s_wait_loadcnt 0x0
	v_lshlrev_b32_e32 v12, 16, v12
.LBB193_64:                             ;   in Loop: Header=BB193_53 Depth=1
	;; [unrolled: 22-line block ×7, first 2 shown]
	s_wait_alu 0xfffe
	s_or_b32 exec_lo, exec_lo, s2
	s_wait_loadcnt 0x0
	ds_bpermute_b32 v86, v1, v87
	ds_bpermute_b32 v88, v1, v87 offset:4
	ds_bpermute_b32 v89, v1, v87 offset:8
	v_dual_mul_f32 v2, v10, v2 :: v_dual_mul_f32 v3, v11, v3
	ds_bpermute_b32 v10, v1, v87 offset:12
	ds_bpermute_b32 v11, v1, v87 offset:16
	s_mov_b32 s2, 0
	s_wait_dscnt 0x4
	v_fma_f32 v86, v2, v86, v83
	v_mul_f32_e32 v2, v12, v4
	ds_bpermute_b32 v4, v1, v87 offset:20
	s_wait_dscnt 0x4
	v_dual_fmac_f32 v86, v3, v88 :: v_dual_mul_f32 v3, v13, v5
	ds_bpermute_b32 v5, v1, v87 offset:24
	s_wait_dscnt 0x4
	v_fmac_f32_e32 v86, v2, v89
	v_mul_f32_e32 v2, v14, v6
	v_mul_f32_e32 v6, v15, v7
	s_wait_dscnt 0x3
	s_delay_alu instid0(VALU_DEP_3)
	v_fmac_f32_e32 v86, v3, v10
	ds_bpermute_b32 v3, v1, v87 offset:28
	s_wait_dscnt 0x3
	v_fmac_f32_e32 v86, v2, v11
	v_mul_f32_e32 v2, v16, v8
	s_wait_dscnt 0x2
	s_delay_alu instid0(VALU_DEP_2) | instskip(SKIP_1) | instid1(VALU_DEP_1)
	v_fmac_f32_e32 v86, v6, v4
	s_wait_dscnt 0x1
	v_fmac_f32_e32 v86, v2, v5
	v_mul_f32_e32 v2, v17, v9
	s_wait_dscnt 0x0
	s_delay_alu instid0(VALU_DEP_1)
	v_fmac_f32_e32 v86, v2, v3
.LBB193_75:                             ;   in Loop: Header=BB193_53 Depth=1
	s_wait_alu 0xfffe
	s_and_b32 vcc_lo, exec_lo, s2
	s_wait_alu 0xfffe
	s_cbranch_vccz .LBB193_81
; %bb.76:                               ;   in Loop: Header=BB193_53 Depth=1
	s_load_b32 s2, s[8:9], 0x0
	v_mov_b32_e32 v4, 0
	s_wait_kmcnt 0x0
	s_cmp_lt_u32 ttmp9, s2
	s_cselect_b32 s2, 12, 18
	s_wait_alu 0xfffe
	s_add_nc_u64 s[20:21], s[8:9], s[2:3]
	s_load_u16 s2, s[20:21], 0x0
	s_wait_kmcnt 0x0
	v_mad_u32_u24 v2, v48, s2, v50
	s_mov_b32 s2, exec_lo
	s_delay_alu instid0(VALU_DEP_1) | instskip(NEXT) | instid1(VALU_DEP_1)
	v_and_b32_e32 v2, 31, v2
	v_cmpx_gt_u32_e32 8, v2
	s_cbranch_execz .LBB193_80
; %bb.77:                               ;   in Loop: Header=BB193_53 Depth=1
	v_add_co_u32 v2, vcc_lo, v84, v2
	s_wait_alu 0xfffd
	v_add_co_ci_u32_e64 v3, null, 0, v85, vcc_lo
	v_mov_b32_e32 v4, 0
	s_delay_alu instid0(VALU_DEP_3) | instskip(SKIP_1) | instid1(VALU_DEP_3)
	v_add_co_u32 v2, vcc_lo, 0xffffffc1, v2
	s_wait_alu 0xfffd
	v_add_co_ci_u32_e64 v3, null, -1, v3, vcc_lo
	s_mov_b32 s20, exec_lo
	v_cmpx_gt_i64_e64 s[4:5], v[2:3]
	s_cbranch_execz .LBB193_79
; %bb.78:                               ;   in Loop: Header=BB193_53 Depth=1
	v_lshlrev_b64_e32 v[2:3], 2, v[2:3]
	s_delay_alu instid0(VALU_DEP_1) | instskip(SKIP_1) | instid1(VALU_DEP_2)
	v_add_co_u32 v2, vcc_lo, s12, v2
	s_wait_alu 0xfffd
	v_add_co_ci_u32_e64 v3, null, s13, v3, vcc_lo
	global_load_b32 v4, v[2:3], off
.LBB193_79:                             ;   in Loop: Header=BB193_53 Depth=1
	s_wait_alu 0xfffe
	s_or_b32 exec_lo, exec_lo, s20
.LBB193_80:                             ;   in Loop: Header=BB193_53 Depth=1
	s_wait_alu 0xfffe
	s_or_b32 exec_lo, exec_lo, s2
	v_add_co_u32 v2, vcc_lo, v51, v18
	s_wait_alu 0xfffd
	v_add_co_ci_u32_e64 v3, null, v52, v19, vcc_lo
	v_add_co_u32 v5, vcc_lo, v53, v18
	s_wait_alu 0xfffd
	v_add_co_ci_u32_e64 v6, null, v54, v19, vcc_lo
	v_add_co_u32 v7, vcc_lo, v20, v18
	s_wait_alu 0xfffd
	v_add_co_ci_u32_e64 v8, null, v21, v19, vcc_lo
	v_add_co_u32 v9, vcc_lo, v34, v18
	s_wait_alu 0xfffd
	v_add_co_ci_u32_e64 v10, null, v35, v19, vcc_lo
	global_load_u16 v13, v[2:3], off
	global_load_u16 v14, v[5:6], off
	;; [unrolled: 1-line block ×4, first 2 shown]
	v_add_co_u32 v2, vcc_lo, v22, v18
	s_wait_alu 0xfffd
	v_add_co_ci_u32_e64 v3, null, v23, v19, vcc_lo
	v_add_co_u32 v5, vcc_lo, v36, v18
	s_wait_alu 0xfffd
	v_add_co_ci_u32_e64 v6, null, v37, v19, vcc_lo
	global_load_u16 v17, v[2:3], off
	v_add_co_u32 v2, vcc_lo, v24, v18
	s_wait_alu 0xfffd
	v_add_co_ci_u32_e64 v3, null, v25, v19, vcc_lo
	v_add_co_u32 v7, vcc_lo, v38, v18
	s_wait_alu 0xfffd
	v_add_co_ci_u32_e64 v8, null, v39, v19, vcc_lo
	;; [unrolled: 3-line block ×4, first 2 shown]
	global_load_u16 v84, v[5:6], off
	global_load_u16 v85, v[2:3], off
	global_load_u16 v86, v[7:8], off
	global_load_u16 v87, v[9:10], off
	global_load_u16 v11, v[11:12], off
	v_add_co_u32 v2, vcc_lo, v28, v18
	s_wait_alu 0xfffd
	v_add_co_ci_u32_e64 v3, null, v29, v19, vcc_lo
	v_add_co_u32 v5, vcc_lo, v42, v18
	s_wait_alu 0xfffd
	v_add_co_ci_u32_e64 v6, null, v43, v19, vcc_lo
	;; [unrolled: 3-line block ×4, first 2 shown]
	global_load_u16 v12, v[2:3], off
	global_load_u16 v88, v[5:6], off
	;; [unrolled: 1-line block ×4, first 2 shown]
	v_add_co_u32 v2, vcc_lo, v46, v18
	s_wait_alu 0xfffd
	v_add_co_ci_u32_e64 v3, null, v47, v19, vcc_lo
	v_add_co_u32 v5, vcc_lo, v32, v18
	s_wait_alu 0xfffd
	v_add_co_ci_u32_e64 v6, null, v33, v19, vcc_lo
	global_load_u16 v2, v[2:3], off
	global_load_u16 v3, v[5:6], off
	s_wait_loadcnt 0x10
	ds_bpermute_b32 v5, v1, v4
	ds_bpermute_b32 v6, v1, v4 offset:4
	ds_bpermute_b32 v9, v1, v4 offset:8
	s_wait_loadcnt 0xd
	v_lshlrev_b32_e32 v15, 16, v15
	s_wait_loadcnt 0xc
	v_lshlrev_b32_e32 v16, 16, v16
	v_lshlrev_b32_e32 v10, 16, v14
	ds_bpermute_b32 v14, v1, v4 offset:12
	v_mul_f32_e32 v15, v15, v16
	s_wait_loadcnt 0x6
	v_lshlrev_b32_e32 v11, 16, v11
	v_lshlrev_b32_e32 v16, 16, v85
	;; [unrolled: 1-line block ×3, first 2 shown]
	s_delay_alu instid0(VALU_DEP_1)
	v_mul_f32_e32 v10, v13, v10
	ds_bpermute_b32 v13, v1, v4 offset:16
	s_wait_dscnt 0x4
	v_dual_fmac_f32 v83, v10, v5 :: v_dual_lshlrev_b32 v84, 16, v84
	ds_bpermute_b32 v5, v1, v4 offset:20
	s_wait_loadcnt 0x5
	v_lshlrev_b32_e32 v12, 16, v12
	s_wait_loadcnt 0x3
	v_lshlrev_b32_e32 v7, 16, v7
	s_wait_dscnt 0x4
	v_fmac_f32_e32 v83, v15, v6
	v_lshlrev_b32_e32 v15, 16, v87
	ds_bpermute_b32 v6, v1, v4 offset:24
	ds_bpermute_b32 v4, v1, v4 offset:28
	s_wait_loadcnt 0x2
	v_dual_mul_f32 v11, v15, v11 :: v_dual_lshlrev_b32 v8, 16, v8
	s_wait_loadcnt 0x1
	s_delay_alu instid0(VALU_DEP_1) | instskip(SKIP_2) | instid1(VALU_DEP_1)
	v_dual_mul_f32 v7, v7, v8 :: v_dual_lshlrev_b32 v2, 16, v2
	s_wait_loadcnt 0x0
	v_lshlrev_b32_e32 v3, 16, v3
	v_dual_mul_f32 v2, v3, v2 :: v_dual_lshlrev_b32 v17, 16, v17
	s_delay_alu instid0(VALU_DEP_1) | instskip(SKIP_1) | instid1(VALU_DEP_1)
	v_dual_mul_f32 v17, v17, v84 :: v_dual_lshlrev_b32 v10, 16, v86
	s_wait_dscnt 0x5
	v_dual_mul_f32 v10, v16, v10 :: v_dual_fmac_f32 v83, v17, v9
	v_lshlrev_b32_e32 v9, 16, v88
	s_wait_dscnt 0x4
	s_delay_alu instid0(VALU_DEP_2) | instskip(NEXT) | instid1(VALU_DEP_2)
	v_fmac_f32_e32 v83, v10, v14
	v_mul_f32_e32 v9, v12, v9
	s_wait_dscnt 0x3
	s_delay_alu instid0(VALU_DEP_2) | instskip(SKIP_1) | instid1(VALU_DEP_1)
	v_fmac_f32_e32 v83, v11, v13
	s_wait_dscnt 0x2
	v_fmac_f32_e32 v83, v9, v5
	s_wait_dscnt 0x1
	s_delay_alu instid0(VALU_DEP_1) | instskip(SKIP_1) | instid1(VALU_DEP_1)
	v_fmac_f32_e32 v83, v7, v6
	s_wait_dscnt 0x0
	v_fmac_f32_e32 v83, v2, v4
	s_delay_alu instid0(VALU_DEP_1)
	v_mov_b32_e32 v86, v83
.LBB193_81:                             ;   in Loop: Header=BB193_53 Depth=1
	v_add_co_u32 v51, vcc_lo, v51, s10
	s_wait_alu 0xfffd
	v_add_co_ci_u32_e64 v52, null, s11, v52, vcc_lo
	v_add_co_u32 v53, vcc_lo, v53, s10
	s_wait_alu 0xfffd
	v_add_co_ci_u32_e64 v54, null, s11, v54, vcc_lo
	;; [unrolled: 3-line block ×27, first 2 shown]
	v_add_co_u32 v77, vcc_lo, v77, s10
	s_add_nc_u64 s[14:15], s[14:15], s[16:17]
	s_wait_alu 0xfffd
	v_add_co_ci_u32_e64 v78, null, s11, v78, vcc_lo
	v_add_co_u32 v79, vcc_lo, v79, s10
	s_wait_alu 0xfffe
	v_cmp_ge_i64_e64 s2, s[14:15], s[4:5]
	s_wait_alu 0xfffd
	v_add_co_ci_u32_e64 v80, null, s11, v80, vcc_lo
	v_add_co_u32 v81, vcc_lo, v81, s10
	s_wait_alu 0xfffd
	v_add_co_ci_u32_e64 v82, null, s11, v82, vcc_lo
	s_and_b32 vcc_lo, exec_lo, s2
	s_add_nc_u64 s[18:19], s[18:19], s[16:17]
	s_wait_alu 0xfffe
	s_cbranch_vccnz .LBB193_83
; %bb.82:                               ;   in Loop: Header=BB193_53 Depth=1
	v_mov_b32_e32 v83, v86
	s_branch .LBB193_53
.LBB193_83:
	v_and_b32_e32 v8, 0x3ff, v0
	v_bfe_u32 v0, v0, 10, 10
	v_mov_b32_e32 v4, 0
	s_mov_b32 s2, exec_lo
	s_delay_alu instid0(VALU_DEP_2) | instskip(NEXT) | instid1(VALU_DEP_1)
	v_mad_u32_u24 v1, 0x41, v0, v8
	v_lshl_add_u32 v2, v1, 2, 0
	v_sub_nc_u32_e32 v3, v1, v0
	ds_store_b32 v2, v86
	ds_store_b32 v2, v4 offset:2080
	s_wait_dscnt 0x0
	s_barrier_signal -1
	s_barrier_wait -1
	global_inv scope:SCOPE_SE
	v_cmpx_gt_u32_e32 0x800, v3
	s_cbranch_execz .LBB193_103
; %bb.84:
	s_load_b64 s[2:3], s[0:1], 0x30
	v_and_b32_e32 v0, 31, v8
	v_lshrrev_b32_e32 v2, 5, v3
	s_delay_alu instid0(VALU_DEP_2)
	v_cmp_gt_u32_e32 vcc_lo, 8, v0
	v_mul_u32_u24_e32 v4, 0x41, v0
                                        ; implicit-def: $vgpr0
	s_and_saveexec_b32 s0, vcc_lo
	s_cbranch_execz .LBB193_86
; %bb.85:
	v_lshlrev_b32_e32 v0, 2, v2
	s_delay_alu instid0(VALU_DEP_2) | instskip(NEXT) | instid1(VALU_DEP_1)
	v_lshlrev_b32_e32 v1, 2, v4
	v_add3_u32 v0, 0, v0, v1
	ds_load_b32 v0, v0
.LBB193_86:
	s_or_b32 exec_lo, exec_lo, s0
	v_mbcnt_lo_u32_b32 v1, -1, 0
	s_mov_b32 s4, ttmp9
	s_mov_b32 s5, 0
	s_wait_alu 0xfffe
	s_lshl_b64 s[4:5], s[4:5], 6
	v_xor_b32_e32 v5, 4, v1
	v_xor_b32_e32 v6, 2, v1
	v_xor_b32_e32 v9, 1, v1
	s_wait_kmcnt 0x0
	s_cmp_eq_u64 s[2:3], 0
	s_cselect_b32 s8, -1, 0
	v_cmp_gt_i32_e64 s0, 32, v5
	s_delay_alu instid0(VALU_DEP_1) | instskip(SKIP_1) | instid1(VALU_DEP_2)
	v_cndmask_b32_e64 v5, v1, v5, s0
	v_cmp_gt_i32_e64 s0, 32, v6
	v_lshlrev_b32_e32 v5, 2, v5
	s_wait_alu 0xf1ff
	s_delay_alu instid0(VALU_DEP_2)
	v_cndmask_b32_e64 v6, v1, v6, s0
	v_cmp_gt_i32_e64 s0, 32, v9
	s_wait_dscnt 0x0
	ds_bpermute_b32 v7, v5, v0
	s_wait_alu 0xf1ff
	v_cndmask_b32_e64 v1, v1, v9, s0
	v_cmp_ne_u32_e64 s0, 0, v8
	s_wait_dscnt 0x0
	v_add_f32_e32 v0, v0, v7
	v_lshlrev_b32_e32 v6, 2, v6
	ds_bpermute_b32 v7, v6, v0
	s_wait_dscnt 0x0
	v_add_f32_e32 v9, v0, v7
	v_lshlrev_b32_e32 v7, 2, v1
	s_wait_alu 0xfffe
	v_or_b32_e32 v0, s4, v2
	v_mov_b32_e32 v1, s5
	ds_bpermute_b32 v10, v7, v9
	v_cmp_le_i64_e64 s1, s[6:7], v[0:1]
	s_or_b32 s1, s0, s1
	s_wait_alu 0xfffe
	s_nor_b32 s1, s8, s1
	s_wait_dscnt 0x0
	v_add_f32_e32 v8, v9, v10
	s_wait_alu 0xfffe
	s_and_saveexec_b32 s9, s1
	s_cbranch_execz .LBB193_88
; %bb.87:
	s_delay_alu instid0(VALU_DEP_1) | instskip(SKIP_2) | instid1(VALU_DEP_3)
	v_bfe_u32 v9, v8, 16, 1
	v_lshlrev_b64_e32 v[0:1], 1, v[0:1]
	v_cmp_o_f32_e64 s1, v8, v8
	v_add3_u32 v9, v8, v9, 0x7fff
	s_delay_alu instid0(VALU_DEP_1) | instskip(SKIP_1) | instid1(VALU_DEP_1)
	v_lshrrev_b32_e32 v9, 16, v9
	s_wait_alu 0xf1ff
	v_cndmask_b32_e64 v9, 0x7fc0, v9, s1
	v_add_co_u32 v0, s1, s2, v0
	s_wait_alu 0xf1ff
	v_add_co_ci_u32_e64 v1, null, s3, v1, s1
	global_store_b16 v[0:1], v9, off
.LBB193_88:
	s_wait_alu 0xfffe
	s_or_b32 exec_lo, exec_lo, s9
	v_cmp_gt_u32_e64 s1, 0x600, v3
	s_and_b32 exec_lo, exec_lo, s1
	s_cbranch_execz .LBB193_103
; %bb.89:
	s_and_saveexec_b32 s1, vcc_lo
	s_cbranch_execz .LBB193_91
; %bb.90:
	v_lshlrev_b32_e32 v0, 2, v2
	v_lshlrev_b32_e32 v1, 2, v4
	s_delay_alu instid0(VALU_DEP_1)
	v_add3_u32 v0, 0, v0, v1
	ds_load_b32 v8, v0 offset:64
.LBB193_91:
	s_wait_alu 0xfffe
	s_or_b32 exec_lo, exec_lo, s1
	s_wait_dscnt 0x0
	ds_bpermute_b32 v0, v5, v8
	s_wait_dscnt 0x0
	v_add_f32_e32 v0, v8, v0
	ds_bpermute_b32 v1, v6, v0
	s_wait_dscnt 0x0
	v_add_f32_e32 v8, v0, v1
	v_add_nc_u32_e32 v0, 16, v2
	ds_bpermute_b32 v9, v7, v8
	v_add_co_u32 v0, s1, s4, v0
	s_wait_alu 0xf1ff
	v_add_co_ci_u32_e64 v1, null, s5, 0, s1
	s_delay_alu instid0(VALU_DEP_1)
	v_cmp_le_i64_e64 s1, s[6:7], v[0:1]
	s_or_b32 s1, s0, s1
	s_wait_alu 0xfffe
	s_nor_b32 s1, s8, s1
	s_wait_dscnt 0x0
	v_add_f32_e32 v0, v8, v9
	s_wait_alu 0xfffe
	s_and_saveexec_b32 s9, s1
	s_cbranch_execz .LBB193_93
; %bb.92:
	s_delay_alu instid0(VALU_DEP_1) | instskip(SKIP_3) | instid1(VALU_DEP_3)
	v_bfe_u32 v1, v0, 16, 1
	v_add_co_u32 v8, s1, s4, v2
	s_wait_alu 0xf1ff
	v_add_co_ci_u32_e64 v9, null, s5, 0, s1
	v_add3_u32 v1, v0, v1, 0x7fff
	v_cmp_o_f32_e64 s1, v0, v0
	s_delay_alu instid0(VALU_DEP_3) | instskip(NEXT) | instid1(VALU_DEP_3)
	v_lshlrev_b64_e32 v[8:9], 1, v[8:9]
	v_lshrrev_b32_e32 v1, 16, v1
	s_wait_alu 0xf1ff
	s_delay_alu instid0(VALU_DEP_1) | instskip(NEXT) | instid1(VALU_DEP_3)
	v_cndmask_b32_e64 v1, 0x7fc0, v1, s1
	v_add_co_u32 v8, s1, s2, v8
	s_wait_alu 0xf1ff
	v_add_co_ci_u32_e64 v9, null, s3, v9, s1
	global_store_b16 v[8:9], v1, off offset:32
.LBB193_93:
	s_wait_alu 0xfffe
	s_or_b32 exec_lo, exec_lo, s9
	v_cmp_gt_u32_e64 s1, 0x400, v3
	s_and_b32 exec_lo, exec_lo, s1
	s_cbranch_execz .LBB193_103
; %bb.94:
	s_and_saveexec_b32 s1, vcc_lo
	s_cbranch_execz .LBB193_96
; %bb.95:
	v_lshlrev_b32_e32 v0, 2, v2
	v_lshlrev_b32_e32 v1, 2, v4
	s_delay_alu instid0(VALU_DEP_1)
	v_add3_u32 v0, 0, v0, v1
	ds_load_b32 v0, v0 offset:128
.LBB193_96:
	s_wait_alu 0xfffe
	s_or_b32 exec_lo, exec_lo, s1
	s_wait_dscnt 0x0
	ds_bpermute_b32 v1, v5, v0
	s_wait_dscnt 0x0
	v_add_f32_e32 v0, v0, v1
	ds_bpermute_b32 v1, v6, v0
	s_wait_dscnt 0x0
	v_add_f32_e32 v8, v0, v1
	v_dual_mov_b32 v1, s5 :: v_dual_add_nc_u32 v0, 32, v2
	ds_bpermute_b32 v9, v7, v8
	v_or_b32_e32 v0, s4, v0
	s_delay_alu instid0(VALU_DEP_1)
	v_cmp_le_i64_e64 s1, s[6:7], v[0:1]
	s_or_b32 s1, s0, s1
	s_wait_alu 0xfffe
	s_nor_b32 s1, s8, s1
	s_wait_dscnt 0x0
	v_add_f32_e32 v0, v8, v9
	s_wait_alu 0xfffe
	s_and_saveexec_b32 s9, s1
	s_cbranch_execz .LBB193_98
; %bb.97:
	s_delay_alu instid0(VALU_DEP_1) | instskip(SKIP_3) | instid1(VALU_DEP_3)
	v_bfe_u32 v1, v0, 16, 1
	v_add_co_u32 v8, s1, s4, v2
	s_wait_alu 0xf1ff
	v_add_co_ci_u32_e64 v9, null, s5, 0, s1
	v_add3_u32 v1, v0, v1, 0x7fff
	v_cmp_o_f32_e64 s1, v0, v0
	s_delay_alu instid0(VALU_DEP_3) | instskip(NEXT) | instid1(VALU_DEP_3)
	v_lshlrev_b64_e32 v[8:9], 1, v[8:9]
	v_lshrrev_b32_e32 v1, 16, v1
	s_wait_alu 0xf1ff
	s_delay_alu instid0(VALU_DEP_1) | instskip(NEXT) | instid1(VALU_DEP_3)
	v_cndmask_b32_e64 v1, 0x7fc0, v1, s1
	v_add_co_u32 v8, s1, s2, v8
	s_wait_alu 0xf1ff
	v_add_co_ci_u32_e64 v9, null, s3, v9, s1
	global_store_b16 v[8:9], v1, off offset:64
.LBB193_98:
	s_wait_alu 0xfffe
	s_or_b32 exec_lo, exec_lo, s9
	v_cmp_gt_u32_e64 s1, 0x200, v3
	s_and_b32 exec_lo, exec_lo, s1
	s_cbranch_execz .LBB193_103
; %bb.99:
	s_and_saveexec_b32 s1, vcc_lo
	s_cbranch_execz .LBB193_101
; %bb.100:
	v_lshlrev_b32_e32 v0, 2, v2
	v_lshlrev_b32_e32 v1, 2, v4
	s_delay_alu instid0(VALU_DEP_1)
	v_add3_u32 v0, 0, v0, v1
	ds_load_b32 v0, v0 offset:192
.LBB193_101:
	s_wait_alu 0xfffe
	s_or_b32 exec_lo, exec_lo, s1
	s_wait_dscnt 0x0
	ds_bpermute_b32 v1, v5, v0
	v_dual_mov_b32 v4, s5 :: v_dual_add_nc_u32 v3, 48, v2
	s_delay_alu instid0(VALU_DEP_1) | instskip(NEXT) | instid1(VALU_DEP_1)
	v_or_b32_e32 v3, s4, v3
	v_cmp_le_i64_e32 vcc_lo, s[6:7], v[3:4]
	s_or_b32 s0, s0, vcc_lo
	s_wait_dscnt 0x0
	v_add_f32_e32 v0, v0, v1
	s_wait_alu 0xfffe
	s_nor_b32 s0, s8, s0
	ds_bpermute_b32 v1, v6, v0
	s_wait_dscnt 0x0
	v_add_f32_e32 v0, v0, v1
	ds_bpermute_b32 v1, v7, v0
	s_wait_alu 0xfffe
	s_and_saveexec_b32 s1, s0
	s_wait_alu 0xfffe
	s_xor_b32 s1, exec_lo, s1
	s_cbranch_execz .LBB193_103
; %bb.102:
	s_wait_dscnt 0x0
	v_add_f32_e32 v3, v0, v1
	s_delay_alu instid0(VALU_DEP_1) | instskip(SKIP_1) | instid1(VALU_DEP_2)
	v_bfe_u32 v0, v3, 16, 1
	v_cmp_o_f32_e32 vcc_lo, v3, v3
	v_add3_u32 v4, v3, v0, 0x7fff
	v_add_co_u32 v0, s0, s4, v2
	s_wait_alu 0xf1ff
	v_add_co_ci_u32_e64 v1, null, s5, 0, s0
	s_delay_alu instid0(VALU_DEP_3) | instskip(NEXT) | instid1(VALU_DEP_2)
	v_lshrrev_b32_e32 v2, 16, v4
	v_lshlrev_b64_e32 v[0:1], 1, v[0:1]
	s_wait_alu 0xfffd
	s_delay_alu instid0(VALU_DEP_2) | instskip(NEXT) | instid1(VALU_DEP_2)
	v_cndmask_b32_e32 v2, 0x7fc0, v2, vcc_lo
	v_add_co_u32 v0, vcc_lo, s2, v0
	s_wait_alu 0xfffd
	s_delay_alu instid0(VALU_DEP_3)
	v_add_co_ci_u32_e64 v1, null, s3, v1, vcc_lo
	global_store_b16 v[0:1], v2, off offset:96
.LBB193_103:
	s_endpgm
	.section	.rodata,"a",@progbits
	.p2align	6, 0x0
	.amdhsa_kernel _ZN2at6native12_GLOBAL__N_135GammaBetaBackwardCUDAKernelTemplateIN3c108BFloat16EfLj64ELj8ELj64ELb0ELb0ELb1EEEvllPKT_S7_PKT0_SA_PS5_SB_
		.amdhsa_group_segment_fixed_size 0
		.amdhsa_private_segment_fixed_size 0
		.amdhsa_kernarg_size 320
		.amdhsa_user_sgpr_count 2
		.amdhsa_user_sgpr_dispatch_ptr 0
		.amdhsa_user_sgpr_queue_ptr 0
		.amdhsa_user_sgpr_kernarg_segment_ptr 1
		.amdhsa_user_sgpr_dispatch_id 0
		.amdhsa_user_sgpr_private_segment_size 0
		.amdhsa_wavefront_size32 1
		.amdhsa_uses_dynamic_stack 0
		.amdhsa_enable_private_segment 0
		.amdhsa_system_sgpr_workgroup_id_x 1
		.amdhsa_system_sgpr_workgroup_id_y 1
		.amdhsa_system_sgpr_workgroup_id_z 0
		.amdhsa_system_sgpr_workgroup_info 0
		.amdhsa_system_vgpr_workitem_id 1
		.amdhsa_next_free_vgpr 92
		.amdhsa_next_free_sgpr 32
		.amdhsa_reserve_vcc 1
		.amdhsa_float_round_mode_32 0
		.amdhsa_float_round_mode_16_64 0
		.amdhsa_float_denorm_mode_32 3
		.amdhsa_float_denorm_mode_16_64 3
		.amdhsa_fp16_overflow 0
		.amdhsa_workgroup_processor_mode 1
		.amdhsa_memory_ordered 1
		.amdhsa_forward_progress 1
		.amdhsa_inst_pref_size 81
		.amdhsa_round_robin_scheduling 0
		.amdhsa_exception_fp_ieee_invalid_op 0
		.amdhsa_exception_fp_denorm_src 0
		.amdhsa_exception_fp_ieee_div_zero 0
		.amdhsa_exception_fp_ieee_overflow 0
		.amdhsa_exception_fp_ieee_underflow 0
		.amdhsa_exception_fp_ieee_inexact 0
		.amdhsa_exception_int_div_zero 0
	.end_amdhsa_kernel
	.section	.text._ZN2at6native12_GLOBAL__N_135GammaBetaBackwardCUDAKernelTemplateIN3c108BFloat16EfLj64ELj8ELj64ELb0ELb0ELb1EEEvllPKT_S7_PKT0_SA_PS5_SB_,"axG",@progbits,_ZN2at6native12_GLOBAL__N_135GammaBetaBackwardCUDAKernelTemplateIN3c108BFloat16EfLj64ELj8ELj64ELb0ELb0ELb1EEEvllPKT_S7_PKT0_SA_PS5_SB_,comdat
.Lfunc_end193:
	.size	_ZN2at6native12_GLOBAL__N_135GammaBetaBackwardCUDAKernelTemplateIN3c108BFloat16EfLj64ELj8ELj64ELb0ELb0ELb1EEEvllPKT_S7_PKT0_SA_PS5_SB_, .Lfunc_end193-_ZN2at6native12_GLOBAL__N_135GammaBetaBackwardCUDAKernelTemplateIN3c108BFloat16EfLj64ELj8ELj64ELb0ELb0ELb1EEEvllPKT_S7_PKT0_SA_PS5_SB_
                                        ; -- End function
	.set _ZN2at6native12_GLOBAL__N_135GammaBetaBackwardCUDAKernelTemplateIN3c108BFloat16EfLj64ELj8ELj64ELb0ELb0ELb1EEEvllPKT_S7_PKT0_SA_PS5_SB_.num_vgpr, 92
	.set _ZN2at6native12_GLOBAL__N_135GammaBetaBackwardCUDAKernelTemplateIN3c108BFloat16EfLj64ELj8ELj64ELb0ELb0ELb1EEEvllPKT_S7_PKT0_SA_PS5_SB_.num_agpr, 0
	.set _ZN2at6native12_GLOBAL__N_135GammaBetaBackwardCUDAKernelTemplateIN3c108BFloat16EfLj64ELj8ELj64ELb0ELb0ELb1EEEvllPKT_S7_PKT0_SA_PS5_SB_.numbered_sgpr, 32
	.set _ZN2at6native12_GLOBAL__N_135GammaBetaBackwardCUDAKernelTemplateIN3c108BFloat16EfLj64ELj8ELj64ELb0ELb0ELb1EEEvllPKT_S7_PKT0_SA_PS5_SB_.num_named_barrier, 0
	.set _ZN2at6native12_GLOBAL__N_135GammaBetaBackwardCUDAKernelTemplateIN3c108BFloat16EfLj64ELj8ELj64ELb0ELb0ELb1EEEvllPKT_S7_PKT0_SA_PS5_SB_.private_seg_size, 0
	.set _ZN2at6native12_GLOBAL__N_135GammaBetaBackwardCUDAKernelTemplateIN3c108BFloat16EfLj64ELj8ELj64ELb0ELb0ELb1EEEvllPKT_S7_PKT0_SA_PS5_SB_.uses_vcc, 1
	.set _ZN2at6native12_GLOBAL__N_135GammaBetaBackwardCUDAKernelTemplateIN3c108BFloat16EfLj64ELj8ELj64ELb0ELb0ELb1EEEvllPKT_S7_PKT0_SA_PS5_SB_.uses_flat_scratch, 0
	.set _ZN2at6native12_GLOBAL__N_135GammaBetaBackwardCUDAKernelTemplateIN3c108BFloat16EfLj64ELj8ELj64ELb0ELb0ELb1EEEvllPKT_S7_PKT0_SA_PS5_SB_.has_dyn_sized_stack, 0
	.set _ZN2at6native12_GLOBAL__N_135GammaBetaBackwardCUDAKernelTemplateIN3c108BFloat16EfLj64ELj8ELj64ELb0ELb0ELb1EEEvllPKT_S7_PKT0_SA_PS5_SB_.has_recursion, 0
	.set _ZN2at6native12_GLOBAL__N_135GammaBetaBackwardCUDAKernelTemplateIN3c108BFloat16EfLj64ELj8ELj64ELb0ELb0ELb1EEEvllPKT_S7_PKT0_SA_PS5_SB_.has_indirect_call, 0
	.section	.AMDGPU.csdata,"",@progbits
; Kernel info:
; codeLenInByte = 10368
; TotalNumSgprs: 34
; NumVgprs: 92
; ScratchSize: 0
; MemoryBound: 0
; FloatMode: 240
; IeeeMode: 1
; LDSByteSize: 0 bytes/workgroup (compile time only)
; SGPRBlocks: 0
; VGPRBlocks: 11
; NumSGPRsForWavesPerEU: 34
; NumVGPRsForWavesPerEU: 92
; Occupancy: 16
; WaveLimiterHint : 0
; COMPUTE_PGM_RSRC2:SCRATCH_EN: 0
; COMPUTE_PGM_RSRC2:USER_SGPR: 2
; COMPUTE_PGM_RSRC2:TRAP_HANDLER: 0
; COMPUTE_PGM_RSRC2:TGID_X_EN: 1
; COMPUTE_PGM_RSRC2:TGID_Y_EN: 1
; COMPUTE_PGM_RSRC2:TGID_Z_EN: 0
; COMPUTE_PGM_RSRC2:TIDIG_COMP_CNT: 1
	.section	.text._ZN2at6native12_GLOBAL__N_135GammaBetaBackwardCUDAKernelTemplateIN3c108BFloat16EfLj64ELj16ELj128ELb0ELb1ELb1EEEvllPKT_S7_PKT0_SA_PS5_SB_,"axG",@progbits,_ZN2at6native12_GLOBAL__N_135GammaBetaBackwardCUDAKernelTemplateIN3c108BFloat16EfLj64ELj16ELj128ELb0ELb1ELb1EEEvllPKT_S7_PKT0_SA_PS5_SB_,comdat
	.globl	_ZN2at6native12_GLOBAL__N_135GammaBetaBackwardCUDAKernelTemplateIN3c108BFloat16EfLj64ELj16ELj128ELb0ELb1ELb1EEEvllPKT_S7_PKT0_SA_PS5_SB_ ; -- Begin function _ZN2at6native12_GLOBAL__N_135GammaBetaBackwardCUDAKernelTemplateIN3c108BFloat16EfLj64ELj16ELj128ELb0ELb1ELb1EEEvllPKT_S7_PKT0_SA_PS5_SB_
	.p2align	8
	.type	_ZN2at6native12_GLOBAL__N_135GammaBetaBackwardCUDAKernelTemplateIN3c108BFloat16EfLj64ELj16ELj128ELb0ELb1ELb1EEEvllPKT_S7_PKT0_SA_PS5_SB_,@function
_ZN2at6native12_GLOBAL__N_135GammaBetaBackwardCUDAKernelTemplateIN3c108BFloat16EfLj64ELj16ELj128ELb0ELb1ELb1EEEvllPKT_S7_PKT0_SA_PS5_SB_: ; @_ZN2at6native12_GLOBAL__N_135GammaBetaBackwardCUDAKernelTemplateIN3c108BFloat16EfLj64ELj16ELj128ELb0ELb1ELb1EEEvllPKT_S7_PKT0_SA_PS5_SB_
; %bb.0:
	s_load_b128 s[4:7], s[0:1], 0x0
	s_lshl_b32 s12, ttmp7, 7
	s_mov_b32 s13, 0
	v_bfe_u32 v7, v0, 10, 10
	s_wait_kmcnt 0x0
	v_cmp_gt_i64_e64 s2, s[4:5], s[12:13]
	s_and_b32 vcc_lo, exec_lo, s2
	s_cbranch_vccnz .LBB194_2
; %bb.1:
	v_bfe_u32 v1, v0, 10, 10
	s_mov_b32 s2, s13
	v_and_b32_e32 v6, 0x3ff, v0
	v_mov_b32_e32 v0, 0
	s_and_not1_b32 vcc_lo, exec_lo, s2
	s_cbranch_vccz .LBB194_3
	s_branch .LBB194_10
.LBB194_2:
                                        ; implicit-def: $vgpr1
	v_and_b32_e32 v6, 0x3ff, v0
	v_mov_b32_e32 v0, 0
.LBB194_3:
	s_load_b32 s2, s[0:1], 0x4c
	v_dual_mov_b32 v1, 0 :: v_dual_lshlrev_b32 v0, 3, v7
	s_clause 0x2
	s_load_b32 s3, s[0:1], 0x44
	s_load_b128 s[8:11], s[0:1], 0x10
	s_load_b64 s[16:17], s[0:1], 0x28
	s_mov_b32 s15, 0
	v_dual_mov_b32 v8, 8 :: v_dual_mov_b32 v9, 4
	v_add_co_u32 v2, s14, v0, s12
	s_delay_alu instid0(VALU_DEP_1) | instskip(SKIP_1) | instid1(VALU_DEP_3)
	v_add_co_ci_u32_e64 v3, null, 0, 0, s14
	v_lshl_add_u32 v0, ttmp9, 6, v6
	v_mul_lo_u32 v13, s7, v2
	v_mad_co_u64_u32 v[4:5], null, s6, v2, 0
	s_delay_alu instid0(VALU_DEP_4) | instskip(NEXT) | instid1(VALU_DEP_4)
	v_mul_lo_u32 v14, s6, v3
	v_lshlrev_b64_e32 v[15:16], 1, v[0:1]
	v_dual_mov_b32 v10, 12 :: v_dual_mov_b32 v11, 16
	v_mov_b32_e32 v0, 0
	s_wait_kmcnt 0x0
	s_and_b32 s2, s2, 0xffff
	s_lshl_b32 s14, s3, 7
	v_mad_u32_u24 v12, v7, s2, v6
	v_add3_u32 v5, v5, v14, v13
	v_dual_mov_b32 v13, 24 :: v_dual_mov_b32 v14, 28
	s_wait_alu 0xfffe
	s_mul_u64 s[18:19], s[6:7], s[14:15]
	v_dual_mov_b32 v12, 20 :: v_dual_and_b32 v19, 31, v12
	v_lshlrev_b64_e32 v[4:5], 1, v[4:5]
	s_lshl_b64 s[18:19], s[18:19], 1
	s_lshl_b64 s[6:7], s[6:7], 1
	s_delay_alu instid0(VALU_DEP_2) | instskip(NEXT) | instid1(VALU_DEP_1)
	v_add_co_u32 v2, vcc_lo, v2, v19
	v_add_co_ci_u32_e64 v3, null, 0, v3, vcc_lo
	s_delay_alu instid0(VALU_DEP_3) | instskip(SKIP_2) | instid1(VALU_DEP_3)
	v_add_co_u32 v15, vcc_lo, v4, v15
	s_wait_alu 0xfffd
	v_add_co_ci_u32_e64 v16, null, v5, v16, vcc_lo
	v_lshlrev_b64_e32 v[17:18], 2, v[2:3]
	v_cmp_gt_u32_e64 s2, 8, v19
	s_delay_alu instid0(VALU_DEP_2) | instskip(SKIP_1) | instid1(VALU_DEP_3)
	v_add_co_u32 v4, vcc_lo, s16, v17
	s_wait_alu 0xfffd
	v_add_co_ci_u32_e64 v5, null, s17, v18, vcc_lo
	s_lshl_b64 s[16:17], s[14:15], 2
	s_branch .LBB194_6
.LBB194_4:                              ;   in Loop: Header=BB194_6 Depth=1
	s_or_b32 exec_lo, exec_lo, s20
.LBB194_5:                              ;   in Loop: Header=BB194_6 Depth=1
	s_wait_alu 0xfffe
	s_or_b32 exec_lo, exec_lo, s3
	v_add_co_u32 v18, vcc_lo, s8, v15
	s_wait_alu 0xfffd
	v_add_co_ci_u32_e64 v19, null, s9, v16, vcc_lo
	v_add_co_u32 v20, vcc_lo, s10, v15
	s_wait_alu 0xfffd
	v_add_co_ci_u32_e64 v21, null, s11, v16, vcc_lo
	global_load_u16 v28, v[18:19], off
	global_load_u16 v29, v[20:21], off
	v_add_co_u32 v18, vcc_lo, v18, s6
	s_wait_alu 0xfffd
	v_add_co_ci_u32_e64 v19, null, s7, v19, vcc_lo
	v_add_co_u32 v20, vcc_lo, v20, s6
	s_wait_alu 0xfffd
	v_add_co_ci_u32_e64 v21, null, s7, v21, vcc_lo
	global_load_u16 v30, v[18:19], off
	v_add_co_u32 v18, vcc_lo, v18, s6
	s_wait_alu 0xfffd
	v_add_co_ci_u32_e64 v19, null, s7, v19, vcc_lo
	v_add_co_u32 v22, vcc_lo, v20, s6
	s_wait_alu 0xfffd
	v_add_co_ci_u32_e64 v23, null, s7, v21, vcc_lo
	;; [unrolled: 3-line block ×4, first 2 shown]
	global_load_u16 v31, v[20:21], off
	global_load_u16 v32, v[18:19], off
	;; [unrolled: 1-line block ×5, first 2 shown]
	v_add_co_u32 v18, vcc_lo, v26, s6
	s_wait_alu 0xfffd
	v_add_co_ci_u32_e64 v19, null, s7, v27, vcc_lo
	v_add_co_u32 v20, vcc_lo, v24, s6
	s_wait_alu 0xfffd
	v_add_co_ci_u32_e64 v21, null, s7, v25, vcc_lo
	global_load_u16 v36, v[18:19], off
	v_add_co_u32 v22, vcc_lo, v20, s6
	s_wait_alu 0xfffd
	v_add_co_ci_u32_e64 v23, null, s7, v21, vcc_lo
	v_add_co_u32 v18, vcc_lo, v18, s6
	s_wait_alu 0xfffd
	v_add_co_ci_u32_e64 v19, null, s7, v19, vcc_lo
	;; [unrolled: 3-line block ×4, first 2 shown]
	s_clause 0x1
	global_load_u16 v37, v[20:21], off
	global_load_u16 v22, v[22:23], off
	;; [unrolled: 1-line block ×5, first 2 shown]
	v_add_co_u32 v18, vcc_lo, v26, s6
	s_wait_alu 0xfffd
	v_add_co_ci_u32_e64 v19, null, s7, v27, vcc_lo
	v_add_co_u32 v20, vcc_lo, v24, s6
	s_wait_alu 0xfffd
	v_add_co_ci_u32_e64 v21, null, s7, v25, vcc_lo
	global_load_u16 v18, v[18:19], off
	global_load_u16 v19, v[20:21], off
	s_wait_loadcnt 0x10
	ds_bpermute_b32 v20, v1, v17
	ds_bpermute_b32 v21, v9, v17
	;; [unrolled: 1-line block ×3, first 2 shown]
	v_add_co_u32 v4, vcc_lo, v4, s16
	s_add_nc_u64 s[12:13], s[12:13], s[14:15]
	s_wait_alu 0xfffd
	v_add_co_ci_u32_e64 v5, null, s17, v5, vcc_lo
	v_add_co_u32 v2, vcc_lo, v2, s14
	s_wait_alu 0xfffe
	v_cmp_lt_i64_e64 s3, s[12:13], s[4:5]
	s_wait_alu 0xfffd
	v_add_co_ci_u32_e64 v3, null, 0, v3, vcc_lo
	v_add_co_u32 v15, vcc_lo, v15, s18
	s_wait_alu 0xfffd
	v_add_co_ci_u32_e64 v16, null, s19, v16, vcc_lo
	s_and_b32 vcc_lo, exec_lo, s3
	s_wait_loadcnt 0xf
	v_lshlrev_b32_e32 v25, 16, v28
	s_wait_loadcnt 0xe
	v_lshlrev_b32_e32 v24, 16, v29
	ds_bpermute_b32 v28, v10, v17
	s_wait_loadcnt 0xd
	v_dual_mul_f32 v24, v25, v24 :: v_dual_lshlrev_b32 v25, 16, v30
	s_wait_loadcnt_dscnt 0xc03
	s_delay_alu instid0(VALU_DEP_1) | instskip(SKIP_3) | instid1(VALU_DEP_2)
	v_dual_fmac_f32 v0, v24, v20 :: v_dual_lshlrev_b32 v27, 16, v31
	s_wait_loadcnt 0xb
	v_lshlrev_b32_e32 v24, 16, v32
	s_wait_loadcnt 0xa
	v_dual_mul_f32 v20, v25, v27 :: v_dual_lshlrev_b32 v29, 16, v33
	ds_bpermute_b32 v25, v11, v17
	s_wait_loadcnt_dscnt 0x803
	v_dual_fmac_f32 v0, v20, v21 :: v_dual_lshlrev_b32 v27, 16, v35
	v_mul_f32_e32 v20, v24, v29
	ds_bpermute_b32 v24, v12, v17
	s_wait_loadcnt_dscnt 0x703
	v_dual_fmac_f32 v0, v20, v26 :: v_dual_lshlrev_b32 v29, 16, v36
	v_lshlrev_b32_e32 v21, 16, v34
	ds_bpermute_b32 v26, v13, v17
	ds_bpermute_b32 v17, v14, v17
	s_wait_loadcnt 0x6
	v_dual_mul_f32 v20, v21, v27 :: v_dual_lshlrev_b32 v21, 16, v37
	s_wait_loadcnt_dscnt 0x404
	s_delay_alu instid0(VALU_DEP_1) | instskip(NEXT) | instid1(VALU_DEP_2)
	v_dual_fmac_f32 v0, v20, v28 :: v_dual_lshlrev_b32 v23, 16, v23
	v_dual_mul_f32 v20, v21, v29 :: v_dual_lshlrev_b32 v21, 16, v22
	s_wait_loadcnt 0x2
	v_lshlrev_b32_e32 v22, 16, v39
	s_wait_dscnt 0x3
	s_delay_alu instid0(VALU_DEP_2) | instskip(SKIP_4) | instid1(VALU_DEP_2)
	v_dual_fmac_f32 v0, v20, v25 :: v_dual_lshlrev_b32 v27, 16, v38
	v_mul_f32_e32 v20, v21, v23
	s_wait_loadcnt 0x1
	v_lshlrev_b32_e32 v18, 16, v18
	s_wait_loadcnt_dscnt 0x2
	v_dual_fmac_f32 v0, v20, v24 :: v_dual_lshlrev_b32 v19, 16, v19
	v_mul_f32_e32 v20, v27, v22
	s_delay_alu instid0(VALU_DEP_2) | instskip(SKIP_1) | instid1(VALU_DEP_2)
	v_mul_f32_e32 v18, v19, v18
	s_wait_dscnt 0x1
	v_fmac_f32_e32 v0, v20, v26
	s_wait_dscnt 0x0
	s_delay_alu instid0(VALU_DEP_1)
	v_fmac_f32_e32 v0, v18, v17
	s_wait_alu 0xfffe
	s_cbranch_vccz .LBB194_9
.LBB194_6:                              ; =>This Inner Loop Header: Depth=1
	v_mov_b32_e32 v17, 0
	s_and_saveexec_b32 s3, s2
	s_cbranch_execz .LBB194_5
; %bb.7:                                ;   in Loop: Header=BB194_6 Depth=1
	v_mov_b32_e32 v17, 0
	s_mov_b32 s20, exec_lo
	v_cmpx_gt_i64_e64 s[4:5], v[2:3]
	s_cbranch_execz .LBB194_4
; %bb.8:                                ;   in Loop: Header=BB194_6 Depth=1
	global_load_b32 v17, v[4:5], off
	s_branch .LBB194_4
.LBB194_9:
	v_mov_b32_e32 v1, v7
.LBB194_10:
	s_load_b64 s[2:3], s[0:1], 0x30
	s_delay_alu instid0(VALU_DEP_1) | instskip(SKIP_2) | instid1(VALU_DEP_2)
	v_mad_u32_u24 v2, 0x41, v1, v6
	v_mov_b32_e32 v4, 0
	s_mov_b32 s0, exec_lo
	v_lshl_add_u32 v3, v2, 2, 0
	v_sub_nc_u32_e32 v1, v2, v1
	ds_store_b32 v3, v0
	ds_store_b32 v3, v4 offset:4160
	s_wait_dscnt 0x0
	s_barrier_signal -1
	s_barrier_wait -1
	global_inv scope:SCOPE_SE
	v_cmpx_gt_u32_e32 0x800, v1
	s_cbranch_execz .LBB194_20
; %bb.11:
	v_and_b32_e32 v2, 31, v6
	v_lshrrev_b32_e32 v0, 5, v1
                                        ; implicit-def: $vgpr5
	s_delay_alu instid0(VALU_DEP_2)
	v_cmp_gt_u32_e32 vcc_lo, 16, v2
	v_mul_u32_u24_e32 v2, 0x41, v2
	s_and_saveexec_b32 s0, vcc_lo
	s_cbranch_execz .LBB194_13
; %bb.12:
	v_lshlrev_b32_e32 v3, 2, v0
	s_delay_alu instid0(VALU_DEP_2) | instskip(NEXT) | instid1(VALU_DEP_1)
	v_lshlrev_b32_e32 v4, 2, v2
	v_add3_u32 v3, 0, v3, v4
	ds_load_b32 v5, v3
.LBB194_13:
	s_wait_alu 0xfffe
	s_or_b32 exec_lo, exec_lo, s0
	v_mbcnt_lo_u32_b32 v7, -1, 0
	s_mov_b32 s4, ttmp9
	s_wait_kmcnt 0x0
	s_cmp_lg_u64 s[2:3], 0
	s_mov_b32 s5, 0
	s_cselect_b32 s1, -1, 0
	v_xor_b32_e32 v3, 8, v7
	v_xor_b32_e32 v4, 4, v7
	;; [unrolled: 1-line block ×3, first 2 shown]
	s_wait_alu 0xfffe
	s_lshl_b64 s[4:5], s[4:5], 7
	s_wait_alu 0xfffe
	s_add_nc_u64 s[2:3], s[2:3], s[4:5]
	v_cmp_gt_i32_e64 s0, 32, v3
	s_wait_alu 0xf1ff
	s_delay_alu instid0(VALU_DEP_1) | instskip(SKIP_1) | instid1(VALU_DEP_2)
	v_cndmask_b32_e64 v3, v7, v3, s0
	v_cmp_gt_i32_e64 s0, 32, v4
	v_lshlrev_b32_e32 v3, 2, v3
	s_wait_alu 0xf1ff
	s_delay_alu instid0(VALU_DEP_2)
	v_cndmask_b32_e64 v4, v7, v4, s0
	s_wait_dscnt 0x0
	ds_bpermute_b32 v8, v3, v5
	v_lshlrev_b32_e32 v4, 2, v4
	s_wait_dscnt 0x0
	v_add_f32_e32 v8, v5, v8
	v_xor_b32_e32 v5, 2, v7
	ds_bpermute_b32 v9, v4, v8
	v_cmp_gt_i32_e64 s0, 32, v5
	s_wait_alu 0xf1ff
	s_delay_alu instid0(VALU_DEP_1) | instskip(SKIP_1) | instid1(VALU_DEP_2)
	v_cndmask_b32_e64 v5, v7, v5, s0
	v_cmp_gt_i32_e64 s0, 32, v10
	v_lshlrev_b32_e32 v5, 2, v5
	s_wait_alu 0xf1ff
	s_delay_alu instid0(VALU_DEP_2) | instskip(SKIP_1) | instid1(VALU_DEP_2)
	v_cndmask_b32_e64 v7, v7, v10, s0
	v_cmp_eq_u32_e64 s0, 0, v6
	v_lshlrev_b32_e32 v7, 2, v7
	s_and_b32 s1, s0, s1
	s_wait_dscnt 0x0
	v_add_f32_e32 v8, v8, v9
	ds_bpermute_b32 v9, v5, v8
	s_wait_dscnt 0x0
	v_add_f32_e32 v8, v8, v9
	ds_bpermute_b32 v9, v7, v8
	s_wait_dscnt 0x0
	v_add_f32_e32 v6, v8, v9
	s_wait_alu 0xfffe
	s_and_saveexec_b32 s4, s1
	s_cbranch_execz .LBB194_15
; %bb.14:
	s_delay_alu instid0(VALU_DEP_1) | instskip(SKIP_2) | instid1(VALU_DEP_3)
	v_bfe_u32 v8, v6, 16, 1
	v_cmp_o_f32_e64 s0, v6, v6
	v_lshlrev_b32_e32 v9, 1, v0
	v_add3_u32 v8, v6, v8, 0x7fff
	s_delay_alu instid0(VALU_DEP_1) | instskip(SKIP_1) | instid1(VALU_DEP_1)
	v_lshrrev_b32_e32 v8, 16, v8
	s_wait_alu 0xf1ff
	v_cndmask_b32_e64 v8, 0x7fc0, v8, s0
	global_store_b16 v9, v8, s[2:3]
.LBB194_15:
	s_wait_alu 0xfffe
	s_or_b32 exec_lo, exec_lo, s4
	v_cmp_gt_u32_e64 s0, 0x400, v1
	s_and_b32 exec_lo, exec_lo, s0
	s_cbranch_execz .LBB194_20
; %bb.16:
	s_and_saveexec_b32 s0, vcc_lo
	s_cbranch_execz .LBB194_18
; %bb.17:
	v_lshlrev_b32_e32 v1, 2, v0
	v_lshlrev_b32_e32 v2, 2, v2
	s_delay_alu instid0(VALU_DEP_1)
	v_add3_u32 v1, 0, v1, v2
	ds_load_b32 v6, v1 offset:128
.LBB194_18:
	s_wait_alu 0xfffe
	s_or_b32 exec_lo, exec_lo, s0
	s_wait_dscnt 0x0
	ds_bpermute_b32 v1, v3, v6
	s_wait_dscnt 0x0
	v_add_f32_e32 v1, v6, v1
	ds_bpermute_b32 v2, v4, v1
	s_wait_dscnt 0x0
	v_add_f32_e32 v1, v1, v2
	;; [unrolled: 3-line block ×3, first 2 shown]
	ds_bpermute_b32 v2, v7, v1
	s_and_saveexec_b32 s0, s1
	s_wait_alu 0xfffe
	s_xor_b32 s0, exec_lo, s0
	s_cbranch_execz .LBB194_20
; %bb.19:
	s_wait_dscnt 0x0
	v_dual_add_f32 v1, v1, v2 :: v_dual_lshlrev_b32 v0, 1, v0
	s_delay_alu instid0(VALU_DEP_1) | instskip(SKIP_1) | instid1(VALU_DEP_2)
	v_bfe_u32 v2, v1, 16, 1
	v_cmp_o_f32_e32 vcc_lo, v1, v1
	v_add3_u32 v2, v1, v2, 0x7fff
	s_delay_alu instid0(VALU_DEP_1) | instskip(SKIP_1) | instid1(VALU_DEP_1)
	v_lshrrev_b32_e32 v2, 16, v2
	s_wait_alu 0xfffd
	v_cndmask_b32_e32 v1, 0x7fc0, v2, vcc_lo
	global_store_b16 v0, v1, s[2:3] offset:64
.LBB194_20:
	s_endpgm
	.section	.rodata,"a",@progbits
	.p2align	6, 0x0
	.amdhsa_kernel _ZN2at6native12_GLOBAL__N_135GammaBetaBackwardCUDAKernelTemplateIN3c108BFloat16EfLj64ELj16ELj128ELb0ELb1ELb1EEEvllPKT_S7_PKT0_SA_PS5_SB_
		.amdhsa_group_segment_fixed_size 0
		.amdhsa_private_segment_fixed_size 0
		.amdhsa_kernarg_size 320
		.amdhsa_user_sgpr_count 2
		.amdhsa_user_sgpr_dispatch_ptr 0
		.amdhsa_user_sgpr_queue_ptr 0
		.amdhsa_user_sgpr_kernarg_segment_ptr 1
		.amdhsa_user_sgpr_dispatch_id 0
		.amdhsa_user_sgpr_private_segment_size 0
		.amdhsa_wavefront_size32 1
		.amdhsa_uses_dynamic_stack 0
		.amdhsa_enable_private_segment 0
		.amdhsa_system_sgpr_workgroup_id_x 1
		.amdhsa_system_sgpr_workgroup_id_y 1
		.amdhsa_system_sgpr_workgroup_id_z 0
		.amdhsa_system_sgpr_workgroup_info 0
		.amdhsa_system_vgpr_workitem_id 1
		.amdhsa_next_free_vgpr 40
		.amdhsa_next_free_sgpr 21
		.amdhsa_reserve_vcc 1
		.amdhsa_float_round_mode_32 0
		.amdhsa_float_round_mode_16_64 0
		.amdhsa_float_denorm_mode_32 3
		.amdhsa_float_denorm_mode_16_64 3
		.amdhsa_fp16_overflow 0
		.amdhsa_workgroup_processor_mode 1
		.amdhsa_memory_ordered 1
		.amdhsa_forward_progress 1
		.amdhsa_inst_pref_size 16
		.amdhsa_round_robin_scheduling 0
		.amdhsa_exception_fp_ieee_invalid_op 0
		.amdhsa_exception_fp_denorm_src 0
		.amdhsa_exception_fp_ieee_div_zero 0
		.amdhsa_exception_fp_ieee_overflow 0
		.amdhsa_exception_fp_ieee_underflow 0
		.amdhsa_exception_fp_ieee_inexact 0
		.amdhsa_exception_int_div_zero 0
	.end_amdhsa_kernel
	.section	.text._ZN2at6native12_GLOBAL__N_135GammaBetaBackwardCUDAKernelTemplateIN3c108BFloat16EfLj64ELj16ELj128ELb0ELb1ELb1EEEvllPKT_S7_PKT0_SA_PS5_SB_,"axG",@progbits,_ZN2at6native12_GLOBAL__N_135GammaBetaBackwardCUDAKernelTemplateIN3c108BFloat16EfLj64ELj16ELj128ELb0ELb1ELb1EEEvllPKT_S7_PKT0_SA_PS5_SB_,comdat
.Lfunc_end194:
	.size	_ZN2at6native12_GLOBAL__N_135GammaBetaBackwardCUDAKernelTemplateIN3c108BFloat16EfLj64ELj16ELj128ELb0ELb1ELb1EEEvllPKT_S7_PKT0_SA_PS5_SB_, .Lfunc_end194-_ZN2at6native12_GLOBAL__N_135GammaBetaBackwardCUDAKernelTemplateIN3c108BFloat16EfLj64ELj16ELj128ELb0ELb1ELb1EEEvllPKT_S7_PKT0_SA_PS5_SB_
                                        ; -- End function
	.set _ZN2at6native12_GLOBAL__N_135GammaBetaBackwardCUDAKernelTemplateIN3c108BFloat16EfLj64ELj16ELj128ELb0ELb1ELb1EEEvllPKT_S7_PKT0_SA_PS5_SB_.num_vgpr, 40
	.set _ZN2at6native12_GLOBAL__N_135GammaBetaBackwardCUDAKernelTemplateIN3c108BFloat16EfLj64ELj16ELj128ELb0ELb1ELb1EEEvllPKT_S7_PKT0_SA_PS5_SB_.num_agpr, 0
	.set _ZN2at6native12_GLOBAL__N_135GammaBetaBackwardCUDAKernelTemplateIN3c108BFloat16EfLj64ELj16ELj128ELb0ELb1ELb1EEEvllPKT_S7_PKT0_SA_PS5_SB_.numbered_sgpr, 21
	.set _ZN2at6native12_GLOBAL__N_135GammaBetaBackwardCUDAKernelTemplateIN3c108BFloat16EfLj64ELj16ELj128ELb0ELb1ELb1EEEvllPKT_S7_PKT0_SA_PS5_SB_.num_named_barrier, 0
	.set _ZN2at6native12_GLOBAL__N_135GammaBetaBackwardCUDAKernelTemplateIN3c108BFloat16EfLj64ELj16ELj128ELb0ELb1ELb1EEEvllPKT_S7_PKT0_SA_PS5_SB_.private_seg_size, 0
	.set _ZN2at6native12_GLOBAL__N_135GammaBetaBackwardCUDAKernelTemplateIN3c108BFloat16EfLj64ELj16ELj128ELb0ELb1ELb1EEEvllPKT_S7_PKT0_SA_PS5_SB_.uses_vcc, 1
	.set _ZN2at6native12_GLOBAL__N_135GammaBetaBackwardCUDAKernelTemplateIN3c108BFloat16EfLj64ELj16ELj128ELb0ELb1ELb1EEEvllPKT_S7_PKT0_SA_PS5_SB_.uses_flat_scratch, 0
	.set _ZN2at6native12_GLOBAL__N_135GammaBetaBackwardCUDAKernelTemplateIN3c108BFloat16EfLj64ELj16ELj128ELb0ELb1ELb1EEEvllPKT_S7_PKT0_SA_PS5_SB_.has_dyn_sized_stack, 0
	.set _ZN2at6native12_GLOBAL__N_135GammaBetaBackwardCUDAKernelTemplateIN3c108BFloat16EfLj64ELj16ELj128ELb0ELb1ELb1EEEvllPKT_S7_PKT0_SA_PS5_SB_.has_recursion, 0
	.set _ZN2at6native12_GLOBAL__N_135GammaBetaBackwardCUDAKernelTemplateIN3c108BFloat16EfLj64ELj16ELj128ELb0ELb1ELb1EEEvllPKT_S7_PKT0_SA_PS5_SB_.has_indirect_call, 0
	.section	.AMDGPU.csdata,"",@progbits
; Kernel info:
; codeLenInByte = 2048
; TotalNumSgprs: 23
; NumVgprs: 40
; ScratchSize: 0
; MemoryBound: 0
; FloatMode: 240
; IeeeMode: 1
; LDSByteSize: 0 bytes/workgroup (compile time only)
; SGPRBlocks: 0
; VGPRBlocks: 4
; NumSGPRsForWavesPerEU: 23
; NumVGPRsForWavesPerEU: 40
; Occupancy: 16
; WaveLimiterHint : 0
; COMPUTE_PGM_RSRC2:SCRATCH_EN: 0
; COMPUTE_PGM_RSRC2:USER_SGPR: 2
; COMPUTE_PGM_RSRC2:TRAP_HANDLER: 0
; COMPUTE_PGM_RSRC2:TGID_X_EN: 1
; COMPUTE_PGM_RSRC2:TGID_Y_EN: 1
; COMPUTE_PGM_RSRC2:TGID_Z_EN: 0
; COMPUTE_PGM_RSRC2:TIDIG_COMP_CNT: 1
	.section	.text._ZN2at6native12_GLOBAL__N_135GammaBetaBackwardCUDAKernelTemplateIN3c108BFloat16EfLj64ELj16ELj128ELb0ELb0ELb1EEEvllPKT_S7_PKT0_SA_PS5_SB_,"axG",@progbits,_ZN2at6native12_GLOBAL__N_135GammaBetaBackwardCUDAKernelTemplateIN3c108BFloat16EfLj64ELj16ELj128ELb0ELb0ELb1EEEvllPKT_S7_PKT0_SA_PS5_SB_,comdat
	.globl	_ZN2at6native12_GLOBAL__N_135GammaBetaBackwardCUDAKernelTemplateIN3c108BFloat16EfLj64ELj16ELj128ELb0ELb0ELb1EEEvllPKT_S7_PKT0_SA_PS5_SB_ ; -- Begin function _ZN2at6native12_GLOBAL__N_135GammaBetaBackwardCUDAKernelTemplateIN3c108BFloat16EfLj64ELj16ELj128ELb0ELb0ELb1EEEvllPKT_S7_PKT0_SA_PS5_SB_
	.p2align	8
	.type	_ZN2at6native12_GLOBAL__N_135GammaBetaBackwardCUDAKernelTemplateIN3c108BFloat16EfLj64ELj16ELj128ELb0ELb0ELb1EEEvllPKT_S7_PKT0_SA_PS5_SB_,@function
_ZN2at6native12_GLOBAL__N_135GammaBetaBackwardCUDAKernelTemplateIN3c108BFloat16EfLj64ELj16ELj128ELb0ELb0ELb1EEEvllPKT_S7_PKT0_SA_PS5_SB_: ; @_ZN2at6native12_GLOBAL__N_135GammaBetaBackwardCUDAKernelTemplateIN3c108BFloat16EfLj64ELj16ELj128ELb0ELb0ELb1EEEvllPKT_S7_PKT0_SA_PS5_SB_
; %bb.0:
	s_clause 0x1
	s_load_b256 s[4:11], s[0:1], 0x0
	s_load_b64 s[12:13], s[0:1], 0x28
	s_lshl_b32 s28, ttmp9, 6
	s_mov_b32 s15, 0
	s_or_b32 s14, s28, 63
	s_wait_kmcnt 0x0
	v_cmp_le_i64_e64 s2, s[6:7], s[14:15]
	s_lshl_b32 s14, ttmp7, 7
	s_wait_alu 0xfffe
	v_cmp_gt_i64_e64 s29, s[4:5], s[14:15]
	s_and_b32 vcc_lo, exec_lo, s2
	v_cndmask_b32_e64 v1, 0, 1, s29
	s_delay_alu instid0(VALU_DEP_1)
	v_cmp_ne_u32_e64 s2, 1, v1
	s_cbranch_vccz .LBB195_49
; %bb.1:
	v_mov_b32_e32 v86, 0
	s_and_b32 vcc_lo, exec_lo, s2
	s_cbranch_vccnz .LBB195_50
; %bb.2:
	v_bfe_u32 v20, v0, 10, 10
	v_dual_mov_b32 v1, 0 :: v_dual_and_b32 v22, 0x3ff, v0
	s_load_b32 s3, s[0:1], 0x44
	s_mov_b32 s17, 0
	s_delay_alu instid0(VALU_DEP_2) | instskip(NEXT) | instid1(VALU_DEP_2)
	v_lshlrev_b32_e32 v21, 3, v20
	v_dual_mov_b32 v3, v1 :: v_dual_add_nc_u32 v2, s28, v22
	s_mov_b32 s21, s17
	v_mov_b32_e32 v55, 0
	s_delay_alu instid0(VALU_DEP_3) | instskip(NEXT) | instid1(VALU_DEP_1)
	v_add_co_u32 v10, s2, v21, s14
	v_add_co_ci_u32_e64 v11, null, 0, 0, s2
	v_cmp_gt_i64_e64 s2, s[6:7], v[2:3]
	s_delay_alu instid0(VALU_DEP_3) | instskip(SKIP_1) | instid1(VALU_DEP_4)
	v_mul_lo_u32 v6, s7, v10
	v_mad_co_u64_u32 v[4:5], null, s6, v10, 0
	v_mul_lo_u32 v7, s6, v11
	v_add_co_u32 v8, vcc_lo, v10, 7
	s_delay_alu instid0(VALU_DEP_1) | instskip(SKIP_1) | instid1(VALU_DEP_3)
	v_add_co_ci_u32_e64 v9, null, 0, v11, vcc_lo
	v_lshlrev_b64_e32 v[18:19], 1, v[2:3]
	v_mul_lo_u32 v12, s7, v8
	s_wait_kmcnt 0x0
	s_lshl_b32 s20, s3, 7
	v_add3_u32 v5, v5, v7, v6
	v_mad_co_u64_u32 v[6:7], null, s6, v8, 0
	v_add_co_u32 v8, vcc_lo, v10, 6
	v_mul_lo_u32 v13, s6, v9
	s_wait_alu 0xfffd
	v_add_co_ci_u32_e64 v9, null, 0, v11, vcc_lo
	v_lshlrev_b64_e32 v[2:3], 1, v[4:5]
	v_mul_lo_u32 v14, s7, v8
	s_mul_u64 s[22:23], s[6:7], s[20:21]
	s_delay_alu instid0(VALU_DEP_3) | instskip(SKIP_1) | instid1(VALU_DEP_4)
	v_mul_lo_u32 v15, s6, v9
	v_mad_co_u64_u32 v[8:9], null, s6, v8, 0
	v_add_co_u32 v23, vcc_lo, s8, v2
	s_wait_alu 0xfffd
	v_add_co_ci_u32_e64 v24, null, s9, v3, vcc_lo
	v_add_co_u32 v25, vcc_lo, s10, v2
	v_add3_u32 v7, v7, v13, v12
	s_wait_alu 0xfffd
	v_add_co_ci_u32_e64 v26, null, s11, v3, vcc_lo
	v_add_co_u32 v12, vcc_lo, v10, 5
	v_add3_u32 v9, v9, v15, v14
	s_wait_alu 0xfffd
	v_add_co_ci_u32_e64 v13, null, 0, v11, vcc_lo
	v_lshlrev_b64_e32 v[2:3], 1, v[6:7]
	v_mul_lo_u32 v14, s7, v12
	v_lshlrev_b64_e32 v[6:7], 1, v[8:9]
	s_delay_alu instid0(VALU_DEP_4)
	v_mul_lo_u32 v13, s6, v13
	v_mad_co_u64_u32 v[8:9], null, s6, v12, 0
	v_add_co_u32 v27, vcc_lo, s8, v2
	s_wait_alu 0xfffd
	v_add_co_ci_u32_e64 v28, null, s9, v3, vcc_lo
	v_add_co_u32 v29, vcc_lo, s10, v2
	s_wait_alu 0xfffd
	v_add_co_ci_u32_e64 v30, null, s11, v3, vcc_lo
	v_add_co_u32 v31, vcc_lo, s8, v6
	v_add3_u32 v9, v9, v13, v14
	s_wait_alu 0xfffd
	v_add_co_ci_u32_e64 v32, null, s9, v7, vcc_lo
	v_add_co_u32 v12, vcc_lo, v10, 4
	v_add_co_u32 v33, s3, s10, v6
	s_wait_alu 0xfffd
	v_add_co_ci_u32_e64 v6, null, 0, v11, vcc_lo
	v_lshlrev_b64_e32 v[2:3], 1, v[8:9]
	v_add_co_u32 v8, vcc_lo, v10, 3
	s_wait_alu 0xfffd
	v_add_co_ci_u32_e64 v9, null, 0, v11, vcc_lo
	s_wait_alu 0xf1ff
	v_add_co_ci_u32_e64 v34, null, s11, v7, s3
	v_mul_lo_u32 v13, s7, v12
	v_mul_lo_u32 v14, s6, v6
	v_mad_co_u64_u32 v[6:7], null, s6, v12, 0
	v_mul_lo_u32 v12, s7, v8
	v_mul_lo_u32 v15, s6, v9
	v_mad_co_u64_u32 v[8:9], null, s6, v8, 0
	v_add_co_u32 v35, vcc_lo, s8, v2
	s_wait_alu 0xfffd
	v_add_co_ci_u32_e64 v36, null, s9, v3, vcc_lo
	v_add3_u32 v7, v7, v14, v13
	v_add_co_u32 v37, vcc_lo, s10, v2
	s_wait_alu 0xfffd
	v_add_co_ci_u32_e64 v38, null, s11, v3, vcc_lo
	v_add_co_u32 v10, vcc_lo, v10, 2
	v_add3_u32 v9, v9, v15, v12
	s_wait_alu 0xfffd
	v_add_co_ci_u32_e64 v11, null, 0, v11, vcc_lo
	v_lshlrev_b64_e32 v[2:3], 1, v[6:7]
	v_mul_lo_u32 v12, s7, v10
	v_lshlrev_b64_e32 v[6:7], 1, v[8:9]
	s_delay_alu instid0(VALU_DEP_4)
	v_mul_lo_u32 v11, s6, v11
	v_mad_co_u64_u32 v[8:9], null, s6, v10, 0
	v_add_co_u32 v39, vcc_lo, s8, v2
	s_wait_alu 0xfffd
	v_add_co_ci_u32_e64 v40, null, s9, v3, vcc_lo
	v_add_co_u32 v41, vcc_lo, s10, v2
	s_wait_alu 0xfffd
	v_add_co_ci_u32_e64 v42, null, s11, v3, vcc_lo
	;; [unrolled: 3-line block ×3, first 2 shown]
	v_add3_u32 v9, v9, v11, v12
	v_add_co_u32 v45, vcc_lo, s10, v6
	s_wait_alu 0xfffd
	v_add_co_ci_u32_e64 v46, null, s11, v7, vcc_lo
	v_add_co_u32 v4, vcc_lo, v4, s6
	s_wait_alu 0xfffd
	v_add_co_ci_u32_e64 v5, null, s7, v5, vcc_lo
	v_lshlrev_b64_e32 v[2:3], 1, v[8:9]
	s_add_nc_u64 s[18:19], s[0:1], 64
	s_lshl_b64 s[22:23], s[22:23], 1
	s_delay_alu instid0(VALU_DEP_2)
	v_lshlrev_b64_e32 v[4:5], 1, v[4:5]
	s_add_nc_u64 s[24:25], s[14:15], 0x7f
	s_mov_b64 s[26:27], s[14:15]
	v_add_co_u32 v47, vcc_lo, s8, v2
	s_wait_alu 0xfffd
	v_add_co_ci_u32_e64 v48, null, s9, v3, vcc_lo
	v_add_co_u32 v49, vcc_lo, s10, v2
	s_wait_alu 0xfffd
	v_add_co_ci_u32_e64 v50, null, s11, v3, vcc_lo
	;; [unrolled: 3-line block ×4, first 2 shown]
.LBB195_3:                              ; =>This Inner Loop Header: Depth=1
	v_cmp_ge_i64_e64 s3, s[24:25], s[4:5]
	v_add_co_u32 v56, s16, v21, s24
	s_wait_alu 0xf1ff
	v_add_co_ci_u32_e64 v57, null, 0, s25, s16
                                        ; implicit-def: $vgpr2_vgpr3_vgpr4_vgpr5_vgpr6_vgpr7_vgpr8_vgpr9
                                        ; implicit-def: $vgpr86
                                        ; implicit-def: $vgpr10_vgpr11_vgpr12_vgpr13_vgpr14_vgpr15_vgpr16_vgpr17
                                        ; implicit-def: $vgpr2
	s_and_b32 vcc_lo, exec_lo, s3
	s_mov_b32 s3, -1
	s_wait_alu 0xfffe
	s_cbranch_vccz .LBB195_25
; %bb.4:                                ;   in Loop: Header=BB195_3 Depth=1
	s_load_b32 s3, s[18:19], 0xc
	v_mov_b32_e32 v58, 0
	s_wait_kmcnt 0x0
	s_and_b32 s3, s3, 0xffff
	s_wait_alu 0xfffe
	v_mad_u32_u24 v2, v20, s3, v22
	s_mov_b32 s3, exec_lo
	s_delay_alu instid0(VALU_DEP_1) | instskip(NEXT) | instid1(VALU_DEP_1)
	v_and_b32_e32 v2, 31, v2
	v_cmpx_gt_u32_e32 8, v2
	s_cbranch_execz .LBB195_8
; %bb.5:                                ;   in Loop: Header=BB195_3 Depth=1
	v_add_co_u32 v2, vcc_lo, v56, v2
	s_wait_alu 0xfffd
	v_add_co_ci_u32_e64 v3, null, 0, v57, vcc_lo
	v_mov_b32_e32 v58, 0
	s_delay_alu instid0(VALU_DEP_3) | instskip(SKIP_1) | instid1(VALU_DEP_3)
	v_add_co_u32 v2, vcc_lo, 0xffffff81, v2
	s_wait_alu 0xfffd
	v_add_co_ci_u32_e64 v3, null, -1, v3, vcc_lo
	s_mov_b32 s16, exec_lo
	v_cmpx_gt_i64_e64 s[4:5], v[2:3]
	s_cbranch_execz .LBB195_7
; %bb.6:                                ;   in Loop: Header=BB195_3 Depth=1
	v_lshlrev_b64_e32 v[2:3], 2, v[2:3]
	s_delay_alu instid0(VALU_DEP_1) | instskip(SKIP_1) | instid1(VALU_DEP_2)
	v_add_co_u32 v2, vcc_lo, s12, v2
	s_wait_alu 0xfffd
	v_add_co_ci_u32_e64 v3, null, s13, v3, vcc_lo
	global_load_b32 v58, v[2:3], off
.LBB195_7:                              ;   in Loop: Header=BB195_3 Depth=1
	s_wait_alu 0xfffe
	s_or_b32 exec_lo, exec_lo, s16
.LBB195_8:                              ;   in Loop: Header=BB195_3 Depth=1
	s_wait_alu 0xfffe
	s_or_b32 exec_lo, exec_lo, s3
	v_add_co_u32 v9, vcc_lo, 0xffffff81, v56
	s_wait_alu 0xfffd
	v_add_co_ci_u32_e64 v10, null, -1, v57, vcc_lo
	v_mov_b32_e32 v8, v1
	v_dual_mov_b32 v2, v1 :: v_dual_mov_b32 v3, v1
	v_dual_mov_b32 v4, v1 :: v_dual_mov_b32 v5, v1
	;; [unrolled: 1-line block ×3, first 2 shown]
	v_cmp_gt_i64_e32 vcc_lo, s[4:5], v[9:10]
	s_delay_alu instid0(VALU_DEP_3) | instskip(NEXT) | instid1(VALU_DEP_3)
	v_dual_mov_b32 v17, v8 :: v_dual_mov_b32 v14, v5
	v_dual_mov_b32 v15, v6 :: v_dual_mov_b32 v16, v7
	;; [unrolled: 1-line block ×4, first 2 shown]
	v_mov_b32_e32 v9, v8
	v_mov_b32_e32 v8, v7
	;; [unrolled: 1-line block ×8, first 2 shown]
	s_and_b32 s16, s2, vcc_lo
	s_wait_alu 0xfffe
	s_and_saveexec_b32 s3, s16
	s_cbranch_execz .LBB195_10
; %bb.9:                                ;   in Loop: Header=BB195_3 Depth=1
	v_add_co_u32 v2, vcc_lo, v23, v18
	s_wait_alu 0xfffd
	v_add_co_ci_u32_e64 v3, null, v24, v19, vcc_lo
	v_add_co_u32 v4, vcc_lo, v25, v18
	s_wait_alu 0xfffd
	v_add_co_ci_u32_e64 v5, null, v26, v19, vcc_lo
	global_load_u16 v2, v[2:3], off
	global_load_u16 v10, v[4:5], off
	v_dual_mov_b32 v3, v1 :: v_dual_mov_b32 v4, v1
	v_dual_mov_b32 v5, v1 :: v_dual_mov_b32 v6, v1
	v_dual_mov_b32 v7, v1 :: v_dual_mov_b32 v8, v1
	v_dual_mov_b32 v9, v1 :: v_dual_mov_b32 v12, v1
	v_dual_mov_b32 v11, v1 :: v_dual_mov_b32 v14, v1
	v_dual_mov_b32 v13, v1 :: v_dual_mov_b32 v16, v1
	v_mov_b32_e32 v15, v1
	s_wait_loadcnt 0x1
	v_dual_mov_b32 v17, v1 :: v_dual_lshlrev_b32 v2, 16, v2
	s_wait_loadcnt 0x0
	v_lshlrev_b32_e32 v10, 16, v10
.LBB195_10:                             ;   in Loop: Header=BB195_3 Depth=1
	s_wait_alu 0xfffe
	s_or_b32 exec_lo, exec_lo, s3
	v_add_co_u32 v59, vcc_lo, 0xffffff82, v56
	s_wait_alu 0xfffd
	v_add_co_ci_u32_e64 v60, null, -1, v57, vcc_lo
	s_delay_alu instid0(VALU_DEP_1)
	v_cmp_gt_i64_e32 vcc_lo, s[4:5], v[59:60]
	s_and_b32 s16, s2, vcc_lo
	s_wait_alu 0xfffe
	s_and_saveexec_b32 s3, s16
	s_cbranch_execz .LBB195_12
; %bb.11:                               ;   in Loop: Header=BB195_3 Depth=1
	v_add_co_u32 v59, vcc_lo, v51, v18
	s_wait_alu 0xfffd
	v_add_co_ci_u32_e64 v60, null, v52, v19, vcc_lo
	v_add_co_u32 v61, vcc_lo, v53, v18
	s_wait_alu 0xfffd
	v_add_co_ci_u32_e64 v62, null, v54, v19, vcc_lo
	global_load_u16 v3, v[59:60], off
	global_load_u16 v11, v[61:62], off
	s_wait_loadcnt 0x1
	v_lshlrev_b32_e32 v3, 16, v3
	s_wait_loadcnt 0x0
	v_lshlrev_b32_e32 v11, 16, v11
.LBB195_12:                             ;   in Loop: Header=BB195_3 Depth=1
	s_wait_alu 0xfffe
	s_or_b32 exec_lo, exec_lo, s3
	v_add_co_u32 v59, vcc_lo, 0xffffff83, v56
	s_wait_alu 0xfffd
	v_add_co_ci_u32_e64 v60, null, -1, v57, vcc_lo
	s_delay_alu instid0(VALU_DEP_1)
	v_cmp_gt_i64_e32 vcc_lo, s[4:5], v[59:60]
	s_and_b32 s16, s2, vcc_lo
	s_wait_alu 0xfffe
	s_and_saveexec_b32 s3, s16
	s_cbranch_execz .LBB195_14
; %bb.13:                               ;   in Loop: Header=BB195_3 Depth=1
	v_add_co_u32 v59, vcc_lo, v47, v18
	s_wait_alu 0xfffd
	v_add_co_ci_u32_e64 v60, null, v48, v19, vcc_lo
	v_add_co_u32 v61, vcc_lo, v49, v18
	s_wait_alu 0xfffd
	v_add_co_ci_u32_e64 v62, null, v50, v19, vcc_lo
	global_load_u16 v4, v[59:60], off
	global_load_u16 v12, v[61:62], off
	s_wait_loadcnt 0x1
	v_lshlrev_b32_e32 v4, 16, v4
	s_wait_loadcnt 0x0
	v_lshlrev_b32_e32 v12, 16, v12
.LBB195_14:                             ;   in Loop: Header=BB195_3 Depth=1
	;; [unrolled: 25-line block ×7, first 2 shown]
	s_wait_alu 0xfffe
	s_or_b32 exec_lo, exec_lo, s3
	s_wait_loadcnt 0x0
	ds_bpermute_b32 v59, v1, v58
	ds_bpermute_b32 v60, v1, v58 offset:4
	ds_bpermute_b32 v61, v1, v58 offset:8
	v_dual_mul_f32 v2, v10, v2 :: v_dual_mul_f32 v3, v11, v3
	ds_bpermute_b32 v10, v1, v58 offset:12
	ds_bpermute_b32 v11, v1, v58 offset:16
	v_mul_f32_e32 v6, v14, v6
	s_mov_b32 s3, 0
	s_wait_dscnt 0x4
	v_fma_f32 v86, v2, v59, v55
	v_mul_f32_e32 v2, v12, v4
	ds_bpermute_b32 v4, v1, v58 offset:20
	s_wait_dscnt 0x4
	v_dual_fmac_f32 v86, v3, v60 :: v_dual_mul_f32 v3, v13, v5
	ds_bpermute_b32 v5, v1, v58 offset:24
	s_wait_dscnt 0x4
	v_fmac_f32_e32 v86, v2, v61
	ds_bpermute_b32 v2, v1, v58 offset:28
	s_wait_dscnt 0x4
	v_fmac_f32_e32 v86, v3, v10
	v_mul_f32_e32 v3, v15, v7
	s_wait_dscnt 0x3
	s_delay_alu instid0(VALU_DEP_2) | instskip(SKIP_1) | instid1(VALU_DEP_1)
	v_fmac_f32_e32 v86, v6, v11
	s_wait_dscnt 0x2
	v_fmac_f32_e32 v86, v3, v4
	v_mul_f32_e32 v3, v16, v8
	s_wait_dscnt 0x1
	s_delay_alu instid0(VALU_DEP_1)
	v_fmac_f32_e32 v86, v3, v5
.LBB195_25:                             ;   in Loop: Header=BB195_3 Depth=1
	s_wait_alu 0xfffe
	s_and_b32 vcc_lo, exec_lo, s3
	s_wait_alu 0xfffe
	s_cbranch_vccz .LBB195_40
; %bb.26:                               ;   in Loop: Header=BB195_3 Depth=1
	s_load_b32 s3, s[18:19], 0x0
	v_mov_b32_e32 v58, 0
	s_wait_kmcnt 0x0
	s_cmp_lt_u32 ttmp9, s3
	s_cselect_b32 s16, 12, 18
	s_wait_alu 0xfffe
	s_add_nc_u64 s[30:31], s[18:19], s[16:17]
	s_load_u16 s3, s[30:31], 0x0
	s_wait_dscnt 0x0
	s_wait_kmcnt 0x0
	v_mad_u32_u24 v2, v20, s3, v22
	s_mov_b32 s3, exec_lo
	s_delay_alu instid0(VALU_DEP_1) | instskip(NEXT) | instid1(VALU_DEP_1)
	v_and_b32_e32 v2, 31, v2
	v_cmpx_gt_u32_e32 8, v2
	s_cbranch_execz .LBB195_30
; %bb.27:                               ;   in Loop: Header=BB195_3 Depth=1
	v_add_co_u32 v2, vcc_lo, v56, v2
	s_wait_alu 0xfffd
	v_add_co_ci_u32_e64 v3, null, 0, v57, vcc_lo
	v_mov_b32_e32 v58, 0
	s_delay_alu instid0(VALU_DEP_3) | instskip(SKIP_1) | instid1(VALU_DEP_3)
	v_add_co_u32 v2, vcc_lo, 0xffffff81, v2
	s_wait_alu 0xfffd
	v_add_co_ci_u32_e64 v3, null, -1, v3, vcc_lo
	s_mov_b32 s16, exec_lo
	v_cmpx_gt_i64_e64 s[4:5], v[2:3]
	s_cbranch_execz .LBB195_29
; %bb.28:                               ;   in Loop: Header=BB195_3 Depth=1
	v_lshlrev_b64_e32 v[2:3], 2, v[2:3]
	s_delay_alu instid0(VALU_DEP_1) | instskip(SKIP_1) | instid1(VALU_DEP_2)
	v_add_co_u32 v2, vcc_lo, s12, v2
	s_wait_alu 0xfffd
	v_add_co_ci_u32_e64 v3, null, s13, v3, vcc_lo
	global_load_b32 v58, v[2:3], off
.LBB195_29:                             ;   in Loop: Header=BB195_3 Depth=1
	s_wait_alu 0xfffe
	s_or_b32 exec_lo, exec_lo, s16
.LBB195_30:                             ;   in Loop: Header=BB195_3 Depth=1
	s_wait_alu 0xfffe
	s_or_b32 exec_lo, exec_lo, s3
	v_mov_b32_e32 v8, v1
	v_dual_mov_b32 v2, v1 :: v_dual_mov_b32 v3, v1
	v_dual_mov_b32 v4, v1 :: v_dual_mov_b32 v5, v1
	;; [unrolled: 1-line block ×3, first 2 shown]
	s_delay_alu instid0(VALU_DEP_4) | instskip(NEXT) | instid1(VALU_DEP_3)
	v_mov_b32_e32 v17, v8
	v_dual_mov_b32 v13, v4 :: v_dual_mov_b32 v12, v3
	s_delay_alu instid0(VALU_DEP_3) | instskip(NEXT) | instid1(VALU_DEP_4)
	v_dual_mov_b32 v15, v6 :: v_dual_mov_b32 v14, v5
	v_dual_mov_b32 v16, v7 :: v_dual_mov_b32 v11, v2
	;; [unrolled: 1-line block ×3, first 2 shown]
	v_mov_b32_e32 v8, v7
	v_mov_b32_e32 v7, v6
	;; [unrolled: 1-line block ×7, first 2 shown]
	s_and_saveexec_b32 s3, s2
	s_cbranch_execnz .LBB195_42
; %bb.31:                               ;   in Loop: Header=BB195_3 Depth=1
	s_wait_alu 0xfffe
	s_or_b32 exec_lo, exec_lo, s3
	s_and_saveexec_b32 s3, s2
	s_cbranch_execnz .LBB195_43
.LBB195_32:                             ;   in Loop: Header=BB195_3 Depth=1
	s_wait_alu 0xfffe
	s_or_b32 exec_lo, exec_lo, s3
	s_and_saveexec_b32 s3, s2
	s_cbranch_execnz .LBB195_44
.LBB195_33:                             ;   in Loop: Header=BB195_3 Depth=1
	s_wait_alu 0xfffe
	s_or_b32 exec_lo, exec_lo, s3
	s_and_saveexec_b32 s3, s2
	s_cbranch_execnz .LBB195_45
.LBB195_34:                             ;   in Loop: Header=BB195_3 Depth=1
	s_wait_alu 0xfffe
	s_or_b32 exec_lo, exec_lo, s3
	s_and_saveexec_b32 s3, s2
	s_cbranch_execnz .LBB195_46
.LBB195_35:                             ;   in Loop: Header=BB195_3 Depth=1
	s_wait_alu 0xfffe
	s_or_b32 exec_lo, exec_lo, s3
	s_and_saveexec_b32 s3, s2
	s_cbranch_execnz .LBB195_47
.LBB195_36:                             ;   in Loop: Header=BB195_3 Depth=1
	s_wait_alu 0xfffe
	s_or_b32 exec_lo, exec_lo, s3
	s_and_saveexec_b32 s3, s2
	s_cbranch_execnz .LBB195_48
.LBB195_37:                             ;   in Loop: Header=BB195_3 Depth=1
	s_wait_alu 0xfffe
	s_or_b32 exec_lo, exec_lo, s3
	s_and_saveexec_b32 s3, s2
	s_cbranch_execz .LBB195_39
.LBB195_38:                             ;   in Loop: Header=BB195_3 Depth=1
	v_add_co_u32 v56, vcc_lo, v27, v18
	s_wait_alu 0xfffd
	v_add_co_ci_u32_e64 v57, null, v28, v19, vcc_lo
	v_add_co_u32 v59, vcc_lo, v29, v18
	s_wait_alu 0xfffd
	v_add_co_ci_u32_e64 v60, null, v30, v19, vcc_lo
	global_load_u16 v9, v[56:57], off
	global_load_u16 v17, v[59:60], off
	s_wait_loadcnt 0x1
	v_lshlrev_b32_e32 v9, 16, v9
	s_wait_loadcnt 0x0
	v_lshlrev_b32_e32 v17, 16, v17
.LBB195_39:                             ;   in Loop: Header=BB195_3 Depth=1
	s_wait_alu 0xfffe
	s_or_b32 exec_lo, exec_lo, s3
	s_wait_loadcnt 0x0
	ds_bpermute_b32 v56, v1, v58
	ds_bpermute_b32 v57, v1, v58 offset:4
	ds_bpermute_b32 v59, v1, v58 offset:8
	v_dual_mul_f32 v2, v10, v2 :: v_dual_mul_f32 v3, v11, v3
	ds_bpermute_b32 v10, v1, v58 offset:12
	ds_bpermute_b32 v11, v1, v58 offset:16
	s_wait_dscnt 0x4
	v_fmac_f32_e32 v55, v2, v56
	v_mul_f32_e32 v2, v12, v4
	ds_bpermute_b32 v4, v1, v58 offset:20
	s_wait_dscnt 0x4
	v_fmac_f32_e32 v55, v3, v57
	v_mul_f32_e32 v3, v13, v5
	;; [unrolled: 4-line block ×3, first 2 shown]
	s_wait_dscnt 0x3
	s_delay_alu instid0(VALU_DEP_2) | instskip(SKIP_2) | instid1(VALU_DEP_2)
	v_fmac_f32_e32 v55, v3, v10
	v_mul_f32_e32 v3, v15, v7
	s_wait_dscnt 0x2
	v_fmac_f32_e32 v55, v2, v11
	ds_bpermute_b32 v2, v1, v58 offset:28
	s_wait_dscnt 0x2
	v_fmac_f32_e32 v55, v3, v4
	v_mul_f32_e32 v3, v16, v8
	s_wait_dscnt 0x1
	s_delay_alu instid0(VALU_DEP_1) | instskip(NEXT) | instid1(VALU_DEP_1)
	v_fmac_f32_e32 v55, v3, v5
	v_mov_b32_e32 v86, v55
.LBB195_40:                             ;   in Loop: Header=BB195_3 Depth=1
	v_add_co_u32 v23, vcc_lo, v23, s22
	s_wait_alu 0xfffd
	v_add_co_ci_u32_e64 v24, null, s23, v24, vcc_lo
	v_add_co_u32 v25, vcc_lo, v25, s22
	s_wait_alu 0xfffd
	v_add_co_ci_u32_e64 v26, null, s23, v26, vcc_lo
	;; [unrolled: 3-line block ×13, first 2 shown]
	v_add_co_u32 v49, vcc_lo, v49, s22
	v_mul_f32_e32 v3, v9, v17
	s_add_nc_u64 s[26:27], s[26:27], s[20:21]
	s_wait_alu 0xfffd
	v_add_co_ci_u32_e64 v50, null, s23, v50, vcc_lo
	v_add_co_u32 v51, vcc_lo, v51, s22
	s_wait_alu 0xfffe
	v_cmp_lt_i64_e64 s3, s[26:27], s[4:5]
	s_wait_alu 0xfffd
	v_add_co_ci_u32_e64 v52, null, s23, v52, vcc_lo
	v_add_co_u32 v53, vcc_lo, v53, s22
	s_wait_dscnt 0x0
	v_fmac_f32_e32 v86, v3, v2
	s_wait_alu 0xfffd
	v_add_co_ci_u32_e64 v54, null, s23, v54, vcc_lo
	s_and_b32 vcc_lo, exec_lo, s3
	s_add_nc_u64 s[24:25], s[24:25], s[20:21]
	s_wait_alu 0xfffe
	s_cbranch_vccz .LBB195_50
; %bb.41:                               ;   in Loop: Header=BB195_3 Depth=1
	v_mov_b32_e32 v55, v86
	s_branch .LBB195_3
.LBB195_42:                             ;   in Loop: Header=BB195_3 Depth=1
	v_add_co_u32 v2, vcc_lo, v23, v18
	s_wait_alu 0xfffd
	v_add_co_ci_u32_e64 v3, null, v24, v19, vcc_lo
	v_add_co_u32 v4, vcc_lo, v25, v18
	s_wait_alu 0xfffd
	v_add_co_ci_u32_e64 v5, null, v26, v19, vcc_lo
	global_load_u16 v2, v[2:3], off
	global_load_u16 v10, v[4:5], off
	v_dual_mov_b32 v3, v1 :: v_dual_mov_b32 v4, v1
	v_dual_mov_b32 v5, v1 :: v_dual_mov_b32 v6, v1
	;; [unrolled: 1-line block ×6, first 2 shown]
	v_mov_b32_e32 v15, v1
	s_wait_loadcnt 0x1
	v_dual_mov_b32 v17, v1 :: v_dual_lshlrev_b32 v2, 16, v2
	s_wait_loadcnt 0x0
	v_lshlrev_b32_e32 v10, 16, v10
	s_wait_alu 0xfffe
	s_or_b32 exec_lo, exec_lo, s3
	s_and_saveexec_b32 s3, s2
	s_cbranch_execz .LBB195_32
.LBB195_43:                             ;   in Loop: Header=BB195_3 Depth=1
	v_add_co_u32 v56, vcc_lo, v51, v18
	s_wait_alu 0xfffd
	v_add_co_ci_u32_e64 v57, null, v52, v19, vcc_lo
	v_add_co_u32 v59, vcc_lo, v53, v18
	s_wait_alu 0xfffd
	v_add_co_ci_u32_e64 v60, null, v54, v19, vcc_lo
	global_load_u16 v3, v[56:57], off
	global_load_u16 v11, v[59:60], off
	s_wait_loadcnt 0x1
	v_lshlrev_b32_e32 v3, 16, v3
	s_wait_loadcnt 0x0
	v_lshlrev_b32_e32 v11, 16, v11
	s_wait_alu 0xfffe
	s_or_b32 exec_lo, exec_lo, s3
	s_and_saveexec_b32 s3, s2
	s_cbranch_execz .LBB195_33
.LBB195_44:                             ;   in Loop: Header=BB195_3 Depth=1
	v_add_co_u32 v56, vcc_lo, v47, v18
	s_wait_alu 0xfffd
	v_add_co_ci_u32_e64 v57, null, v48, v19, vcc_lo
	v_add_co_u32 v59, vcc_lo, v49, v18
	s_wait_alu 0xfffd
	v_add_co_ci_u32_e64 v60, null, v50, v19, vcc_lo
	global_load_u16 v4, v[56:57], off
	global_load_u16 v12, v[59:60], off
	s_wait_loadcnt 0x1
	v_lshlrev_b32_e32 v4, 16, v4
	s_wait_loadcnt 0x0
	v_lshlrev_b32_e32 v12, 16, v12
	s_wait_alu 0xfffe
	s_or_b32 exec_lo, exec_lo, s3
	s_and_saveexec_b32 s3, s2
	s_cbranch_execz .LBB195_34
.LBB195_45:                             ;   in Loop: Header=BB195_3 Depth=1
	v_add_co_u32 v56, vcc_lo, v43, v18
	s_wait_alu 0xfffd
	v_add_co_ci_u32_e64 v57, null, v44, v19, vcc_lo
	v_add_co_u32 v59, vcc_lo, v45, v18
	s_wait_alu 0xfffd
	v_add_co_ci_u32_e64 v60, null, v46, v19, vcc_lo
	global_load_u16 v5, v[56:57], off
	global_load_u16 v13, v[59:60], off
	s_wait_loadcnt 0x1
	v_lshlrev_b32_e32 v5, 16, v5
	s_wait_loadcnt 0x0
	v_lshlrev_b32_e32 v13, 16, v13
	s_wait_alu 0xfffe
	s_or_b32 exec_lo, exec_lo, s3
	s_and_saveexec_b32 s3, s2
	s_cbranch_execz .LBB195_35
.LBB195_46:                             ;   in Loop: Header=BB195_3 Depth=1
	v_add_co_u32 v56, vcc_lo, v39, v18
	s_wait_alu 0xfffd
	v_add_co_ci_u32_e64 v57, null, v40, v19, vcc_lo
	v_add_co_u32 v59, vcc_lo, v41, v18
	s_wait_alu 0xfffd
	v_add_co_ci_u32_e64 v60, null, v42, v19, vcc_lo
	global_load_u16 v6, v[56:57], off
	global_load_u16 v14, v[59:60], off
	s_wait_loadcnt 0x1
	v_lshlrev_b32_e32 v6, 16, v6
	s_wait_loadcnt 0x0
	v_lshlrev_b32_e32 v14, 16, v14
	s_wait_alu 0xfffe
	s_or_b32 exec_lo, exec_lo, s3
	s_and_saveexec_b32 s3, s2
	s_cbranch_execz .LBB195_36
.LBB195_47:                             ;   in Loop: Header=BB195_3 Depth=1
	v_add_co_u32 v56, vcc_lo, v35, v18
	s_wait_alu 0xfffd
	v_add_co_ci_u32_e64 v57, null, v36, v19, vcc_lo
	v_add_co_u32 v59, vcc_lo, v37, v18
	s_wait_alu 0xfffd
	v_add_co_ci_u32_e64 v60, null, v38, v19, vcc_lo
	global_load_u16 v7, v[56:57], off
	global_load_u16 v15, v[59:60], off
	s_wait_loadcnt 0x1
	v_lshlrev_b32_e32 v7, 16, v7
	s_wait_loadcnt 0x0
	v_lshlrev_b32_e32 v15, 16, v15
	s_wait_alu 0xfffe
	s_or_b32 exec_lo, exec_lo, s3
	s_and_saveexec_b32 s3, s2
	s_cbranch_execz .LBB195_37
.LBB195_48:                             ;   in Loop: Header=BB195_3 Depth=1
	v_add_co_u32 v56, vcc_lo, v31, v18
	s_wait_alu 0xfffd
	v_add_co_ci_u32_e64 v57, null, v32, v19, vcc_lo
	v_add_co_u32 v59, vcc_lo, v33, v18
	s_wait_alu 0xfffd
	v_add_co_ci_u32_e64 v60, null, v34, v19, vcc_lo
	global_load_u16 v8, v[56:57], off
	global_load_u16 v16, v[59:60], off
	s_wait_loadcnt 0x1
	v_lshlrev_b32_e32 v8, 16, v8
	s_wait_loadcnt 0x0
	v_lshlrev_b32_e32 v16, 16, v16
	s_wait_alu 0xfffe
	s_or_b32 exec_lo, exec_lo, s3
	s_and_saveexec_b32 s3, s2
	s_cbranch_execnz .LBB195_38
	s_branch .LBB195_39
.LBB195_49:
                                        ; implicit-def: $vgpr86
	s_branch .LBB195_51
.LBB195_50:
	s_cbranch_execnz .LBB195_83
.LBB195_51:
	v_mov_b32_e32 v86, 0
	s_and_not1_b32 vcc_lo, exec_lo, s29
	s_wait_alu 0xfffe
	s_cbranch_vccnz .LBB195_83
; %bb.52:
	v_bfe_u32 v48, v0, 10, 10
	v_dual_mov_b32 v1, 0 :: v_dual_and_b32 v50, 0x3ff, v0
	s_lshl_b64 s[18:19], s[14:15], 1
	s_mov_b32 s3, 0
	s_delay_alu instid0(VALU_DEP_2) | instskip(SKIP_2) | instid1(VALU_DEP_3)
	v_lshlrev_b32_e32 v49, 3, v48
	v_dual_mov_b32 v83, 0 :: v_dual_lshlrev_b32 v8, 4, v48
	v_dual_mov_b32 v5, v1 :: v_dual_add_nc_u32 v4, s28, v50
	v_add_co_u32 v10, s2, v49, s14
	s_wait_alu 0xf1ff
	v_add_co_ci_u32_e64 v11, null, 0, 0, s2
	s_delay_alu instid0(VALU_DEP_3) | instskip(NEXT) | instid1(VALU_DEP_3)
	v_lshlrev_b64_e32 v[18:19], 1, v[4:5]
	v_mul_lo_u32 v6, s7, v10
	v_mad_co_u64_u32 v[2:3], null, s6, v10, 0
	s_delay_alu instid0(VALU_DEP_4) | instskip(SKIP_2) | instid1(VALU_DEP_1)
	v_mul_lo_u32 v7, s6, v11
	s_load_b32 s2, s[0:1], 0x44
	s_mov_b32 s17, s3
	v_add3_u32 v3, v3, v7, v6
	v_add_co_u32 v6, s16, v8, s18
	s_wait_alu 0xf1ff
	v_add_co_ci_u32_e64 v7, null, 0, s19, s16
	s_delay_alu instid0(VALU_DEP_3) | instskip(NEXT) | instid1(VALU_DEP_3)
	v_lshlrev_b64_e32 v[4:5], 1, v[2:3]
	v_add_co_u32 v8, vcc_lo, v6, 2
	s_wait_alu 0xfffd
	s_delay_alu instid0(VALU_DEP_3) | instskip(NEXT) | instid1(VALU_DEP_3)
	v_add_co_ci_u32_e64 v9, null, 0, v7, vcc_lo
	v_add_co_u32 v51, vcc_lo, s8, v4
	s_wait_alu 0xfffd
	v_add_co_ci_u32_e64 v52, null, s9, v5, vcc_lo
	v_add_co_u32 v53, vcc_lo, s10, v4
	s_wait_alu 0xfffd
	;; [unrolled: 3-line block ×5, first 2 shown]
	v_add_co_ci_u32_e64 v28, null, 0, v7, vcc_lo
	v_add_co_u32 v42, vcc_lo, v6, 10
	v_mad_co_u64_u32 v[22:23], null, s6, v4, s[8:9]
	v_mul_lo_u32 v5, s6, v5
	v_mul_lo_u32 v15, s7, v4
	v_mad_co_u64_u32 v[36:37], null, s6, v4, s[10:11]
	s_wait_alu 0xfffd
	v_add_co_ci_u32_e64 v30, null, 0, v7, vcc_lo
	v_add_co_u32 v44, vcc_lo, v6, 12
	s_wait_alu 0xfffd
	v_add_co_ci_u32_e64 v32, null, 0, v7, vcc_lo
	v_add_co_u32 v6, vcc_lo, v6, 14
	v_mad_co_u64_u32 v[20:21], null, s6, v8, s[8:9]
	v_mul_lo_u32 v9, s6, v9
	v_mul_lo_u32 v12, s7, v8
	v_mad_co_u64_u32 v[34:35], null, s6, v8, s[10:11]
	s_wait_alu 0xfffd
	v_add_co_ci_u32_e64 v7, null, 0, v7, vcc_lo
	v_add_co_u32 v4, vcc_lo, v10, 7
	v_add3_u32 v23, v15, v23, v5
	v_add3_u32 v37, v15, v37, v5
	s_wait_alu 0xfffd
	v_add_co_ci_u32_e64 v5, null, 0, v11, vcc_lo
	v_mul_lo_u32 v61, s6, v7
	v_add_co_u32 v7, vcc_lo, v10, 6
	v_add3_u32 v21, v12, v21, v9
	v_add3_u32 v35, v12, v35, v9
	s_wait_alu 0xfffd
	v_add_co_ci_u32_e64 v12, null, 0, v11, vcc_lo
	v_mul_lo_u32 v8, s7, v4
	v_mul_lo_u32 v9, s6, v5
	v_mad_co_u64_u32 v[4:5], null, s6, v4, 0
	v_mad_co_u64_u32 v[24:25], null, s6, v13, s[8:9]
	v_mul_lo_u32 v17, s7, v13
	v_mul_lo_u32 v59, s6, v32
	v_mad_co_u64_u32 v[32:33], null, s6, v6, s[8:9]
	v_mul_lo_u32 v62, s7, v6
	v_mad_co_u64_u32 v[38:39], null, s6, v13, s[10:11]
	v_mad_co_u64_u32 v[46:47], null, s6, v6, s[10:11]
	v_mul_lo_u32 v13, s7, v7
	v_mul_lo_u32 v12, s6, v12
	v_mad_co_u64_u32 v[6:7], null, s6, v7, 0
	v_add3_u32 v5, v5, v9, v8
	v_add_co_u32 v8, vcc_lo, v10, 5
	v_mad_co_u64_u32 v[26:27], null, s6, v16, s[8:9]
	v_mul_lo_u32 v55, s6, v28
	v_mul_lo_u32 v56, s7, v16
	v_mad_co_u64_u32 v[40:41], null, s6, v16, s[10:11]
	s_wait_alu 0xfffd
	v_add_co_ci_u32_e64 v9, null, 0, v11, vcc_lo
	v_add3_u32 v7, v7, v12, v13
	v_mad_co_u64_u32 v[28:29], null, s6, v42, s[8:9]
	v_mul_lo_u32 v57, s6, v30
	v_mul_lo_u32 v58, s7, v42
	v_mad_co_u64_u32 v[42:43], null, s6, v42, s[10:11]
	v_lshlrev_b64_e32 v[4:5], 1, v[4:5]
	v_mad_co_u64_u32 v[30:31], null, s6, v44, s[8:9]
	v_mul_lo_u32 v60, s7, v44
	v_mad_co_u64_u32 v[44:45], null, s6, v44, s[10:11]
	v_mul_lo_u32 v12, s7, v8
	v_mul_lo_u32 v13, s6, v9
	v_mad_co_u64_u32 v[8:9], null, s6, v8, 0
	v_lshlrev_b64_e32 v[6:7], 1, v[6:7]
	v_add3_u32 v27, v56, v27, v55
	v_add3_u32 v41, v56, v41, v55
	v_add_co_u32 v55, vcc_lo, s8, v4
	v_add3_u32 v29, v58, v29, v57
	v_add3_u32 v43, v58, v43, v57
	s_wait_alu 0xfffd
	v_add_co_ci_u32_e64 v56, null, s9, v5, vcc_lo
	v_add_co_u32 v57, vcc_lo, s10, v4
	v_add3_u32 v31, v60, v31, v59
	v_add3_u32 v45, v60, v45, v59
	s_wait_alu 0xfffd
	v_add_co_ci_u32_e64 v58, null, s11, v5, vcc_lo
	v_add_co_u32 v59, vcc_lo, s8, v6
	v_mul_lo_u32 v14, s6, v14
	v_add3_u32 v9, v9, v13, v12
	s_wait_alu 0xfffd
	v_add_co_ci_u32_e64 v60, null, s9, v7, vcc_lo
	v_add_co_u32 v12, vcc_lo, v10, 4
	s_wait_kmcnt 0x0
	s_lshl_b32 s16, s2, 7
	v_add3_u32 v33, v62, v33, v61
	v_add3_u32 v47, v62, v47, v61
	v_add_co_u32 v61, s2, s10, v6
	s_wait_alu 0xfffd
	v_add_co_ci_u32_e64 v6, null, 0, v11, vcc_lo
	v_lshlrev_b64_e32 v[4:5], 1, v[8:9]
	v_add_co_u32 v8, vcc_lo, v10, 3
	s_wait_alu 0xfffd
	v_add_co_ci_u32_e64 v9, null, 0, v11, vcc_lo
	v_add3_u32 v25, v17, v25, v14
	v_add3_u32 v39, v17, v39, v14
	s_wait_alu 0xf1ff
	v_add_co_ci_u32_e64 v62, null, s11, v7, s2
	v_mul_lo_u32 v13, s7, v12
	v_mul_lo_u32 v14, s6, v6
	v_mad_co_u64_u32 v[6:7], null, s6, v12, 0
	v_mul_lo_u32 v12, s7, v8
	v_mul_lo_u32 v15, s6, v9
	v_mad_co_u64_u32 v[8:9], null, s6, v8, 0
	v_add_co_u32 v63, vcc_lo, s8, v4
	s_wait_alu 0xfffd
	v_add_co_ci_u32_e64 v64, null, s9, v5, vcc_lo
	v_add3_u32 v7, v7, v14, v13
	v_add_co_u32 v65, vcc_lo, s10, v4
	s_wait_alu 0xfffd
	v_add_co_ci_u32_e64 v66, null, s11, v5, vcc_lo
	v_add_co_u32 v10, vcc_lo, v10, 2
	v_add3_u32 v9, v9, v15, v12
	s_wait_alu 0xfffd
	v_add_co_ci_u32_e64 v11, null, 0, v11, vcc_lo
	v_lshlrev_b64_e32 v[4:5], 1, v[6:7]
	v_mul_lo_u32 v12, s7, v10
	v_lshlrev_b64_e32 v[6:7], 1, v[8:9]
	s_delay_alu instid0(VALU_DEP_4)
	v_mul_lo_u32 v11, s6, v11
	v_mad_co_u64_u32 v[8:9], null, s6, v10, 0
	v_add_co_u32 v67, vcc_lo, s8, v4
	s_wait_alu 0xfffd
	v_add_co_ci_u32_e64 v68, null, s9, v5, vcc_lo
	v_add_co_u32 v69, vcc_lo, s10, v4
	s_wait_alu 0xfffd
	v_add_co_ci_u32_e64 v70, null, s11, v5, vcc_lo
	;; [unrolled: 3-line block ×3, first 2 shown]
	v_add3_u32 v9, v9, v11, v12
	v_add_co_u32 v73, vcc_lo, s10, v6
	s_wait_alu 0xfffd
	v_add_co_ci_u32_e64 v74, null, s11, v7, vcc_lo
	v_add_co_u32 v2, vcc_lo, v2, s6
	s_wait_alu 0xfffd
	v_add_co_ci_u32_e64 v3, null, s7, v3, vcc_lo
	v_lshlrev_b64_e32 v[4:5], 1, v[8:9]
	s_wait_alu 0xfffe
	s_mul_u64 s[18:19], s[6:7], s[16:17]
	s_delay_alu instid0(VALU_DEP_2) | instskip(NEXT) | instid1(VALU_DEP_2)
	v_lshlrev_b64_e32 v[2:3], 1, v[2:3]
	v_add_co_u32 v75, vcc_lo, s8, v4
	s_wait_alu 0xfffd
	v_add_co_ci_u32_e64 v76, null, s9, v5, vcc_lo
	v_add_co_u32 v77, vcc_lo, s10, v4
	s_wait_alu 0xfffd
	v_add_co_ci_u32_e64 v78, null, s11, v5, vcc_lo
	;; [unrolled: 3-line block ×4, first 2 shown]
	s_add_nc_u64 s[8:9], s[0:1], 64
	s_wait_alu 0xfffe
	s_lshl_b64 s[10:11], s[18:19], 1
	s_add_nc_u64 s[18:19], s[14:15], 0x7f
.LBB195_53:                             ; =>This Inner Loop Header: Depth=1
	s_wait_alu 0xfffe
	v_cmp_ge_i64_e64 s2, s[18:19], s[4:5]
	v_add_co_u32 v84, s20, v49, s18
	s_wait_alu 0xf1ff
	v_add_co_ci_u32_e64 v85, null, 0, s19, s20
                                        ; implicit-def: $vgpr86
	s_and_b32 vcc_lo, exec_lo, s2
	s_mov_b32 s2, -1
	s_wait_alu 0xfffe
	s_cbranch_vccz .LBB195_75
; %bb.54:                               ;   in Loop: Header=BB195_53 Depth=1
	s_load_b32 s2, s[8:9], 0xc
	v_mov_b32_e32 v87, 0
	s_wait_kmcnt 0x0
	s_and_b32 s2, s2, 0xffff
	s_wait_alu 0xfffe
	v_mad_u32_u24 v2, v48, s2, v50
	s_mov_b32 s2, exec_lo
	s_delay_alu instid0(VALU_DEP_1) | instskip(NEXT) | instid1(VALU_DEP_1)
	v_and_b32_e32 v2, 31, v2
	v_cmpx_gt_u32_e32 8, v2
	s_cbranch_execz .LBB195_58
; %bb.55:                               ;   in Loop: Header=BB195_53 Depth=1
	v_add_co_u32 v2, vcc_lo, v84, v2
	s_wait_alu 0xfffd
	v_add_co_ci_u32_e64 v3, null, 0, v85, vcc_lo
	v_mov_b32_e32 v87, 0
	s_delay_alu instid0(VALU_DEP_3) | instskip(SKIP_1) | instid1(VALU_DEP_3)
	v_add_co_u32 v2, vcc_lo, 0xffffff81, v2
	s_wait_alu 0xfffd
	v_add_co_ci_u32_e64 v3, null, -1, v3, vcc_lo
	s_mov_b32 s20, exec_lo
	v_cmpx_gt_i64_e64 s[4:5], v[2:3]
	s_cbranch_execz .LBB195_57
; %bb.56:                               ;   in Loop: Header=BB195_53 Depth=1
	v_lshlrev_b64_e32 v[2:3], 2, v[2:3]
	s_delay_alu instid0(VALU_DEP_1) | instskip(SKIP_1) | instid1(VALU_DEP_2)
	v_add_co_u32 v2, vcc_lo, s12, v2
	s_wait_alu 0xfffd
	v_add_co_ci_u32_e64 v3, null, s13, v3, vcc_lo
	global_load_b32 v87, v[2:3], off
.LBB195_57:                             ;   in Loop: Header=BB195_53 Depth=1
	s_wait_alu 0xfffe
	s_or_b32 exec_lo, exec_lo, s20
.LBB195_58:                             ;   in Loop: Header=BB195_53 Depth=1
	s_wait_alu 0xfffe
	s_or_b32 exec_lo, exec_lo, s2
	v_add_co_u32 v9, vcc_lo, 0xffffff81, v84
	s_wait_alu 0xfffd
	v_add_co_ci_u32_e64 v10, null, -1, v85, vcc_lo
	v_mov_b32_e32 v8, v1
	v_dual_mov_b32 v2, v1 :: v_dual_mov_b32 v3, v1
	v_dual_mov_b32 v4, v1 :: v_dual_mov_b32 v5, v1
	;; [unrolled: 1-line block ×3, first 2 shown]
	v_cmp_gt_i64_e32 vcc_lo, s[4:5], v[9:10]
	s_delay_alu instid0(VALU_DEP_3) | instskip(NEXT) | instid1(VALU_DEP_3)
	v_dual_mov_b32 v17, v8 :: v_dual_mov_b32 v14, v5
	v_dual_mov_b32 v15, v6 :: v_dual_mov_b32 v16, v7
	;; [unrolled: 1-line block ×4, first 2 shown]
	v_mov_b32_e32 v9, v8
	v_mov_b32_e32 v8, v7
	;; [unrolled: 1-line block ×8, first 2 shown]
	s_and_saveexec_b32 s2, vcc_lo
	s_cbranch_execz .LBB195_60
; %bb.59:                               ;   in Loop: Header=BB195_53 Depth=1
	v_add_co_u32 v2, vcc_lo, v51, v18
	s_wait_alu 0xfffd
	v_add_co_ci_u32_e64 v3, null, v52, v19, vcc_lo
	v_add_co_u32 v4, vcc_lo, v53, v18
	s_wait_alu 0xfffd
	v_add_co_ci_u32_e64 v5, null, v54, v19, vcc_lo
	global_load_u16 v2, v[2:3], off
	global_load_u16 v10, v[4:5], off
	v_dual_mov_b32 v3, v1 :: v_dual_mov_b32 v4, v1
	v_dual_mov_b32 v5, v1 :: v_dual_mov_b32 v6, v1
	;; [unrolled: 1-line block ×6, first 2 shown]
	v_mov_b32_e32 v15, v1
	s_wait_loadcnt 0x1
	v_dual_mov_b32 v17, v1 :: v_dual_lshlrev_b32 v2, 16, v2
	s_wait_loadcnt 0x0
	v_lshlrev_b32_e32 v10, 16, v10
.LBB195_60:                             ;   in Loop: Header=BB195_53 Depth=1
	s_wait_alu 0xfffe
	s_or_b32 exec_lo, exec_lo, s2
	v_add_co_u32 v88, vcc_lo, 0xffffff82, v84
	s_wait_alu 0xfffd
	v_add_co_ci_u32_e64 v89, null, -1, v85, vcc_lo
	s_mov_b32 s2, exec_lo
	v_cmpx_gt_i64_e64 s[4:5], v[88:89]
	s_cbranch_execz .LBB195_62
; %bb.61:                               ;   in Loop: Header=BB195_53 Depth=1
	v_add_co_u32 v88, vcc_lo, v79, v18
	s_wait_alu 0xfffd
	v_add_co_ci_u32_e64 v89, null, v80, v19, vcc_lo
	v_add_co_u32 v90, vcc_lo, v81, v18
	s_wait_alu 0xfffd
	v_add_co_ci_u32_e64 v91, null, v82, v19, vcc_lo
	global_load_u16 v3, v[88:89], off
	global_load_u16 v11, v[90:91], off
	s_wait_loadcnt 0x1
	v_lshlrev_b32_e32 v3, 16, v3
	s_wait_loadcnt 0x0
	v_lshlrev_b32_e32 v11, 16, v11
.LBB195_62:                             ;   in Loop: Header=BB195_53 Depth=1
	s_wait_alu 0xfffe
	s_or_b32 exec_lo, exec_lo, s2
	v_add_co_u32 v88, vcc_lo, 0xffffff83, v84
	s_wait_alu 0xfffd
	v_add_co_ci_u32_e64 v89, null, -1, v85, vcc_lo
	s_mov_b32 s2, exec_lo
	v_cmpx_gt_i64_e64 s[4:5], v[88:89]
	s_cbranch_execz .LBB195_64
; %bb.63:                               ;   in Loop: Header=BB195_53 Depth=1
	v_add_co_u32 v88, vcc_lo, v75, v18
	s_wait_alu 0xfffd
	v_add_co_ci_u32_e64 v89, null, v76, v19, vcc_lo
	v_add_co_u32 v90, vcc_lo, v77, v18
	s_wait_alu 0xfffd
	v_add_co_ci_u32_e64 v91, null, v78, v19, vcc_lo
	global_load_u16 v4, v[88:89], off
	global_load_u16 v12, v[90:91], off
	s_wait_loadcnt 0x1
	v_lshlrev_b32_e32 v4, 16, v4
	s_wait_loadcnt 0x0
	v_lshlrev_b32_e32 v12, 16, v12
.LBB195_64:                             ;   in Loop: Header=BB195_53 Depth=1
	;; [unrolled: 22-line block ×7, first 2 shown]
	s_wait_alu 0xfffe
	s_or_b32 exec_lo, exec_lo, s2
	s_wait_loadcnt 0x0
	ds_bpermute_b32 v86, v1, v87
	ds_bpermute_b32 v88, v1, v87 offset:4
	ds_bpermute_b32 v89, v1, v87 offset:8
	v_dual_mul_f32 v2, v10, v2 :: v_dual_mul_f32 v3, v11, v3
	ds_bpermute_b32 v10, v1, v87 offset:12
	ds_bpermute_b32 v11, v1, v87 offset:16
	s_mov_b32 s2, 0
	s_wait_dscnt 0x4
	v_fma_f32 v86, v2, v86, v83
	v_mul_f32_e32 v2, v12, v4
	ds_bpermute_b32 v4, v1, v87 offset:20
	s_wait_dscnt 0x4
	v_dual_fmac_f32 v86, v3, v88 :: v_dual_mul_f32 v3, v13, v5
	ds_bpermute_b32 v5, v1, v87 offset:24
	s_wait_dscnt 0x4
	v_fmac_f32_e32 v86, v2, v89
	v_mul_f32_e32 v2, v14, v6
	v_mul_f32_e32 v6, v15, v7
	s_wait_dscnt 0x3
	s_delay_alu instid0(VALU_DEP_3)
	v_fmac_f32_e32 v86, v3, v10
	ds_bpermute_b32 v3, v1, v87 offset:28
	s_wait_dscnt 0x3
	v_fmac_f32_e32 v86, v2, v11
	v_mul_f32_e32 v2, v16, v8
	s_wait_dscnt 0x2
	s_delay_alu instid0(VALU_DEP_2) | instskip(SKIP_1) | instid1(VALU_DEP_1)
	v_fmac_f32_e32 v86, v6, v4
	s_wait_dscnt 0x1
	v_fmac_f32_e32 v86, v2, v5
	v_mul_f32_e32 v2, v17, v9
	s_wait_dscnt 0x0
	s_delay_alu instid0(VALU_DEP_1)
	v_fmac_f32_e32 v86, v2, v3
.LBB195_75:                             ;   in Loop: Header=BB195_53 Depth=1
	s_wait_alu 0xfffe
	s_and_b32 vcc_lo, exec_lo, s2
	s_wait_alu 0xfffe
	s_cbranch_vccz .LBB195_81
; %bb.76:                               ;   in Loop: Header=BB195_53 Depth=1
	s_load_b32 s2, s[8:9], 0x0
	v_mov_b32_e32 v4, 0
	s_wait_kmcnt 0x0
	s_cmp_lt_u32 ttmp9, s2
	s_cselect_b32 s2, 12, 18
	s_wait_alu 0xfffe
	s_add_nc_u64 s[20:21], s[8:9], s[2:3]
	s_load_u16 s2, s[20:21], 0x0
	s_wait_kmcnt 0x0
	v_mad_u32_u24 v2, v48, s2, v50
	s_mov_b32 s2, exec_lo
	s_delay_alu instid0(VALU_DEP_1) | instskip(NEXT) | instid1(VALU_DEP_1)
	v_and_b32_e32 v2, 31, v2
	v_cmpx_gt_u32_e32 8, v2
	s_cbranch_execz .LBB195_80
; %bb.77:                               ;   in Loop: Header=BB195_53 Depth=1
	v_add_co_u32 v2, vcc_lo, v84, v2
	s_wait_alu 0xfffd
	v_add_co_ci_u32_e64 v3, null, 0, v85, vcc_lo
	v_mov_b32_e32 v4, 0
	s_delay_alu instid0(VALU_DEP_3) | instskip(SKIP_1) | instid1(VALU_DEP_3)
	v_add_co_u32 v2, vcc_lo, 0xffffff81, v2
	s_wait_alu 0xfffd
	v_add_co_ci_u32_e64 v3, null, -1, v3, vcc_lo
	s_mov_b32 s20, exec_lo
	v_cmpx_gt_i64_e64 s[4:5], v[2:3]
	s_cbranch_execz .LBB195_79
; %bb.78:                               ;   in Loop: Header=BB195_53 Depth=1
	v_lshlrev_b64_e32 v[2:3], 2, v[2:3]
	s_delay_alu instid0(VALU_DEP_1) | instskip(SKIP_1) | instid1(VALU_DEP_2)
	v_add_co_u32 v2, vcc_lo, s12, v2
	s_wait_alu 0xfffd
	v_add_co_ci_u32_e64 v3, null, s13, v3, vcc_lo
	global_load_b32 v4, v[2:3], off
.LBB195_79:                             ;   in Loop: Header=BB195_53 Depth=1
	s_wait_alu 0xfffe
	s_or_b32 exec_lo, exec_lo, s20
.LBB195_80:                             ;   in Loop: Header=BB195_53 Depth=1
	s_wait_alu 0xfffe
	s_or_b32 exec_lo, exec_lo, s2
	v_add_co_u32 v2, vcc_lo, v51, v18
	s_wait_alu 0xfffd
	v_add_co_ci_u32_e64 v3, null, v52, v19, vcc_lo
	v_add_co_u32 v5, vcc_lo, v53, v18
	s_wait_alu 0xfffd
	v_add_co_ci_u32_e64 v6, null, v54, v19, vcc_lo
	;; [unrolled: 3-line block ×4, first 2 shown]
	global_load_u16 v13, v[2:3], off
	global_load_u16 v14, v[5:6], off
	;; [unrolled: 1-line block ×4, first 2 shown]
	v_add_co_u32 v2, vcc_lo, v22, v18
	s_wait_alu 0xfffd
	v_add_co_ci_u32_e64 v3, null, v23, v19, vcc_lo
	v_add_co_u32 v5, vcc_lo, v36, v18
	s_wait_alu 0xfffd
	v_add_co_ci_u32_e64 v6, null, v37, v19, vcc_lo
	global_load_u16 v17, v[2:3], off
	v_add_co_u32 v2, vcc_lo, v24, v18
	s_wait_alu 0xfffd
	v_add_co_ci_u32_e64 v3, null, v25, v19, vcc_lo
	v_add_co_u32 v7, vcc_lo, v38, v18
	s_wait_alu 0xfffd
	v_add_co_ci_u32_e64 v8, null, v39, v19, vcc_lo
	;; [unrolled: 3-line block ×4, first 2 shown]
	global_load_u16 v84, v[5:6], off
	global_load_u16 v85, v[2:3], off
	;; [unrolled: 1-line block ×5, first 2 shown]
	v_add_co_u32 v2, vcc_lo, v28, v18
	s_wait_alu 0xfffd
	v_add_co_ci_u32_e64 v3, null, v29, v19, vcc_lo
	v_add_co_u32 v5, vcc_lo, v42, v18
	s_wait_alu 0xfffd
	v_add_co_ci_u32_e64 v6, null, v43, v19, vcc_lo
	;; [unrolled: 3-line block ×4, first 2 shown]
	global_load_u16 v12, v[2:3], off
	global_load_u16 v88, v[5:6], off
	;; [unrolled: 1-line block ×4, first 2 shown]
	v_add_co_u32 v2, vcc_lo, v46, v18
	s_wait_alu 0xfffd
	v_add_co_ci_u32_e64 v3, null, v47, v19, vcc_lo
	v_add_co_u32 v5, vcc_lo, v32, v18
	s_wait_alu 0xfffd
	v_add_co_ci_u32_e64 v6, null, v33, v19, vcc_lo
	global_load_u16 v2, v[2:3], off
	global_load_u16 v3, v[5:6], off
	s_wait_loadcnt 0x10
	ds_bpermute_b32 v5, v1, v4
	ds_bpermute_b32 v6, v1, v4 offset:4
	ds_bpermute_b32 v9, v1, v4 offset:8
	s_wait_loadcnt 0xd
	v_lshlrev_b32_e32 v15, 16, v15
	s_wait_loadcnt 0xc
	v_lshlrev_b32_e32 v16, 16, v16
	v_lshlrev_b32_e32 v10, 16, v14
	ds_bpermute_b32 v14, v1, v4 offset:12
	v_mul_f32_e32 v15, v15, v16
	s_wait_loadcnt 0x6
	v_lshlrev_b32_e32 v11, 16, v11
	v_lshlrev_b32_e32 v16, 16, v85
	;; [unrolled: 1-line block ×3, first 2 shown]
	s_delay_alu instid0(VALU_DEP_1)
	v_mul_f32_e32 v10, v13, v10
	ds_bpermute_b32 v13, v1, v4 offset:16
	s_wait_dscnt 0x4
	v_dual_fmac_f32 v83, v10, v5 :: v_dual_lshlrev_b32 v84, 16, v84
	ds_bpermute_b32 v5, v1, v4 offset:20
	s_wait_loadcnt 0x5
	v_lshlrev_b32_e32 v12, 16, v12
	s_wait_loadcnt 0x3
	v_lshlrev_b32_e32 v7, 16, v7
	s_wait_dscnt 0x4
	v_fmac_f32_e32 v83, v15, v6
	v_lshlrev_b32_e32 v15, 16, v87
	ds_bpermute_b32 v6, v1, v4 offset:24
	ds_bpermute_b32 v4, v1, v4 offset:28
	s_wait_loadcnt 0x2
	v_dual_mul_f32 v11, v15, v11 :: v_dual_lshlrev_b32 v8, 16, v8
	s_wait_loadcnt 0x1
	s_delay_alu instid0(VALU_DEP_1) | instskip(SKIP_2) | instid1(VALU_DEP_1)
	v_dual_mul_f32 v7, v7, v8 :: v_dual_lshlrev_b32 v2, 16, v2
	s_wait_loadcnt 0x0
	v_lshlrev_b32_e32 v3, 16, v3
	v_dual_mul_f32 v2, v3, v2 :: v_dual_lshlrev_b32 v17, 16, v17
	s_delay_alu instid0(VALU_DEP_1) | instskip(SKIP_1) | instid1(VALU_DEP_1)
	v_dual_mul_f32 v17, v17, v84 :: v_dual_lshlrev_b32 v10, 16, v86
	s_wait_dscnt 0x5
	v_dual_mul_f32 v10, v16, v10 :: v_dual_fmac_f32 v83, v17, v9
	v_lshlrev_b32_e32 v9, 16, v88
	s_wait_dscnt 0x4
	s_delay_alu instid0(VALU_DEP_2) | instskip(NEXT) | instid1(VALU_DEP_2)
	v_fmac_f32_e32 v83, v10, v14
	v_mul_f32_e32 v9, v12, v9
	s_wait_dscnt 0x3
	s_delay_alu instid0(VALU_DEP_2) | instskip(SKIP_1) | instid1(VALU_DEP_1)
	v_fmac_f32_e32 v83, v11, v13
	s_wait_dscnt 0x2
	v_fmac_f32_e32 v83, v9, v5
	s_wait_dscnt 0x1
	s_delay_alu instid0(VALU_DEP_1) | instskip(SKIP_1) | instid1(VALU_DEP_1)
	v_fmac_f32_e32 v83, v7, v6
	s_wait_dscnt 0x0
	v_fmac_f32_e32 v83, v2, v4
	s_delay_alu instid0(VALU_DEP_1)
	v_mov_b32_e32 v86, v83
.LBB195_81:                             ;   in Loop: Header=BB195_53 Depth=1
	v_add_co_u32 v51, vcc_lo, v51, s10
	s_wait_alu 0xfffd
	v_add_co_ci_u32_e64 v52, null, s11, v52, vcc_lo
	v_add_co_u32 v53, vcc_lo, v53, s10
	s_wait_alu 0xfffd
	v_add_co_ci_u32_e64 v54, null, s11, v54, vcc_lo
	;; [unrolled: 3-line block ×27, first 2 shown]
	v_add_co_u32 v77, vcc_lo, v77, s10
	s_add_nc_u64 s[14:15], s[14:15], s[16:17]
	s_wait_alu 0xfffd
	v_add_co_ci_u32_e64 v78, null, s11, v78, vcc_lo
	v_add_co_u32 v79, vcc_lo, v79, s10
	s_wait_alu 0xfffe
	v_cmp_ge_i64_e64 s2, s[14:15], s[4:5]
	s_wait_alu 0xfffd
	v_add_co_ci_u32_e64 v80, null, s11, v80, vcc_lo
	v_add_co_u32 v81, vcc_lo, v81, s10
	s_wait_alu 0xfffd
	v_add_co_ci_u32_e64 v82, null, s11, v82, vcc_lo
	s_and_b32 vcc_lo, exec_lo, s2
	s_add_nc_u64 s[18:19], s[18:19], s[16:17]
	s_wait_alu 0xfffe
	s_cbranch_vccnz .LBB195_83
; %bb.82:                               ;   in Loop: Header=BB195_53 Depth=1
	v_mov_b32_e32 v83, v86
	s_branch .LBB195_53
.LBB195_83:
	v_dual_mov_b32 v4, 0 :: v_dual_and_b32 v5, 0x3ff, v0
	v_bfe_u32 v0, v0, 10, 10
	s_mov_b32 s2, exec_lo
	s_delay_alu instid0(VALU_DEP_1) | instskip(NEXT) | instid1(VALU_DEP_1)
	v_mad_u32_u24 v1, 0x41, v0, v5
	v_lshl_add_u32 v2, v1, 2, 0
	v_sub_nc_u32_e32 v3, v1, v0
	ds_store_b32 v2, v86
	ds_store_b32 v2, v4 offset:4160
	s_wait_dscnt 0x0
	s_barrier_signal -1
	s_barrier_wait -1
	global_inv scope:SCOPE_SE
	v_cmpx_gt_u32_e32 0x800, v3
	s_cbranch_execz .LBB195_93
; %bb.84:
	s_load_b64 s[2:3], s[0:1], 0x30
	v_and_b32_e32 v0, 31, v5
	v_lshrrev_b32_e32 v2, 5, v3
	s_delay_alu instid0(VALU_DEP_2)
	v_cmp_gt_u32_e32 vcc_lo, 16, v0
	v_mul_u32_u24_e32 v4, 0x41, v0
                                        ; implicit-def: $vgpr0
	s_and_saveexec_b32 s0, vcc_lo
	s_cbranch_execz .LBB195_86
; %bb.85:
	v_lshlrev_b32_e32 v0, 2, v2
	s_delay_alu instid0(VALU_DEP_2) | instskip(NEXT) | instid1(VALU_DEP_1)
	v_lshlrev_b32_e32 v1, 2, v4
	v_add3_u32 v0, 0, v0, v1
	ds_load_b32 v0, v0
.LBB195_86:
	s_or_b32 exec_lo, exec_lo, s0
	v_mbcnt_lo_u32_b32 v1, -1, 0
	s_mov_b32 s4, ttmp9
	s_mov_b32 s5, 0
	s_wait_alu 0xfffe
	s_lshl_b64 s[4:5], s[4:5], 6
	v_xor_b32_e32 v6, 8, v1
	v_xor_b32_e32 v7, 4, v1
	;; [unrolled: 1-line block ×3, first 2 shown]
	s_wait_kmcnt 0x0
	s_cmp_eq_u64 s[2:3], 0
	s_cselect_b32 s8, -1, 0
	v_cmp_gt_i32_e64 s0, 32, v6
	s_delay_alu instid0(VALU_DEP_1) | instskip(SKIP_1) | instid1(VALU_DEP_2)
	v_cndmask_b32_e64 v6, v1, v6, s0
	v_cmp_gt_i32_e64 s0, 32, v7
	v_lshlrev_b32_e32 v6, 2, v6
	s_wait_alu 0xf1ff
	s_delay_alu instid0(VALU_DEP_2)
	v_cndmask_b32_e64 v7, v1, v7, s0
	s_wait_dscnt 0x0
	ds_bpermute_b32 v8, v6, v0
	s_wait_dscnt 0x0
	v_dual_add_f32 v0, v0, v8 :: v_dual_lshlrev_b32 v7, 2, v7
	v_xor_b32_e32 v8, 2, v1
	ds_bpermute_b32 v9, v7, v0
	v_cmp_gt_i32_e64 s0, 32, v8
	s_wait_alu 0xf1ff
	s_delay_alu instid0(VALU_DEP_1) | instskip(SKIP_1) | instid1(VALU_DEP_2)
	v_cndmask_b32_e64 v8, v1, v8, s0
	v_cmp_gt_i32_e64 s0, 32, v10
	v_lshlrev_b32_e32 v8, 2, v8
	s_wait_alu 0xf1ff
	s_delay_alu instid0(VALU_DEP_2)
	v_cndmask_b32_e64 v1, v1, v10, s0
	v_cmp_ne_u32_e64 s0, 0, v5
	s_wait_dscnt 0x0
	v_add_f32_e32 v0, v0, v9
	ds_bpermute_b32 v9, v8, v0
	s_wait_dscnt 0x0
	v_add_f32_e32 v10, v0, v9
	v_lshlrev_b32_e32 v9, 2, v1
	s_wait_alu 0xfffe
	v_or_b32_e32 v0, s4, v2
	v_mov_b32_e32 v1, s5
	ds_bpermute_b32 v11, v9, v10
	v_cmp_le_i64_e64 s1, s[6:7], v[0:1]
	s_or_b32 s1, s0, s1
	s_wait_alu 0xfffe
	s_nor_b32 s1, s8, s1
	s_wait_dscnt 0x0
	v_add_f32_e32 v5, v10, v11
	s_wait_alu 0xfffe
	s_and_saveexec_b32 s9, s1
	s_cbranch_execz .LBB195_88
; %bb.87:
	s_delay_alu instid0(VALU_DEP_1) | instskip(SKIP_2) | instid1(VALU_DEP_3)
	v_bfe_u32 v10, v5, 16, 1
	v_lshlrev_b64_e32 v[0:1], 1, v[0:1]
	v_cmp_o_f32_e64 s1, v5, v5
	v_add3_u32 v10, v5, v10, 0x7fff
	s_delay_alu instid0(VALU_DEP_1) | instskip(SKIP_1) | instid1(VALU_DEP_1)
	v_lshrrev_b32_e32 v10, 16, v10
	s_wait_alu 0xf1ff
	v_cndmask_b32_e64 v10, 0x7fc0, v10, s1
	v_add_co_u32 v0, s1, s2, v0
	s_wait_alu 0xf1ff
	v_add_co_ci_u32_e64 v1, null, s3, v1, s1
	global_store_b16 v[0:1], v10, off
.LBB195_88:
	s_wait_alu 0xfffe
	s_or_b32 exec_lo, exec_lo, s9
	v_cmp_gt_u32_e64 s1, 0x400, v3
	s_and_b32 exec_lo, exec_lo, s1
	s_cbranch_execz .LBB195_93
; %bb.89:
	s_and_saveexec_b32 s1, vcc_lo
	s_cbranch_execz .LBB195_91
; %bb.90:
	v_lshlrev_b32_e32 v0, 2, v2
	v_lshlrev_b32_e32 v1, 2, v4
	s_delay_alu instid0(VALU_DEP_1)
	v_add3_u32 v0, 0, v0, v1
	ds_load_b32 v5, v0 offset:128
.LBB195_91:
	s_wait_alu 0xfffe
	s_or_b32 exec_lo, exec_lo, s1
	s_wait_dscnt 0x0
	ds_bpermute_b32 v0, v6, v5
	v_dual_mov_b32 v4, s5 :: v_dual_add_nc_u32 v3, 32, v2
	s_delay_alu instid0(VALU_DEP_1) | instskip(NEXT) | instid1(VALU_DEP_1)
	v_or_b32_e32 v3, s4, v3
	v_cmp_le_i64_e32 vcc_lo, s[6:7], v[3:4]
	s_or_b32 s0, s0, vcc_lo
	s_wait_dscnt 0x0
	v_add_f32_e32 v0, v5, v0
	s_wait_alu 0xfffe
	s_nor_b32 s0, s8, s0
	ds_bpermute_b32 v1, v7, v0
	s_wait_dscnt 0x0
	v_add_f32_e32 v0, v0, v1
	ds_bpermute_b32 v1, v8, v0
	s_wait_dscnt 0x0
	v_add_f32_e32 v0, v0, v1
	ds_bpermute_b32 v1, v9, v0
	s_wait_alu 0xfffe
	s_and_saveexec_b32 s1, s0
	s_wait_alu 0xfffe
	s_xor_b32 s1, exec_lo, s1
	s_cbranch_execz .LBB195_93
; %bb.92:
	s_wait_dscnt 0x0
	v_add_f32_e32 v3, v0, v1
	s_delay_alu instid0(VALU_DEP_1) | instskip(SKIP_1) | instid1(VALU_DEP_2)
	v_bfe_u32 v0, v3, 16, 1
	v_cmp_o_f32_e32 vcc_lo, v3, v3
	v_add3_u32 v4, v3, v0, 0x7fff
	v_add_co_u32 v0, s0, s4, v2
	s_wait_alu 0xf1ff
	v_add_co_ci_u32_e64 v1, null, s5, 0, s0
	s_delay_alu instid0(VALU_DEP_3) | instskip(NEXT) | instid1(VALU_DEP_2)
	v_lshrrev_b32_e32 v2, 16, v4
	v_lshlrev_b64_e32 v[0:1], 1, v[0:1]
	s_wait_alu 0xfffd
	s_delay_alu instid0(VALU_DEP_2) | instskip(NEXT) | instid1(VALU_DEP_2)
	v_cndmask_b32_e32 v2, 0x7fc0, v2, vcc_lo
	v_add_co_u32 v0, vcc_lo, s2, v0
	s_wait_alu 0xfffd
	s_delay_alu instid0(VALU_DEP_3)
	v_add_co_ci_u32_e64 v1, null, s3, v1, vcc_lo
	global_store_b16 v[0:1], v2, off offset:64
.LBB195_93:
	s_endpgm
	.section	.rodata,"a",@progbits
	.p2align	6, 0x0
	.amdhsa_kernel _ZN2at6native12_GLOBAL__N_135GammaBetaBackwardCUDAKernelTemplateIN3c108BFloat16EfLj64ELj16ELj128ELb0ELb0ELb1EEEvllPKT_S7_PKT0_SA_PS5_SB_
		.amdhsa_group_segment_fixed_size 0
		.amdhsa_private_segment_fixed_size 0
		.amdhsa_kernarg_size 320
		.amdhsa_user_sgpr_count 2
		.amdhsa_user_sgpr_dispatch_ptr 0
		.amdhsa_user_sgpr_queue_ptr 0
		.amdhsa_user_sgpr_kernarg_segment_ptr 1
		.amdhsa_user_sgpr_dispatch_id 0
		.amdhsa_user_sgpr_private_segment_size 0
		.amdhsa_wavefront_size32 1
		.amdhsa_uses_dynamic_stack 0
		.amdhsa_enable_private_segment 0
		.amdhsa_system_sgpr_workgroup_id_x 1
		.amdhsa_system_sgpr_workgroup_id_y 1
		.amdhsa_system_sgpr_workgroup_id_z 0
		.amdhsa_system_sgpr_workgroup_info 0
		.amdhsa_system_vgpr_workitem_id 1
		.amdhsa_next_free_vgpr 92
		.amdhsa_next_free_sgpr 32
		.amdhsa_reserve_vcc 1
		.amdhsa_float_round_mode_32 0
		.amdhsa_float_round_mode_16_64 0
		.amdhsa_float_denorm_mode_32 3
		.amdhsa_float_denorm_mode_16_64 3
		.amdhsa_fp16_overflow 0
		.amdhsa_workgroup_processor_mode 1
		.amdhsa_memory_ordered 1
		.amdhsa_forward_progress 1
		.amdhsa_inst_pref_size 77
		.amdhsa_round_robin_scheduling 0
		.amdhsa_exception_fp_ieee_invalid_op 0
		.amdhsa_exception_fp_denorm_src 0
		.amdhsa_exception_fp_ieee_div_zero 0
		.amdhsa_exception_fp_ieee_overflow 0
		.amdhsa_exception_fp_ieee_underflow 0
		.amdhsa_exception_fp_ieee_inexact 0
		.amdhsa_exception_int_div_zero 0
	.end_amdhsa_kernel
	.section	.text._ZN2at6native12_GLOBAL__N_135GammaBetaBackwardCUDAKernelTemplateIN3c108BFloat16EfLj64ELj16ELj128ELb0ELb0ELb1EEEvllPKT_S7_PKT0_SA_PS5_SB_,"axG",@progbits,_ZN2at6native12_GLOBAL__N_135GammaBetaBackwardCUDAKernelTemplateIN3c108BFloat16EfLj64ELj16ELj128ELb0ELb0ELb1EEEvllPKT_S7_PKT0_SA_PS5_SB_,comdat
.Lfunc_end195:
	.size	_ZN2at6native12_GLOBAL__N_135GammaBetaBackwardCUDAKernelTemplateIN3c108BFloat16EfLj64ELj16ELj128ELb0ELb0ELb1EEEvllPKT_S7_PKT0_SA_PS5_SB_, .Lfunc_end195-_ZN2at6native12_GLOBAL__N_135GammaBetaBackwardCUDAKernelTemplateIN3c108BFloat16EfLj64ELj16ELj128ELb0ELb0ELb1EEEvllPKT_S7_PKT0_SA_PS5_SB_
                                        ; -- End function
	.set _ZN2at6native12_GLOBAL__N_135GammaBetaBackwardCUDAKernelTemplateIN3c108BFloat16EfLj64ELj16ELj128ELb0ELb0ELb1EEEvllPKT_S7_PKT0_SA_PS5_SB_.num_vgpr, 92
	.set _ZN2at6native12_GLOBAL__N_135GammaBetaBackwardCUDAKernelTemplateIN3c108BFloat16EfLj64ELj16ELj128ELb0ELb0ELb1EEEvllPKT_S7_PKT0_SA_PS5_SB_.num_agpr, 0
	.set _ZN2at6native12_GLOBAL__N_135GammaBetaBackwardCUDAKernelTemplateIN3c108BFloat16EfLj64ELj16ELj128ELb0ELb0ELb1EEEvllPKT_S7_PKT0_SA_PS5_SB_.numbered_sgpr, 32
	.set _ZN2at6native12_GLOBAL__N_135GammaBetaBackwardCUDAKernelTemplateIN3c108BFloat16EfLj64ELj16ELj128ELb0ELb0ELb1EEEvllPKT_S7_PKT0_SA_PS5_SB_.num_named_barrier, 0
	.set _ZN2at6native12_GLOBAL__N_135GammaBetaBackwardCUDAKernelTemplateIN3c108BFloat16EfLj64ELj16ELj128ELb0ELb0ELb1EEEvllPKT_S7_PKT0_SA_PS5_SB_.private_seg_size, 0
	.set _ZN2at6native12_GLOBAL__N_135GammaBetaBackwardCUDAKernelTemplateIN3c108BFloat16EfLj64ELj16ELj128ELb0ELb0ELb1EEEvllPKT_S7_PKT0_SA_PS5_SB_.uses_vcc, 1
	.set _ZN2at6native12_GLOBAL__N_135GammaBetaBackwardCUDAKernelTemplateIN3c108BFloat16EfLj64ELj16ELj128ELb0ELb0ELb1EEEvllPKT_S7_PKT0_SA_PS5_SB_.uses_flat_scratch, 0
	.set _ZN2at6native12_GLOBAL__N_135GammaBetaBackwardCUDAKernelTemplateIN3c108BFloat16EfLj64ELj16ELj128ELb0ELb0ELb1EEEvllPKT_S7_PKT0_SA_PS5_SB_.has_dyn_sized_stack, 0
	.set _ZN2at6native12_GLOBAL__N_135GammaBetaBackwardCUDAKernelTemplateIN3c108BFloat16EfLj64ELj16ELj128ELb0ELb0ELb1EEEvllPKT_S7_PKT0_SA_PS5_SB_.has_recursion, 0
	.set _ZN2at6native12_GLOBAL__N_135GammaBetaBackwardCUDAKernelTemplateIN3c108BFloat16EfLj64ELj16ELj128ELb0ELb0ELb1EEEvllPKT_S7_PKT0_SA_PS5_SB_.has_indirect_call, 0
	.section	.AMDGPU.csdata,"",@progbits
; Kernel info:
; codeLenInByte = 9856
; TotalNumSgprs: 34
; NumVgprs: 92
; ScratchSize: 0
; MemoryBound: 0
; FloatMode: 240
; IeeeMode: 1
; LDSByteSize: 0 bytes/workgroup (compile time only)
; SGPRBlocks: 0
; VGPRBlocks: 11
; NumSGPRsForWavesPerEU: 34
; NumVGPRsForWavesPerEU: 92
; Occupancy: 16
; WaveLimiterHint : 0
; COMPUTE_PGM_RSRC2:SCRATCH_EN: 0
; COMPUTE_PGM_RSRC2:USER_SGPR: 2
; COMPUTE_PGM_RSRC2:TRAP_HANDLER: 0
; COMPUTE_PGM_RSRC2:TGID_X_EN: 1
; COMPUTE_PGM_RSRC2:TGID_Y_EN: 1
; COMPUTE_PGM_RSRC2:TGID_Z_EN: 0
; COMPUTE_PGM_RSRC2:TIDIG_COMP_CNT: 1
	.section	.text._ZN2at6native12_GLOBAL__N_135GammaBetaBackwardCUDAKernelTemplateIN3c108BFloat16EfLj64ELj16ELj256ELb0ELb1ELb1EEEvllPKT_S7_PKT0_SA_PS5_SB_,"axG",@progbits,_ZN2at6native12_GLOBAL__N_135GammaBetaBackwardCUDAKernelTemplateIN3c108BFloat16EfLj64ELj16ELj256ELb0ELb1ELb1EEEvllPKT_S7_PKT0_SA_PS5_SB_,comdat
	.globl	_ZN2at6native12_GLOBAL__N_135GammaBetaBackwardCUDAKernelTemplateIN3c108BFloat16EfLj64ELj16ELj256ELb0ELb1ELb1EEEvllPKT_S7_PKT0_SA_PS5_SB_ ; -- Begin function _ZN2at6native12_GLOBAL__N_135GammaBetaBackwardCUDAKernelTemplateIN3c108BFloat16EfLj64ELj16ELj256ELb0ELb1ELb1EEEvllPKT_S7_PKT0_SA_PS5_SB_
	.p2align	8
	.type	_ZN2at6native12_GLOBAL__N_135GammaBetaBackwardCUDAKernelTemplateIN3c108BFloat16EfLj64ELj16ELj256ELb0ELb1ELb1EEEvllPKT_S7_PKT0_SA_PS5_SB_,@function
_ZN2at6native12_GLOBAL__N_135GammaBetaBackwardCUDAKernelTemplateIN3c108BFloat16EfLj64ELj16ELj256ELb0ELb1ELb1EEEvllPKT_S7_PKT0_SA_PS5_SB_: ; @_ZN2at6native12_GLOBAL__N_135GammaBetaBackwardCUDAKernelTemplateIN3c108BFloat16EfLj64ELj16ELj256ELb0ELb1ELb1EEEvllPKT_S7_PKT0_SA_PS5_SB_
; %bb.0:
	s_load_b128 s[4:7], s[0:1], 0x0
	s_lshl_b32 s12, ttmp7, 8
	s_mov_b32 s13, 0
	v_bfe_u32 v7, v0, 10, 10
	s_wait_kmcnt 0x0
	v_cmp_gt_i64_e64 s2, s[4:5], s[12:13]
	s_and_b32 vcc_lo, exec_lo, s2
	s_cbranch_vccnz .LBB196_2
; %bb.1:
	v_bfe_u32 v1, v0, 10, 10
	s_mov_b32 s2, s13
	v_and_b32_e32 v6, 0x3ff, v0
	v_mov_b32_e32 v0, 0
	s_and_not1_b32 vcc_lo, exec_lo, s2
	s_cbranch_vccz .LBB196_3
	s_branch .LBB196_10
.LBB196_2:
                                        ; implicit-def: $vgpr1
	v_and_b32_e32 v6, 0x3ff, v0
	v_mov_b32_e32 v0, 0
.LBB196_3:
	s_clause 0x3
	s_load_b32 s2, s[0:1], 0x4c
	s_load_b32 s3, s[0:1], 0x44
	s_load_b128 s[8:11], s[0:1], 0x10
	s_load_b64 s[16:17], s[0:1], 0x28
	v_dual_mov_b32 v1, 0 :: v_dual_lshlrev_b32 v2, 4, v7
	v_lshl_add_u32 v0, ttmp9, 6, v6
	s_mov_b32 s15, 0
	v_dual_mov_b32 v8, 16 :: v_dual_mov_b32 v9, 4
	v_dual_mov_b32 v10, 8 :: v_dual_mov_b32 v11, 12
	s_delay_alu instid0(VALU_DEP_3)
	v_lshlrev_b64_e32 v[27:28], 1, v[0:1]
	v_dual_mov_b32 v12, 20 :: v_dual_mov_b32 v13, 24
	v_dual_mov_b32 v14, 28 :: v_dual_mov_b32 v15, 32
	;; [unrolled: 1-line block ×3, first 2 shown]
	v_mov_b32_e32 v0, 0
	s_wait_kmcnt 0x0
	s_and_b32 s2, s2, 0xffff
	s_lshl_b32 s14, s3, 8
	v_mad_u32_u24 v3, v7, s2, v6
	v_add_co_u32 v2, s2, v2, s12
	s_wait_alu 0xf1ff
	v_add_co_ci_u32_e64 v19, null, 0, 0, s2
	s_delay_alu instid0(VALU_DEP_3) | instskip(NEXT) | instid1(VALU_DEP_3)
	v_dual_mov_b32 v18, 44 :: v_dual_and_b32 v3, 31, v3
	v_mul_lo_u32 v21, s7, v2
	s_delay_alu instid0(VALU_DEP_3) | instskip(SKIP_1) | instid1(VALU_DEP_4)
	v_mul_lo_u32 v22, s6, v19
	v_mad_co_u64_u32 v[4:5], null, s6, v2, 0
	v_add_co_u32 v2, vcc_lo, v2, v3
	v_cmp_gt_u32_e64 s2, 16, v3
	v_add_co_ci_u32_e64 v3, null, 0, v19, vcc_lo
	v_dual_mov_b32 v19, 48 :: v_dual_mov_b32 v20, 52
	v_add3_u32 v5, v5, v22, v21
	s_delay_alu instid0(VALU_DEP_3) | instskip(SKIP_2) | instid1(VALU_DEP_3)
	v_lshlrev_b64_e32 v[23:24], 2, v[2:3]
	v_dual_mov_b32 v21, 56 :: v_dual_mov_b32 v22, 60
	s_mul_u64 s[18:19], s[6:7], s[14:15]
	v_lshlrev_b64_e32 v[25:26], 1, v[4:5]
	s_lshl_b64 s[18:19], s[18:19], 1
	s_delay_alu instid0(VALU_DEP_3) | instskip(SKIP_2) | instid1(VALU_DEP_3)
	v_add_co_u32 v4, vcc_lo, s16, v23
	s_wait_alu 0xfffd
	v_add_co_ci_u32_e64 v5, null, s17, v24, vcc_lo
	v_add_co_u32 v23, vcc_lo, v25, v27
	s_wait_alu 0xfffd
	v_add_co_ci_u32_e64 v24, null, v26, v28, vcc_lo
	s_lshl_b64 s[16:17], s[14:15], 2
	s_lshl_b64 s[6:7], s[6:7], 1
	s_branch .LBB196_6
.LBB196_4:                              ;   in Loop: Header=BB196_6 Depth=1
	s_or_b32 exec_lo, exec_lo, s20
.LBB196_5:                              ;   in Loop: Header=BB196_6 Depth=1
	s_wait_alu 0xfffe
	s_or_b32 exec_lo, exec_lo, s3
	v_add_co_u32 v26, vcc_lo, s8, v23
	s_wait_alu 0xfffd
	v_add_co_ci_u32_e64 v27, null, s9, v24, vcc_lo
	v_add_co_u32 v28, vcc_lo, s10, v23
	s_wait_alu 0xfffd
	v_add_co_ci_u32_e64 v29, null, s11, v24, vcc_lo
	global_load_u16 v36, v[26:27], off
	global_load_u16 v37, v[28:29], off
	v_add_co_u32 v26, vcc_lo, v26, s6
	s_wait_alu 0xfffd
	v_add_co_ci_u32_e64 v27, null, s7, v27, vcc_lo
	v_add_co_u32 v28, vcc_lo, v28, s6
	s_wait_alu 0xfffd
	v_add_co_ci_u32_e64 v29, null, s7, v29, vcc_lo
	v_add_co_u32 v30, vcc_lo, v26, s6
	s_wait_alu 0xfffd
	v_add_co_ci_u32_e64 v31, null, s7, v27, vcc_lo
	v_add_co_u32 v32, vcc_lo, v28, s6
	s_wait_alu 0xfffd
	v_add_co_ci_u32_e64 v33, null, s7, v29, vcc_lo
	v_add_co_u32 v34, vcc_lo, v30, s6
	s_wait_alu 0xfffd
	v_add_co_ci_u32_e64 v35, null, s7, v31, vcc_lo
	global_load_u16 v38, v[26:27], off
	global_load_u16 v39, v[28:29], off
	;; [unrolled: 1-line block ×5, first 2 shown]
	v_add_co_u32 v26, vcc_lo, v32, s6
	s_wait_alu 0xfffd
	v_add_co_ci_u32_e64 v27, null, s7, v33, vcc_lo
	v_add_co_u32 v28, vcc_lo, v34, s6
	s_wait_alu 0xfffd
	v_add_co_ci_u32_e64 v29, null, s7, v35, vcc_lo
	;; [unrolled: 3-line block ×5, first 2 shown]
	global_load_u16 v43, v[26:27], off
	global_load_u16 v44, v[28:29], off
	global_load_u16 v45, v[30:31], off
	global_load_u16 v46, v[32:33], off
	global_load_u16 v47, v[34:35], off
	v_add_co_u32 v26, vcc_lo, v32, s6
	s_wait_alu 0xfffd
	v_add_co_ci_u32_e64 v27, null, s7, v33, vcc_lo
	v_add_co_u32 v28, vcc_lo, v34, s6
	s_wait_alu 0xfffd
	v_add_co_ci_u32_e64 v29, null, s7, v35, vcc_lo
	global_load_u16 v48, v[26:27], off
	v_add_co_u32 v26, vcc_lo, v26, s6
	s_wait_alu 0xfffd
	v_add_co_ci_u32_e64 v27, null, s7, v27, vcc_lo
	v_add_co_u32 v30, vcc_lo, v28, s6
	s_wait_alu 0xfffd
	v_add_co_ci_u32_e64 v31, null, s7, v29, vcc_lo
	v_add_co_u32 v32, vcc_lo, v26, s6
	s_wait_alu 0xfffd
	v_add_co_ci_u32_e64 v33, null, s7, v27, vcc_lo
	v_add_co_u32 v34, vcc_lo, v30, s6
	s_wait_alu 0xfffd
	v_add_co_ci_u32_e64 v35, null, s7, v31, vcc_lo
	global_load_u16 v49, v[28:29], off
	global_load_u16 v50, v[26:27], off
	global_load_u16 v51, v[30:31], off
	global_load_u16 v52, v[32:33], off
	global_load_u16 v53, v[34:35], off
	v_add_co_u32 v26, vcc_lo, v32, s6
	s_wait_alu 0xfffd
	v_add_co_ci_u32_e64 v27, null, s7, v33, vcc_lo
	v_add_co_u32 v28, vcc_lo, v34, s6
	s_wait_alu 0xfffd
	v_add_co_ci_u32_e64 v29, null, s7, v35, vcc_lo
	global_load_u16 v54, v[26:27], off
	v_add_co_u32 v26, vcc_lo, v26, s6
	s_wait_alu 0xfffd
	v_add_co_ci_u32_e64 v27, null, s7, v27, vcc_lo
	v_add_co_u32 v30, vcc_lo, v28, s6
	s_wait_alu 0xfffd
	v_add_co_ci_u32_e64 v31, null, s7, v29, vcc_lo
	v_add_co_u32 v32, vcc_lo, v26, s6
	s_wait_alu 0xfffd
	v_add_co_ci_u32_e64 v33, null, s7, v27, vcc_lo
	v_add_co_u32 v34, vcc_lo, v30, s6
	s_wait_alu 0xfffd
	v_add_co_ci_u32_e64 v35, null, s7, v31, vcc_lo
	;; [unrolled: 24-line block ×3, first 2 shown]
	global_load_u16 v61, v[28:29], off
	global_load_u16 v30, v[30:31], off
	;; [unrolled: 1-line block ×5, first 2 shown]
	v_add_co_u32 v26, vcc_lo, v34, s6
	s_wait_alu 0xfffd
	v_add_co_ci_u32_e64 v27, null, s7, v35, vcc_lo
	v_add_co_u32 v28, vcc_lo, v32, s6
	s_wait_alu 0xfffd
	v_add_co_ci_u32_e64 v29, null, s7, v33, vcc_lo
	global_load_u16 v26, v[26:27], off
	global_load_u16 v27, v[28:29], off
	s_wait_loadcnt 0x20
	ds_bpermute_b32 v28, v1, v25
	ds_bpermute_b32 v29, v9, v25
	;; [unrolled: 1-line block ×3, first 2 shown]
	v_add_co_u32 v4, vcc_lo, v4, s16
	s_add_nc_u64 s[12:13], s[12:13], s[14:15]
	s_wait_alu 0xfffd
	v_add_co_ci_u32_e64 v5, null, s17, v5, vcc_lo
	v_add_co_u32 v2, vcc_lo, v2, s14
	s_wait_alu 0xfffe
	v_cmp_lt_i64_e64 s3, s[12:13], s[4:5]
	s_wait_alu 0xfffd
	v_add_co_ci_u32_e64 v3, null, 0, v3, vcc_lo
	v_add_co_u32 v23, vcc_lo, v23, s18
	s_wait_alu 0xfffd
	v_add_co_ci_u32_e64 v24, null, s19, v24, vcc_lo
	s_and_b32 vcc_lo, exec_lo, s3
	s_wait_loadcnt 0x1f
	v_lshlrev_b32_e32 v32, 16, v36
	s_wait_loadcnt 0x1e
	v_lshlrev_b32_e32 v33, 16, v37
	ds_bpermute_b32 v36, v11, v25
	v_mul_f32_e32 v32, v32, v33
	s_wait_loadcnt_dscnt 0x1d03
	s_delay_alu instid0(VALU_DEP_1)
	v_dual_fmac_f32 v0, v32, v28 :: v_dual_lshlrev_b32 v35, 16, v38
	s_wait_loadcnt 0x1c
	v_lshlrev_b32_e32 v33, 16, v39
	s_wait_loadcnt 0x1b
	v_lshlrev_b32_e32 v37, 16, v40
	;; [unrolled: 2-line block ×3, first 2 shown]
	v_mul_f32_e32 v28, v35, v33
	ds_bpermute_b32 v33, v8, v25
	s_wait_loadcnt_dscnt 0x1903
	v_dual_fmac_f32 v0, v28, v29 :: v_dual_lshlrev_b32 v35, 16, v42
	v_mul_f32_e32 v28, v37, v32
	ds_bpermute_b32 v32, v12, v25
	s_wait_dscnt 0x3
	v_fmac_f32_e32 v0, v28, v34
	ds_bpermute_b32 v34, v13, v25
	s_wait_loadcnt 0x18
	v_lshlrev_b32_e32 v29, 16, v43
	s_wait_loadcnt 0x17
	s_delay_alu instid0(VALU_DEP_1) | instskip(SKIP_3) | instid1(VALU_DEP_2)
	v_dual_mul_f32 v28, v35, v29 :: v_dual_lshlrev_b32 v37, 16, v44
	s_wait_loadcnt 0x16
	v_lshlrev_b32_e32 v29, 16, v45
	s_wait_loadcnt_dscnt 0x1503
	v_dual_fmac_f32 v0, v28, v36 :: v_dual_lshlrev_b32 v35, 16, v46
	s_wait_loadcnt 0x14
	s_delay_alu instid0(VALU_DEP_2)
	v_dual_mul_f32 v28, v37, v29 :: v_dual_lshlrev_b32 v29, 16, v47
	ds_bpermute_b32 v36, v14, v25
	s_wait_dscnt 0x3
	v_fmac_f32_e32 v0, v28, v33
	s_wait_loadcnt 0x13
	v_dual_mul_f32 v28, v35, v29 :: v_dual_lshlrev_b32 v29, 16, v48
	ds_bpermute_b32 v33, v15, v25
	s_wait_dscnt 0x3
	v_fmac_f32_e32 v0, v28, v32
	ds_bpermute_b32 v32, v16, v25
	s_wait_loadcnt 0x12
	v_lshlrev_b32_e32 v37, 16, v49
	s_wait_loadcnt 0x10
	s_delay_alu instid0(VALU_DEP_1) | instskip(SKIP_1) | instid1(VALU_DEP_1)
	v_dual_mul_f32 v28, v29, v37 :: v_dual_lshlrev_b32 v35, 16, v51
	s_wait_loadcnt_dscnt 0xe03
	v_dual_fmac_f32 v0, v28, v34 :: v_dual_lshlrev_b32 v37, 16, v53
	v_lshlrev_b32_e32 v29, 16, v50
	ds_bpermute_b32 v34, v17, v25
	v_dual_mul_f32 v28, v29, v35 :: v_dual_lshlrev_b32 v29, 16, v52
	s_wait_dscnt 0x3
	s_delay_alu instid0(VALU_DEP_1) | instskip(SKIP_1) | instid1(VALU_DEP_2)
	v_fmac_f32_e32 v0, v28, v36
	s_wait_loadcnt 0xd
	v_dual_mul_f32 v28, v29, v37 :: v_dual_lshlrev_b32 v29, 16, v54
	ds_bpermute_b32 v36, v18, v25
	s_wait_loadcnt_dscnt 0xc03
	v_dual_fmac_f32 v0, v28, v33 :: v_dual_lshlrev_b32 v35, 16, v55
	s_wait_loadcnt 0xa
	v_lshlrev_b32_e32 v37, 16, v57
	ds_bpermute_b32 v33, v19, v25
	v_mul_f32_e32 v28, v29, v35
	s_wait_loadcnt_dscnt 0x803
	s_delay_alu instid0(VALU_DEP_1) | instskip(SKIP_4) | instid1(VALU_DEP_1)
	v_dual_fmac_f32 v0, v28, v32 :: v_dual_lshlrev_b32 v35, 16, v59
	v_lshlrev_b32_e32 v29, 16, v56
	ds_bpermute_b32 v32, v20, v25
	v_dual_mul_f32 v28, v29, v37 :: v_dual_lshlrev_b32 v29, 16, v58
	s_wait_loadcnt_dscnt 0x703
	v_dual_fmac_f32 v0, v28, v34 :: v_dual_lshlrev_b32 v37, 16, v60
	s_delay_alu instid0(VALU_DEP_2)
	v_mul_f32_e32 v28, v29, v35
	ds_bpermute_b32 v34, v21, v25
	ds_bpermute_b32 v25, v22, v25
	s_wait_loadcnt_dscnt 0x604
	v_dual_fmac_f32 v0, v28, v36 :: v_dual_lshlrev_b32 v29, 16, v61
	s_wait_loadcnt 0x4
	s_delay_alu instid0(VALU_DEP_1)
	v_dual_mul_f32 v28, v29, v37 :: v_dual_lshlrev_b32 v31, 16, v31
	v_lshlrev_b32_e32 v29, 16, v30
	s_wait_loadcnt 0x2
	v_lshlrev_b32_e32 v30, 16, v63
	s_wait_dscnt 0x3
	v_dual_fmac_f32 v0, v28, v33 :: v_dual_lshlrev_b32 v35, 16, v62
	v_mul_f32_e32 v28, v29, v31
	s_wait_loadcnt 0x1
	v_lshlrev_b32_e32 v26, 16, v26
	s_wait_loadcnt_dscnt 0x2
	s_delay_alu instid0(VALU_DEP_2) | instskip(SKIP_1) | instid1(VALU_DEP_2)
	v_dual_fmac_f32 v0, v28, v32 :: v_dual_lshlrev_b32 v27, 16, v27
	v_mul_f32_e32 v28, v35, v30
	v_mul_f32_e32 v26, v27, v26
	s_wait_dscnt 0x1
	s_delay_alu instid0(VALU_DEP_2) | instskip(SKIP_1) | instid1(VALU_DEP_1)
	v_fmac_f32_e32 v0, v28, v34
	s_wait_dscnt 0x0
	v_fmac_f32_e32 v0, v26, v25
	s_wait_alu 0xfffe
	s_cbranch_vccz .LBB196_9
.LBB196_6:                              ; =>This Inner Loop Header: Depth=1
	v_mov_b32_e32 v25, 0
	s_and_saveexec_b32 s3, s2
	s_cbranch_execz .LBB196_5
; %bb.7:                                ;   in Loop: Header=BB196_6 Depth=1
	v_mov_b32_e32 v25, 0
	s_mov_b32 s20, exec_lo
	v_cmpx_gt_i64_e64 s[4:5], v[2:3]
	s_cbranch_execz .LBB196_4
; %bb.8:                                ;   in Loop: Header=BB196_6 Depth=1
	global_load_b32 v25, v[4:5], off
	s_branch .LBB196_4
.LBB196_9:
	v_mov_b32_e32 v1, v7
.LBB196_10:
	s_load_b64 s[2:3], s[0:1], 0x30
	s_delay_alu instid0(VALU_DEP_1) | instskip(SKIP_2) | instid1(VALU_DEP_2)
	v_mad_u32_u24 v2, 0x41, v1, v6
	v_mov_b32_e32 v4, 0
	s_mov_b32 s0, exec_lo
	v_lshl_add_u32 v3, v2, 2, 0
	v_sub_nc_u32_e32 v1, v2, v1
	ds_store_b32 v3, v0
	ds_store_b32 v3, v4 offset:4160
	s_wait_dscnt 0x0
	s_barrier_signal -1
	s_barrier_wait -1
	global_inv scope:SCOPE_SE
	v_cmpx_gt_u32_e32 0x800, v1
	s_cbranch_execz .LBB196_20
; %bb.11:
	v_and_b32_e32 v2, 31, v6
	v_lshrrev_b32_e32 v0, 5, v1
                                        ; implicit-def: $vgpr5
	s_delay_alu instid0(VALU_DEP_2)
	v_cmp_gt_u32_e32 vcc_lo, 16, v2
	v_mul_u32_u24_e32 v2, 0x41, v2
	s_and_saveexec_b32 s0, vcc_lo
	s_cbranch_execz .LBB196_13
; %bb.12:
	v_lshlrev_b32_e32 v3, 2, v0
	s_delay_alu instid0(VALU_DEP_2) | instskip(NEXT) | instid1(VALU_DEP_1)
	v_lshlrev_b32_e32 v4, 2, v2
	v_add3_u32 v3, 0, v3, v4
	ds_load_b32 v5, v3
.LBB196_13:
	s_wait_alu 0xfffe
	s_or_b32 exec_lo, exec_lo, s0
	v_mbcnt_lo_u32_b32 v7, -1, 0
	s_mov_b32 s4, ttmp9
	s_wait_kmcnt 0x0
	s_cmp_lg_u64 s[2:3], 0
	s_mov_b32 s5, 0
	s_cselect_b32 s1, -1, 0
	v_xor_b32_e32 v3, 8, v7
	v_xor_b32_e32 v4, 4, v7
	;; [unrolled: 1-line block ×3, first 2 shown]
	s_wait_alu 0xfffe
	s_lshl_b64 s[4:5], s[4:5], 7
	s_wait_alu 0xfffe
	s_add_nc_u64 s[2:3], s[2:3], s[4:5]
	v_cmp_gt_i32_e64 s0, 32, v3
	s_wait_alu 0xf1ff
	s_delay_alu instid0(VALU_DEP_1) | instskip(SKIP_1) | instid1(VALU_DEP_2)
	v_cndmask_b32_e64 v3, v7, v3, s0
	v_cmp_gt_i32_e64 s0, 32, v4
	v_lshlrev_b32_e32 v3, 2, v3
	s_wait_alu 0xf1ff
	s_delay_alu instid0(VALU_DEP_2)
	v_cndmask_b32_e64 v4, v7, v4, s0
	s_wait_dscnt 0x0
	ds_bpermute_b32 v8, v3, v5
	v_lshlrev_b32_e32 v4, 2, v4
	s_wait_dscnt 0x0
	v_add_f32_e32 v8, v5, v8
	v_xor_b32_e32 v5, 2, v7
	ds_bpermute_b32 v9, v4, v8
	v_cmp_gt_i32_e64 s0, 32, v5
	s_wait_alu 0xf1ff
	s_delay_alu instid0(VALU_DEP_1) | instskip(SKIP_1) | instid1(VALU_DEP_2)
	v_cndmask_b32_e64 v5, v7, v5, s0
	v_cmp_gt_i32_e64 s0, 32, v10
	v_lshlrev_b32_e32 v5, 2, v5
	s_wait_alu 0xf1ff
	s_delay_alu instid0(VALU_DEP_2) | instskip(SKIP_1) | instid1(VALU_DEP_2)
	v_cndmask_b32_e64 v7, v7, v10, s0
	v_cmp_eq_u32_e64 s0, 0, v6
	v_lshlrev_b32_e32 v7, 2, v7
	s_and_b32 s1, s0, s1
	s_wait_dscnt 0x0
	v_add_f32_e32 v8, v8, v9
	ds_bpermute_b32 v9, v5, v8
	s_wait_dscnt 0x0
	v_add_f32_e32 v8, v8, v9
	ds_bpermute_b32 v9, v7, v8
	s_wait_dscnt 0x0
	v_add_f32_e32 v6, v8, v9
	s_wait_alu 0xfffe
	s_and_saveexec_b32 s4, s1
	s_cbranch_execz .LBB196_15
; %bb.14:
	s_delay_alu instid0(VALU_DEP_1) | instskip(SKIP_2) | instid1(VALU_DEP_3)
	v_bfe_u32 v8, v6, 16, 1
	v_cmp_o_f32_e64 s0, v6, v6
	v_lshlrev_b32_e32 v9, 1, v0
	v_add3_u32 v8, v6, v8, 0x7fff
	s_delay_alu instid0(VALU_DEP_1) | instskip(SKIP_1) | instid1(VALU_DEP_1)
	v_lshrrev_b32_e32 v8, 16, v8
	s_wait_alu 0xf1ff
	v_cndmask_b32_e64 v8, 0x7fc0, v8, s0
	global_store_b16 v9, v8, s[2:3]
.LBB196_15:
	s_wait_alu 0xfffe
	s_or_b32 exec_lo, exec_lo, s4
	v_cmp_gt_u32_e64 s0, 0x400, v1
	s_and_b32 exec_lo, exec_lo, s0
	s_cbranch_execz .LBB196_20
; %bb.16:
	s_and_saveexec_b32 s0, vcc_lo
	s_cbranch_execz .LBB196_18
; %bb.17:
	v_lshlrev_b32_e32 v1, 2, v0
	v_lshlrev_b32_e32 v2, 2, v2
	s_delay_alu instid0(VALU_DEP_1)
	v_add3_u32 v1, 0, v1, v2
	ds_load_b32 v6, v1 offset:128
.LBB196_18:
	s_wait_alu 0xfffe
	s_or_b32 exec_lo, exec_lo, s0
	s_wait_dscnt 0x0
	ds_bpermute_b32 v1, v3, v6
	s_wait_dscnt 0x0
	v_add_f32_e32 v1, v6, v1
	ds_bpermute_b32 v2, v4, v1
	s_wait_dscnt 0x0
	v_add_f32_e32 v1, v1, v2
	ds_bpermute_b32 v2, v5, v1
	s_wait_dscnt 0x0
	v_add_f32_e32 v1, v1, v2
	ds_bpermute_b32 v2, v7, v1
	s_and_saveexec_b32 s0, s1
	s_wait_alu 0xfffe
	s_xor_b32 s0, exec_lo, s0
	s_cbranch_execz .LBB196_20
; %bb.19:
	s_wait_dscnt 0x0
	v_dual_add_f32 v1, v1, v2 :: v_dual_lshlrev_b32 v0, 1, v0
	s_delay_alu instid0(VALU_DEP_1) | instskip(SKIP_1) | instid1(VALU_DEP_2)
	v_bfe_u32 v2, v1, 16, 1
	v_cmp_o_f32_e32 vcc_lo, v1, v1
	v_add3_u32 v2, v1, v2, 0x7fff
	s_delay_alu instid0(VALU_DEP_1) | instskip(SKIP_1) | instid1(VALU_DEP_1)
	v_lshrrev_b32_e32 v2, 16, v2
	s_wait_alu 0xfffd
	v_cndmask_b32_e32 v1, 0x7fc0, v2, vcc_lo
	global_store_b16 v0, v1, s[2:3] offset:64
.LBB196_20:
	s_endpgm
	.section	.rodata,"a",@progbits
	.p2align	6, 0x0
	.amdhsa_kernel _ZN2at6native12_GLOBAL__N_135GammaBetaBackwardCUDAKernelTemplateIN3c108BFloat16EfLj64ELj16ELj256ELb0ELb1ELb1EEEvllPKT_S7_PKT0_SA_PS5_SB_
		.amdhsa_group_segment_fixed_size 0
		.amdhsa_private_segment_fixed_size 0
		.amdhsa_kernarg_size 320
		.amdhsa_user_sgpr_count 2
		.amdhsa_user_sgpr_dispatch_ptr 0
		.amdhsa_user_sgpr_queue_ptr 0
		.amdhsa_user_sgpr_kernarg_segment_ptr 1
		.amdhsa_user_sgpr_dispatch_id 0
		.amdhsa_user_sgpr_private_segment_size 0
		.amdhsa_wavefront_size32 1
		.amdhsa_uses_dynamic_stack 0
		.amdhsa_enable_private_segment 0
		.amdhsa_system_sgpr_workgroup_id_x 1
		.amdhsa_system_sgpr_workgroup_id_y 1
		.amdhsa_system_sgpr_workgroup_id_z 0
		.amdhsa_system_sgpr_workgroup_info 0
		.amdhsa_system_vgpr_workitem_id 1
		.amdhsa_next_free_vgpr 64
		.amdhsa_next_free_sgpr 21
		.amdhsa_reserve_vcc 1
		.amdhsa_float_round_mode_32 0
		.amdhsa_float_round_mode_16_64 0
		.amdhsa_float_denorm_mode_32 3
		.amdhsa_float_denorm_mode_16_64 3
		.amdhsa_fp16_overflow 0
		.amdhsa_workgroup_processor_mode 1
		.amdhsa_memory_ordered 1
		.amdhsa_forward_progress 1
		.amdhsa_inst_pref_size 23
		.amdhsa_round_robin_scheduling 0
		.amdhsa_exception_fp_ieee_invalid_op 0
		.amdhsa_exception_fp_denorm_src 0
		.amdhsa_exception_fp_ieee_div_zero 0
		.amdhsa_exception_fp_ieee_overflow 0
		.amdhsa_exception_fp_ieee_underflow 0
		.amdhsa_exception_fp_ieee_inexact 0
		.amdhsa_exception_int_div_zero 0
	.end_amdhsa_kernel
	.section	.text._ZN2at6native12_GLOBAL__N_135GammaBetaBackwardCUDAKernelTemplateIN3c108BFloat16EfLj64ELj16ELj256ELb0ELb1ELb1EEEvllPKT_S7_PKT0_SA_PS5_SB_,"axG",@progbits,_ZN2at6native12_GLOBAL__N_135GammaBetaBackwardCUDAKernelTemplateIN3c108BFloat16EfLj64ELj16ELj256ELb0ELb1ELb1EEEvllPKT_S7_PKT0_SA_PS5_SB_,comdat
.Lfunc_end196:
	.size	_ZN2at6native12_GLOBAL__N_135GammaBetaBackwardCUDAKernelTemplateIN3c108BFloat16EfLj64ELj16ELj256ELb0ELb1ELb1EEEvllPKT_S7_PKT0_SA_PS5_SB_, .Lfunc_end196-_ZN2at6native12_GLOBAL__N_135GammaBetaBackwardCUDAKernelTemplateIN3c108BFloat16EfLj64ELj16ELj256ELb0ELb1ELb1EEEvllPKT_S7_PKT0_SA_PS5_SB_
                                        ; -- End function
	.set _ZN2at6native12_GLOBAL__N_135GammaBetaBackwardCUDAKernelTemplateIN3c108BFloat16EfLj64ELj16ELj256ELb0ELb1ELb1EEEvllPKT_S7_PKT0_SA_PS5_SB_.num_vgpr, 64
	.set _ZN2at6native12_GLOBAL__N_135GammaBetaBackwardCUDAKernelTemplateIN3c108BFloat16EfLj64ELj16ELj256ELb0ELb1ELb1EEEvllPKT_S7_PKT0_SA_PS5_SB_.num_agpr, 0
	.set _ZN2at6native12_GLOBAL__N_135GammaBetaBackwardCUDAKernelTemplateIN3c108BFloat16EfLj64ELj16ELj256ELb0ELb1ELb1EEEvllPKT_S7_PKT0_SA_PS5_SB_.numbered_sgpr, 21
	.set _ZN2at6native12_GLOBAL__N_135GammaBetaBackwardCUDAKernelTemplateIN3c108BFloat16EfLj64ELj16ELj256ELb0ELb1ELb1EEEvllPKT_S7_PKT0_SA_PS5_SB_.num_named_barrier, 0
	.set _ZN2at6native12_GLOBAL__N_135GammaBetaBackwardCUDAKernelTemplateIN3c108BFloat16EfLj64ELj16ELj256ELb0ELb1ELb1EEEvllPKT_S7_PKT0_SA_PS5_SB_.private_seg_size, 0
	.set _ZN2at6native12_GLOBAL__N_135GammaBetaBackwardCUDAKernelTemplateIN3c108BFloat16EfLj64ELj16ELj256ELb0ELb1ELb1EEEvllPKT_S7_PKT0_SA_PS5_SB_.uses_vcc, 1
	.set _ZN2at6native12_GLOBAL__N_135GammaBetaBackwardCUDAKernelTemplateIN3c108BFloat16EfLj64ELj16ELj256ELb0ELb1ELb1EEEvllPKT_S7_PKT0_SA_PS5_SB_.uses_flat_scratch, 0
	.set _ZN2at6native12_GLOBAL__N_135GammaBetaBackwardCUDAKernelTemplateIN3c108BFloat16EfLj64ELj16ELj256ELb0ELb1ELb1EEEvllPKT_S7_PKT0_SA_PS5_SB_.has_dyn_sized_stack, 0
	.set _ZN2at6native12_GLOBAL__N_135GammaBetaBackwardCUDAKernelTemplateIN3c108BFloat16EfLj64ELj16ELj256ELb0ELb1ELb1EEEvllPKT_S7_PKT0_SA_PS5_SB_.has_recursion, 0
	.set _ZN2at6native12_GLOBAL__N_135GammaBetaBackwardCUDAKernelTemplateIN3c108BFloat16EfLj64ELj16ELj256ELb0ELb1ELb1EEEvllPKT_S7_PKT0_SA_PS5_SB_.has_indirect_call, 0
	.section	.AMDGPU.csdata,"",@progbits
; Kernel info:
; codeLenInByte = 2868
; TotalNumSgprs: 23
; NumVgprs: 64
; ScratchSize: 0
; MemoryBound: 0
; FloatMode: 240
; IeeeMode: 1
; LDSByteSize: 0 bytes/workgroup (compile time only)
; SGPRBlocks: 0
; VGPRBlocks: 7
; NumSGPRsForWavesPerEU: 23
; NumVGPRsForWavesPerEU: 64
; Occupancy: 16
; WaveLimiterHint : 0
; COMPUTE_PGM_RSRC2:SCRATCH_EN: 0
; COMPUTE_PGM_RSRC2:USER_SGPR: 2
; COMPUTE_PGM_RSRC2:TRAP_HANDLER: 0
; COMPUTE_PGM_RSRC2:TGID_X_EN: 1
; COMPUTE_PGM_RSRC2:TGID_Y_EN: 1
; COMPUTE_PGM_RSRC2:TGID_Z_EN: 0
; COMPUTE_PGM_RSRC2:TIDIG_COMP_CNT: 1
	.section	.text._ZN2at6native12_GLOBAL__N_135GammaBetaBackwardCUDAKernelTemplateIN3c108BFloat16EfLj64ELj16ELj256ELb0ELb0ELb1EEEvllPKT_S7_PKT0_SA_PS5_SB_,"axG",@progbits,_ZN2at6native12_GLOBAL__N_135GammaBetaBackwardCUDAKernelTemplateIN3c108BFloat16EfLj64ELj16ELj256ELb0ELb0ELb1EEEvllPKT_S7_PKT0_SA_PS5_SB_,comdat
	.globl	_ZN2at6native12_GLOBAL__N_135GammaBetaBackwardCUDAKernelTemplateIN3c108BFloat16EfLj64ELj16ELj256ELb0ELb0ELb1EEEvllPKT_S7_PKT0_SA_PS5_SB_ ; -- Begin function _ZN2at6native12_GLOBAL__N_135GammaBetaBackwardCUDAKernelTemplateIN3c108BFloat16EfLj64ELj16ELj256ELb0ELb0ELb1EEEvllPKT_S7_PKT0_SA_PS5_SB_
	.p2align	8
	.type	_ZN2at6native12_GLOBAL__N_135GammaBetaBackwardCUDAKernelTemplateIN3c108BFloat16EfLj64ELj16ELj256ELb0ELb0ELb1EEEvllPKT_S7_PKT0_SA_PS5_SB_,@function
_ZN2at6native12_GLOBAL__N_135GammaBetaBackwardCUDAKernelTemplateIN3c108BFloat16EfLj64ELj16ELj256ELb0ELb0ELb1EEEvllPKT_S7_PKT0_SA_PS5_SB_: ; @_ZN2at6native12_GLOBAL__N_135GammaBetaBackwardCUDAKernelTemplateIN3c108BFloat16EfLj64ELj16ELj256ELb0ELb0ELb1EEEvllPKT_S7_PKT0_SA_PS5_SB_
; %bb.0:
	s_clause 0x1
	s_load_b256 s[4:11], s[0:1], 0x0
	s_load_b64 s[12:13], s[0:1], 0x28
	s_lshl_b32 s28, ttmp9, 6
	s_mov_b32 s15, 0
	s_or_b32 s14, s28, 63
	s_wait_kmcnt 0x0
	v_cmp_le_i64_e64 s2, s[6:7], s[14:15]
	s_lshl_b32 s14, ttmp7, 8
	s_wait_alu 0xfffe
	v_cmp_gt_i64_e64 s29, s[4:5], s[14:15]
	s_and_b32 vcc_lo, exec_lo, s2
	v_cndmask_b32_e64 v1, 0, 1, s29
	s_delay_alu instid0(VALU_DEP_1)
	v_cmp_ne_u32_e64 s2, 1, v1
	s_cbranch_vccz .LBB197_81
; %bb.1:
	v_mov_b32_e32 v166, 0
	s_and_b32 vcc_lo, exec_lo, s2
	s_cbranch_vccnz .LBB197_82
; %bb.2:
	v_bfe_u32 v36, v0, 10, 10
	v_dual_mov_b32 v1, 0 :: v_dual_and_b32 v38, 0x3ff, v0
	s_load_b32 s3, s[0:1], 0x44
	s_mov_b32 s17, 0
	s_delay_alu instid0(VALU_DEP_2) | instskip(NEXT) | instid1(VALU_DEP_2)
	v_lshlrev_b32_e32 v37, 4, v36
	v_dual_mov_b32 v5, v1 :: v_dual_add_nc_u32 v4, s28, v38
	s_mov_b32 s21, s17
	v_mov_b32_e32 v103, 0
	s_delay_alu instid0(VALU_DEP_3) | instskip(NEXT) | instid1(VALU_DEP_1)
	v_add_co_u32 v10, s2, v37, s14
	v_add_co_ci_u32_e64 v11, null, 0, 0, s2
	v_cmp_gt_i64_e64 s2, s[6:7], v[4:5]
	s_delay_alu instid0(VALU_DEP_3) | instskip(SKIP_1) | instid1(VALU_DEP_4)
	v_add_co_u32 v6, vcc_lo, v10, 15
	v_mul_lo_u32 v8, s7, v10
	v_mul_lo_u32 v9, s6, v11
	v_add_co_ci_u32_e64 v7, null, 0, v11, vcc_lo
	v_mad_co_u64_u32 v[2:3], null, s6, v10, 0
	v_mul_lo_u32 v12, s7, v6
	s_delay_alu instid0(VALU_DEP_3)
	v_mul_lo_u32 v13, s6, v7
	v_mad_co_u64_u32 v[6:7], null, s6, v6, 0
	v_lshlrev_b64_e32 v[34:35], 1, v[4:5]
	s_wait_kmcnt 0x0
	s_lshl_b32 s20, s3, 8
	v_add3_u32 v3, v3, v9, v8
	v_add_co_u32 v8, vcc_lo, v10, 14
	s_wait_alu 0xfffd
	v_add_co_ci_u32_e64 v9, null, 0, v11, vcc_lo
	v_add3_u32 v7, v7, v13, v12
	v_lshlrev_b64_e32 v[4:5], 1, v[2:3]
	v_mul_lo_u32 v12, s7, v8
	s_delay_alu instid0(VALU_DEP_4)
	v_mul_lo_u32 v13, s6, v9
	v_mad_co_u64_u32 v[8:9], null, s6, v8, 0
	v_lshlrev_b64_e32 v[6:7], 1, v[6:7]
	v_add_co_u32 v39, vcc_lo, s8, v4
	s_wait_alu 0xfffd
	v_add_co_ci_u32_e64 v40, null, s9, v5, vcc_lo
	v_add_co_u32 v41, vcc_lo, s10, v4
	v_add3_u32 v9, v9, v13, v12
	s_wait_alu 0xfffd
	v_add_co_ci_u32_e64 v42, null, s11, v5, vcc_lo
	v_add_co_u32 v43, vcc_lo, s8, v6
	s_wait_alu 0xfffd
	v_add_co_ci_u32_e64 v44, null, s9, v7, vcc_lo
	v_add_co_u32 v12, vcc_lo, v10, 13
	v_add_co_u32 v45, s3, s10, v6
	v_lshlrev_b64_e32 v[4:5], 1, v[8:9]
	s_wait_alu 0xfffd
	v_add_co_ci_u32_e64 v6, null, 0, v11, vcc_lo
	v_add_co_u32 v8, vcc_lo, v10, 12
	s_wait_alu 0xfffd
	v_add_co_ci_u32_e64 v9, null, 0, v11, vcc_lo
	s_wait_alu 0xf1ff
	v_add_co_ci_u32_e64 v46, null, s11, v7, s3
	v_mul_lo_u32 v13, s7, v12
	v_mul_lo_u32 v14, s6, v6
	v_mad_co_u64_u32 v[6:7], null, s6, v12, 0
	v_mul_lo_u32 v12, s7, v8
	v_mul_lo_u32 v15, s6, v9
	v_mad_co_u64_u32 v[8:9], null, s6, v8, 0
	v_add_co_u32 v47, vcc_lo, s8, v4
	s_wait_alu 0xfffd
	v_add_co_ci_u32_e64 v48, null, s9, v5, vcc_lo
	v_add_co_u32 v49, vcc_lo, s10, v4
	s_wait_alu 0xfffd
	v_add_co_ci_u32_e64 v50, null, s11, v5, vcc_lo
	v_add3_u32 v9, v9, v15, v12
	v_add_co_u32 v12, vcc_lo, v10, 11
	v_add3_u32 v7, v7, v14, v13
	s_wait_alu 0xfffd
	v_add_co_ci_u32_e64 v13, null, 0, v11, vcc_lo
	s_delay_alu instid0(VALU_DEP_3)
	v_mul_lo_u32 v14, s7, v12
	s_mul_u64 s[22:23], s[6:7], s[20:21]
	v_lshlrev_b64_e32 v[4:5], 1, v[6:7]
	v_lshlrev_b64_e32 v[6:7], 1, v[8:9]
	v_mul_lo_u32 v13, s6, v13
	v_mad_co_u64_u32 v[8:9], null, s6, v12, 0
	s_add_nc_u64 s[18:19], s[0:1], 64
	v_add_co_u32 v51, vcc_lo, s8, v4
	s_wait_alu 0xfffd
	v_add_co_ci_u32_e64 v52, null, s9, v5, vcc_lo
	v_add_co_u32 v53, vcc_lo, s10, v4
	v_add3_u32 v9, v9, v13, v14
	s_wait_alu 0xfffd
	v_add_co_ci_u32_e64 v54, null, s11, v5, vcc_lo
	v_add_co_u32 v55, vcc_lo, s8, v6
	s_wait_alu 0xfffd
	v_add_co_ci_u32_e64 v56, null, s9, v7, vcc_lo
	v_add_co_u32 v12, vcc_lo, v10, 10
	v_add_co_u32 v57, s3, s10, v6
	v_lshlrev_b64_e32 v[4:5], 1, v[8:9]
	s_wait_alu 0xfffd
	v_add_co_ci_u32_e64 v6, null, 0, v11, vcc_lo
	v_add_co_u32 v8, vcc_lo, v10, 9
	s_wait_alu 0xfffd
	v_add_co_ci_u32_e64 v9, null, 0, v11, vcc_lo
	s_wait_alu 0xf1ff
	v_add_co_ci_u32_e64 v58, null, s11, v7, s3
	v_mul_lo_u32 v13, s7, v12
	v_mul_lo_u32 v14, s6, v6
	v_mad_co_u64_u32 v[6:7], null, s6, v12, 0
	v_mul_lo_u32 v12, s7, v8
	v_mul_lo_u32 v15, s6, v9
	v_mad_co_u64_u32 v[8:9], null, s6, v8, 0
	v_add_co_u32 v59, vcc_lo, s8, v4
	s_wait_alu 0xfffd
	v_add_co_ci_u32_e64 v60, null, s9, v5, vcc_lo
	v_add_co_u32 v61, vcc_lo, s10, v4
	s_wait_alu 0xfffd
	v_add_co_ci_u32_e64 v62, null, s11, v5, vcc_lo
	v_add3_u32 v9, v9, v15, v12
	v_add_co_u32 v12, vcc_lo, v10, 8
	v_add3_u32 v7, v7, v14, v13
	s_wait_alu 0xfffd
	v_add_co_ci_u32_e64 v13, null, 0, v11, vcc_lo
	s_delay_alu instid0(VALU_DEP_3)
	v_mul_lo_u32 v14, s7, v12
	s_lshl_b64 s[22:23], s[22:23], 1
	v_lshlrev_b64_e32 v[4:5], 1, v[6:7]
	v_lshlrev_b64_e32 v[6:7], 1, v[8:9]
	v_mul_lo_u32 v13, s6, v13
	v_mad_co_u64_u32 v[8:9], null, s6, v12, 0
	s_add_nc_u64 s[24:25], s[14:15], 0xff
	v_add_co_u32 v63, vcc_lo, s8, v4
	s_wait_alu 0xfffd
	v_add_co_ci_u32_e64 v64, null, s9, v5, vcc_lo
	v_add_co_u32 v65, vcc_lo, s10, v4
	v_add3_u32 v9, v9, v13, v14
	s_wait_alu 0xfffd
	v_add_co_ci_u32_e64 v66, null, s11, v5, vcc_lo
	v_add_co_u32 v67, vcc_lo, s8, v6
	s_wait_alu 0xfffd
	v_add_co_ci_u32_e64 v68, null, s9, v7, vcc_lo
	v_add_co_u32 v12, vcc_lo, v10, 7
	v_add_co_u32 v69, s3, s10, v6
	v_lshlrev_b64_e32 v[4:5], 1, v[8:9]
	s_wait_alu 0xfffd
	v_add_co_ci_u32_e64 v6, null, 0, v11, vcc_lo
	v_add_co_u32 v8, vcc_lo, v10, 6
	s_wait_alu 0xfffd
	v_add_co_ci_u32_e64 v9, null, 0, v11, vcc_lo
	s_wait_alu 0xf1ff
	v_add_co_ci_u32_e64 v70, null, s11, v7, s3
	v_mul_lo_u32 v13, s7, v12
	v_mul_lo_u32 v14, s6, v6
	v_mad_co_u64_u32 v[6:7], null, s6, v12, 0
	v_mul_lo_u32 v12, s7, v8
	v_mul_lo_u32 v15, s6, v9
	v_mad_co_u64_u32 v[8:9], null, s6, v8, 0
	v_add_co_u32 v71, vcc_lo, s8, v4
	s_wait_alu 0xfffd
	v_add_co_ci_u32_e64 v72, null, s9, v5, vcc_lo
	v_add_co_u32 v73, vcc_lo, s10, v4
	v_add3_u32 v7, v7, v14, v13
	s_wait_alu 0xfffd
	v_add_co_ci_u32_e64 v74, null, s11, v5, vcc_lo
	v_add3_u32 v9, v9, v15, v12
	v_add_co_u32 v12, vcc_lo, v10, 5
	s_wait_alu 0xfffd
	v_add_co_ci_u32_e64 v13, null, 0, v11, vcc_lo
	v_lshlrev_b64_e32 v[4:5], 1, v[6:7]
	v_lshlrev_b64_e32 v[6:7], 1, v[8:9]
	v_mul_lo_u32 v14, s7, v12
	s_delay_alu instid0(VALU_DEP_4)
	v_mul_lo_u32 v13, s6, v13
	v_mad_co_u64_u32 v[8:9], null, s6, v12, 0
	v_add_co_u32 v75, vcc_lo, s8, v4
	s_wait_alu 0xfffd
	v_add_co_ci_u32_e64 v76, null, s9, v5, vcc_lo
	v_add_co_u32 v77, vcc_lo, s10, v4
	s_wait_alu 0xfffd
	v_add_co_ci_u32_e64 v78, null, s11, v5, vcc_lo
	v_add_co_u32 v79, vcc_lo, s8, v6
	v_add3_u32 v9, v9, v13, v14
	s_wait_alu 0xfffd
	v_add_co_ci_u32_e64 v80, null, s9, v7, vcc_lo
	v_add_co_u32 v12, vcc_lo, v10, 4
	v_add_co_u32 v81, s3, s10, v6
	s_wait_alu 0xfffd
	v_add_co_ci_u32_e64 v6, null, 0, v11, vcc_lo
	v_lshlrev_b64_e32 v[4:5], 1, v[8:9]
	v_add_co_u32 v8, vcc_lo, v10, 3
	s_wait_alu 0xfffd
	v_add_co_ci_u32_e64 v9, null, 0, v11, vcc_lo
	s_wait_alu 0xf1ff
	v_add_co_ci_u32_e64 v82, null, s11, v7, s3
	v_mul_lo_u32 v13, s7, v12
	v_mul_lo_u32 v14, s6, v6
	v_mad_co_u64_u32 v[6:7], null, s6, v12, 0
	v_mul_lo_u32 v12, s7, v8
	v_mul_lo_u32 v15, s6, v9
	v_mad_co_u64_u32 v[8:9], null, s6, v8, 0
	v_add_co_u32 v83, vcc_lo, s8, v4
	s_wait_alu 0xfffd
	v_add_co_ci_u32_e64 v84, null, s9, v5, vcc_lo
	v_add3_u32 v7, v7, v14, v13
	v_add_co_u32 v85, vcc_lo, s10, v4
	s_wait_alu 0xfffd
	v_add_co_ci_u32_e64 v86, null, s11, v5, vcc_lo
	v_add_co_u32 v10, vcc_lo, v10, 2
	v_add3_u32 v9, v9, v15, v12
	s_wait_alu 0xfffd
	v_add_co_ci_u32_e64 v11, null, 0, v11, vcc_lo
	v_lshlrev_b64_e32 v[4:5], 1, v[6:7]
	v_mul_lo_u32 v12, s7, v10
	v_lshlrev_b64_e32 v[6:7], 1, v[8:9]
	s_delay_alu instid0(VALU_DEP_4)
	v_mul_lo_u32 v11, s6, v11
	v_mad_co_u64_u32 v[8:9], null, s6, v10, 0
	v_add_co_u32 v87, vcc_lo, s8, v4
	s_wait_alu 0xfffd
	v_add_co_ci_u32_e64 v88, null, s9, v5, vcc_lo
	v_add_co_u32 v89, vcc_lo, s10, v4
	s_wait_alu 0xfffd
	v_add_co_ci_u32_e64 v90, null, s11, v5, vcc_lo
	;; [unrolled: 3-line block ×3, first 2 shown]
	v_add3_u32 v9, v9, v11, v12
	v_add_co_u32 v93, vcc_lo, s10, v6
	s_wait_alu 0xfffd
	v_add_co_ci_u32_e64 v94, null, s11, v7, vcc_lo
	v_add_co_u32 v2, vcc_lo, v2, s6
	s_wait_alu 0xfffd
	v_add_co_ci_u32_e64 v3, null, s7, v3, vcc_lo
	v_lshlrev_b64_e32 v[4:5], 1, v[8:9]
	s_mov_b64 s[26:27], s[14:15]
	s_delay_alu instid0(VALU_DEP_2) | instskip(NEXT) | instid1(VALU_DEP_2)
	v_lshlrev_b64_e32 v[2:3], 1, v[2:3]
	v_add_co_u32 v95, vcc_lo, s8, v4
	s_wait_alu 0xfffd
	s_delay_alu instid0(VALU_DEP_3)
	v_add_co_ci_u32_e64 v96, null, s9, v5, vcc_lo
	v_add_co_u32 v97, vcc_lo, s10, v4
	s_wait_alu 0xfffd
	v_add_co_ci_u32_e64 v98, null, s11, v5, vcc_lo
	v_add_co_u32 v99, vcc_lo, s8, v2
	s_wait_alu 0xfffd
	;; [unrolled: 3-line block ×3, first 2 shown]
	v_add_co_ci_u32_e64 v102, null, s11, v3, vcc_lo
.LBB197_3:                              ; =>This Inner Loop Header: Depth=1
	v_cmp_ge_i64_e64 s3, s[24:25], s[4:5]
	v_add_co_u32 v104, s16, v37, s24
	s_wait_alu 0xf1ff
	v_add_co_ci_u32_e64 v105, null, 0, s25, s16
                                        ; implicit-def: $vgpr2_vgpr3_vgpr4_vgpr5_vgpr6_vgpr7_vgpr8_vgpr9_vgpr10_vgpr11_vgpr12_vgpr13_vgpr14_vgpr15_vgpr16_vgpr17
                                        ; implicit-def: $vgpr166
                                        ; implicit-def: $vgpr18_vgpr19_vgpr20_vgpr21_vgpr22_vgpr23_vgpr24_vgpr25_vgpr26_vgpr27_vgpr28_vgpr29_vgpr30_vgpr31_vgpr32_vgpr33
                                        ; implicit-def: $vgpr2
	s_and_b32 vcc_lo, exec_lo, s3
	s_mov_b32 s3, -1
	s_wait_alu 0xfffe
	s_cbranch_vccz .LBB197_41
; %bb.4:                                ;   in Loop: Header=BB197_3 Depth=1
	s_load_b32 s3, s[18:19], 0xc
	v_mov_b32_e32 v106, 0
	s_wait_kmcnt 0x0
	s_and_b32 s3, s3, 0xffff
	s_wait_alu 0xfffe
	v_mad_u32_u24 v2, v36, s3, v38
	s_mov_b32 s3, exec_lo
	s_delay_alu instid0(VALU_DEP_1) | instskip(NEXT) | instid1(VALU_DEP_1)
	v_and_b32_e32 v2, 31, v2
	v_cmpx_gt_u32_e32 16, v2
	s_cbranch_execz .LBB197_8
; %bb.5:                                ;   in Loop: Header=BB197_3 Depth=1
	v_add_co_u32 v2, vcc_lo, v104, v2
	s_wait_alu 0xfffd
	v_add_co_ci_u32_e64 v3, null, 0, v105, vcc_lo
	v_mov_b32_e32 v106, 0
	s_delay_alu instid0(VALU_DEP_3) | instskip(SKIP_1) | instid1(VALU_DEP_3)
	v_add_co_u32 v2, vcc_lo, 0xffffff01, v2
	s_wait_alu 0xfffd
	v_add_co_ci_u32_e64 v3, null, -1, v3, vcc_lo
	s_mov_b32 s16, exec_lo
	v_cmpx_gt_i64_e64 s[4:5], v[2:3]
	s_cbranch_execz .LBB197_7
; %bb.6:                                ;   in Loop: Header=BB197_3 Depth=1
	v_lshlrev_b64_e32 v[2:3], 2, v[2:3]
	s_delay_alu instid0(VALU_DEP_1) | instskip(SKIP_1) | instid1(VALU_DEP_2)
	v_add_co_u32 v2, vcc_lo, s12, v2
	s_wait_alu 0xfffd
	v_add_co_ci_u32_e64 v3, null, s13, v3, vcc_lo
	global_load_b32 v106, v[2:3], off
.LBB197_7:                              ;   in Loop: Header=BB197_3 Depth=1
	s_wait_alu 0xfffe
	s_or_b32 exec_lo, exec_lo, s16
.LBB197_8:                              ;   in Loop: Header=BB197_3 Depth=1
	s_wait_alu 0xfffe
	s_or_b32 exec_lo, exec_lo, s3
	v_add_co_u32 v17, vcc_lo, 0xffffff01, v104
	s_wait_alu 0xfffd
	v_add_co_ci_u32_e64 v18, null, -1, v105, vcc_lo
	v_mov_b32_e32 v16, v1
	v_dual_mov_b32 v2, v1 :: v_dual_mov_b32 v3, v1
	v_dual_mov_b32 v4, v1 :: v_dual_mov_b32 v5, v1
	;; [unrolled: 1-line block ×7, first 2 shown]
	v_cmp_gt_i64_e32 vcc_lo, s[4:5], v[17:18]
	s_delay_alu instid0(VALU_DEP_3) | instskip(NEXT) | instid1(VALU_DEP_3)
	v_dual_mov_b32 v33, v16 :: v_dual_mov_b32 v30, v13
	v_dual_mov_b32 v31, v14 :: v_dual_mov_b32 v32, v15
	;; [unrolled: 1-line block ×8, first 2 shown]
	v_mov_b32_e32 v17, v16
	v_mov_b32_e32 v16, v15
	;; [unrolled: 1-line block ×16, first 2 shown]
	s_and_b32 s16, s2, vcc_lo
	s_wait_alu 0xfffe
	s_and_saveexec_b32 s3, s16
	s_cbranch_execz .LBB197_10
; %bb.9:                                ;   in Loop: Header=BB197_3 Depth=1
	v_add_co_u32 v2, vcc_lo, v39, v34
	s_wait_alu 0xfffd
	v_add_co_ci_u32_e64 v3, null, v40, v35, vcc_lo
	v_add_co_u32 v4, vcc_lo, v41, v34
	s_wait_alu 0xfffd
	v_add_co_ci_u32_e64 v5, null, v42, v35, vcc_lo
	global_load_u16 v2, v[2:3], off
	global_load_u16 v18, v[4:5], off
	v_dual_mov_b32 v3, v1 :: v_dual_mov_b32 v4, v1
	v_dual_mov_b32 v5, v1 :: v_dual_mov_b32 v6, v1
	;; [unrolled: 1-line block ×14, first 2 shown]
	v_mov_b32_e32 v31, v1
	s_wait_loadcnt 0x1
	v_dual_mov_b32 v33, v1 :: v_dual_lshlrev_b32 v2, 16, v2
	s_wait_loadcnt 0x0
	v_lshlrev_b32_e32 v18, 16, v18
.LBB197_10:                             ;   in Loop: Header=BB197_3 Depth=1
	s_wait_alu 0xfffe
	s_or_b32 exec_lo, exec_lo, s3
	v_add_co_u32 v107, vcc_lo, 0xffffff02, v104
	s_wait_alu 0xfffd
	v_add_co_ci_u32_e64 v108, null, -1, v105, vcc_lo
	s_delay_alu instid0(VALU_DEP_1)
	v_cmp_gt_i64_e32 vcc_lo, s[4:5], v[107:108]
	s_and_b32 s16, s2, vcc_lo
	s_wait_alu 0xfffe
	s_and_saveexec_b32 s3, s16
	s_cbranch_execz .LBB197_12
; %bb.11:                               ;   in Loop: Header=BB197_3 Depth=1
	v_add_co_u32 v107, vcc_lo, v99, v34
	s_wait_alu 0xfffd
	v_add_co_ci_u32_e64 v108, null, v100, v35, vcc_lo
	v_add_co_u32 v109, vcc_lo, v101, v34
	s_wait_alu 0xfffd
	v_add_co_ci_u32_e64 v110, null, v102, v35, vcc_lo
	global_load_u16 v3, v[107:108], off
	global_load_u16 v19, v[109:110], off
	s_wait_loadcnt 0x1
	v_lshlrev_b32_e32 v3, 16, v3
	s_wait_loadcnt 0x0
	v_lshlrev_b32_e32 v19, 16, v19
.LBB197_12:                             ;   in Loop: Header=BB197_3 Depth=1
	s_wait_alu 0xfffe
	s_or_b32 exec_lo, exec_lo, s3
	v_add_co_u32 v107, vcc_lo, 0xffffff03, v104
	s_wait_alu 0xfffd
	v_add_co_ci_u32_e64 v108, null, -1, v105, vcc_lo
	s_delay_alu instid0(VALU_DEP_1)
	v_cmp_gt_i64_e32 vcc_lo, s[4:5], v[107:108]
	s_and_b32 s16, s2, vcc_lo
	s_wait_alu 0xfffe
	s_and_saveexec_b32 s3, s16
	s_cbranch_execz .LBB197_14
; %bb.13:                               ;   in Loop: Header=BB197_3 Depth=1
	v_add_co_u32 v107, vcc_lo, v95, v34
	s_wait_alu 0xfffd
	v_add_co_ci_u32_e64 v108, null, v96, v35, vcc_lo
	v_add_co_u32 v109, vcc_lo, v97, v34
	s_wait_alu 0xfffd
	v_add_co_ci_u32_e64 v110, null, v98, v35, vcc_lo
	global_load_u16 v4, v[107:108], off
	global_load_u16 v20, v[109:110], off
	s_wait_loadcnt 0x1
	v_lshlrev_b32_e32 v4, 16, v4
	s_wait_loadcnt 0x0
	v_lshlrev_b32_e32 v20, 16, v20
.LBB197_14:                             ;   in Loop: Header=BB197_3 Depth=1
	;; [unrolled: 25-line block ×15, first 2 shown]
	s_wait_alu 0xfffe
	s_or_b32 exec_lo, exec_lo, s3
	s_wait_loadcnt 0x0
	ds_bpermute_b32 v107, v1, v106
	ds_bpermute_b32 v108, v1, v106 offset:4
	ds_bpermute_b32 v109, v1, v106 offset:8
	v_dual_mul_f32 v2, v18, v2 :: v_dual_mul_f32 v3, v19, v3
	ds_bpermute_b32 v18, v1, v106 offset:12
	ds_bpermute_b32 v19, v1, v106 offset:16
	s_mov_b32 s3, 0
	s_wait_dscnt 0x4
	v_fma_f32 v166, v2, v107, v103
	v_mul_f32_e32 v2, v20, v4
	ds_bpermute_b32 v4, v1, v106 offset:20
	s_wait_dscnt 0x4
	v_dual_fmac_f32 v166, v3, v108 :: v_dual_mul_f32 v3, v21, v5
	ds_bpermute_b32 v5, v1, v106 offset:24
	s_wait_dscnt 0x4
	v_fmac_f32_e32 v166, v2, v109
	v_mul_f32_e32 v2, v22, v6
	ds_bpermute_b32 v6, v1, v106 offset:28
	s_wait_dscnt 0x4
	v_fmac_f32_e32 v166, v3, v18
	v_mul_f32_e32 v3, v23, v7
	;; [unrolled: 4-line block ×3, first 2 shown]
	ds_bpermute_b32 v8, v1, v106 offset:36
	s_wait_dscnt 0x4
	v_dual_fmac_f32 v166, v3, v4 :: v_dual_mul_f32 v3, v25, v9
	ds_bpermute_b32 v4, v1, v106 offset:40
	s_wait_dscnt 0x4
	v_fmac_f32_e32 v166, v2, v5
	v_mul_f32_e32 v2, v26, v10
	ds_bpermute_b32 v5, v1, v106 offset:44
	s_wait_dscnt 0x4
	v_fmac_f32_e32 v166, v3, v6
	v_mul_f32_e32 v3, v27, v11
	;; [unrolled: 4-line block ×3, first 2 shown]
	ds_bpermute_b32 v7, v1, v106 offset:52
	s_wait_dscnt 0x4
	v_dual_fmac_f32 v166, v3, v8 :: v_dual_mul_f32 v3, v29, v13
	v_mul_f32_e32 v8, v30, v14
	s_wait_dscnt 0x3
	s_delay_alu instid0(VALU_DEP_2)
	v_fmac_f32_e32 v166, v2, v4
	ds_bpermute_b32 v4, v1, v106 offset:56
	ds_bpermute_b32 v2, v1, v106 offset:60
	s_wait_dscnt 0x4
	v_fmac_f32_e32 v166, v3, v5
	s_wait_dscnt 0x3
	s_delay_alu instid0(VALU_DEP_1) | instskip(SKIP_1) | instid1(VALU_DEP_1)
	v_dual_mul_f32 v3, v31, v15 :: v_dual_fmac_f32 v166, v8, v6
	s_wait_dscnt 0x2
	v_dual_fmac_f32 v166, v3, v7 :: v_dual_mul_f32 v3, v32, v16
	s_wait_dscnt 0x1
	s_delay_alu instid0(VALU_DEP_1)
	v_fmac_f32_e32 v166, v3, v4
.LBB197_41:                             ;   in Loop: Header=BB197_3 Depth=1
	s_wait_alu 0xfffe
	s_and_b32 vcc_lo, exec_lo, s3
	s_wait_alu 0xfffe
	s_cbranch_vccz .LBB197_64
; %bb.42:                               ;   in Loop: Header=BB197_3 Depth=1
	s_load_b32 s3, s[18:19], 0x0
	v_mov_b32_e32 v106, 0
	s_wait_kmcnt 0x0
	s_cmp_lt_u32 ttmp9, s3
	s_cselect_b32 s16, 12, 18
	s_wait_alu 0xfffe
	s_add_nc_u64 s[30:31], s[18:19], s[16:17]
	s_load_u16 s3, s[30:31], 0x0
	s_wait_dscnt 0x0
	s_wait_kmcnt 0x0
	v_mad_u32_u24 v2, v36, s3, v38
	s_mov_b32 s3, exec_lo
	s_delay_alu instid0(VALU_DEP_1) | instskip(NEXT) | instid1(VALU_DEP_1)
	v_and_b32_e32 v2, 31, v2
	v_cmpx_gt_u32_e32 16, v2
	s_cbranch_execz .LBB197_46
; %bb.43:                               ;   in Loop: Header=BB197_3 Depth=1
	v_add_co_u32 v2, vcc_lo, v104, v2
	s_wait_alu 0xfffd
	v_add_co_ci_u32_e64 v3, null, 0, v105, vcc_lo
	v_mov_b32_e32 v106, 0
	s_delay_alu instid0(VALU_DEP_3) | instskip(SKIP_1) | instid1(VALU_DEP_3)
	v_add_co_u32 v2, vcc_lo, 0xffffff01, v2
	s_wait_alu 0xfffd
	v_add_co_ci_u32_e64 v3, null, -1, v3, vcc_lo
	s_mov_b32 s16, exec_lo
	v_cmpx_gt_i64_e64 s[4:5], v[2:3]
	s_cbranch_execz .LBB197_45
; %bb.44:                               ;   in Loop: Header=BB197_3 Depth=1
	v_lshlrev_b64_e32 v[2:3], 2, v[2:3]
	s_delay_alu instid0(VALU_DEP_1) | instskip(SKIP_1) | instid1(VALU_DEP_2)
	v_add_co_u32 v2, vcc_lo, s12, v2
	s_wait_alu 0xfffd
	v_add_co_ci_u32_e64 v3, null, s13, v3, vcc_lo
	global_load_b32 v106, v[2:3], off
.LBB197_45:                             ;   in Loop: Header=BB197_3 Depth=1
	s_wait_alu 0xfffe
	s_or_b32 exec_lo, exec_lo, s16
.LBB197_46:                             ;   in Loop: Header=BB197_3 Depth=1
	s_wait_alu 0xfffe
	s_or_b32 exec_lo, exec_lo, s3
	v_mov_b32_e32 v16, v1
	v_dual_mov_b32 v2, v1 :: v_dual_mov_b32 v3, v1
	v_dual_mov_b32 v4, v1 :: v_dual_mov_b32 v5, v1
	;; [unrolled: 1-line block ×7, first 2 shown]
	v_mov_b32_e32 v33, v16
	s_delay_alu instid0(VALU_DEP_3) | instskip(NEXT) | instid1(VALU_DEP_3)
	v_dual_mov_b32 v29, v12 :: v_dual_mov_b32 v28, v11
	v_dual_mov_b32 v31, v14 :: v_dual_mov_b32 v30, v13
	s_delay_alu instid0(VALU_DEP_4)
	v_dual_mov_b32 v32, v15 :: v_dual_mov_b32 v27, v10
	v_dual_mov_b32 v26, v9 :: v_dual_mov_b32 v25, v8
	;; [unrolled: 1-line block ×6, first 2 shown]
	v_mov_b32_e32 v16, v15
	v_mov_b32_e32 v15, v14
	;; [unrolled: 1-line block ×15, first 2 shown]
	s_and_saveexec_b32 s3, s2
	s_cbranch_execnz .LBB197_66
; %bb.47:                               ;   in Loop: Header=BB197_3 Depth=1
	s_wait_alu 0xfffe
	s_or_b32 exec_lo, exec_lo, s3
	s_and_saveexec_b32 s3, s2
	s_cbranch_execnz .LBB197_67
.LBB197_48:                             ;   in Loop: Header=BB197_3 Depth=1
	s_wait_alu 0xfffe
	s_or_b32 exec_lo, exec_lo, s3
	s_and_saveexec_b32 s3, s2
	s_cbranch_execnz .LBB197_68
.LBB197_49:                             ;   in Loop: Header=BB197_3 Depth=1
	s_wait_alu 0xfffe
	s_or_b32 exec_lo, exec_lo, s3
	s_and_saveexec_b32 s3, s2
	s_cbranch_execnz .LBB197_69
.LBB197_50:                             ;   in Loop: Header=BB197_3 Depth=1
	s_wait_alu 0xfffe
	s_or_b32 exec_lo, exec_lo, s3
	s_and_saveexec_b32 s3, s2
	s_cbranch_execnz .LBB197_70
.LBB197_51:                             ;   in Loop: Header=BB197_3 Depth=1
	s_wait_alu 0xfffe
	s_or_b32 exec_lo, exec_lo, s3
	s_and_saveexec_b32 s3, s2
	s_cbranch_execnz .LBB197_71
.LBB197_52:                             ;   in Loop: Header=BB197_3 Depth=1
	s_wait_alu 0xfffe
	s_or_b32 exec_lo, exec_lo, s3
	s_and_saveexec_b32 s3, s2
	s_cbranch_execnz .LBB197_72
.LBB197_53:                             ;   in Loop: Header=BB197_3 Depth=1
	s_wait_alu 0xfffe
	s_or_b32 exec_lo, exec_lo, s3
	s_and_saveexec_b32 s3, s2
	s_cbranch_execnz .LBB197_73
.LBB197_54:                             ;   in Loop: Header=BB197_3 Depth=1
	s_wait_alu 0xfffe
	s_or_b32 exec_lo, exec_lo, s3
	s_and_saveexec_b32 s3, s2
	s_cbranch_execnz .LBB197_74
.LBB197_55:                             ;   in Loop: Header=BB197_3 Depth=1
	s_wait_alu 0xfffe
	s_or_b32 exec_lo, exec_lo, s3
	s_and_saveexec_b32 s3, s2
	s_cbranch_execnz .LBB197_75
.LBB197_56:                             ;   in Loop: Header=BB197_3 Depth=1
	s_wait_alu 0xfffe
	s_or_b32 exec_lo, exec_lo, s3
	s_and_saveexec_b32 s3, s2
	s_cbranch_execnz .LBB197_76
.LBB197_57:                             ;   in Loop: Header=BB197_3 Depth=1
	s_wait_alu 0xfffe
	s_or_b32 exec_lo, exec_lo, s3
	s_and_saveexec_b32 s3, s2
	s_cbranch_execnz .LBB197_77
.LBB197_58:                             ;   in Loop: Header=BB197_3 Depth=1
	s_wait_alu 0xfffe
	s_or_b32 exec_lo, exec_lo, s3
	s_and_saveexec_b32 s3, s2
	s_cbranch_execnz .LBB197_78
.LBB197_59:                             ;   in Loop: Header=BB197_3 Depth=1
	s_wait_alu 0xfffe
	s_or_b32 exec_lo, exec_lo, s3
	s_and_saveexec_b32 s3, s2
	s_cbranch_execnz .LBB197_79
.LBB197_60:                             ;   in Loop: Header=BB197_3 Depth=1
	s_wait_alu 0xfffe
	s_or_b32 exec_lo, exec_lo, s3
	s_and_saveexec_b32 s3, s2
	s_cbranch_execnz .LBB197_80
.LBB197_61:                             ;   in Loop: Header=BB197_3 Depth=1
	s_wait_alu 0xfffe
	s_or_b32 exec_lo, exec_lo, s3
	s_and_saveexec_b32 s3, s2
	s_cbranch_execz .LBB197_63
.LBB197_62:                             ;   in Loop: Header=BB197_3 Depth=1
	v_add_co_u32 v104, vcc_lo, v43, v34
	s_wait_alu 0xfffd
	v_add_co_ci_u32_e64 v105, null, v44, v35, vcc_lo
	v_add_co_u32 v107, vcc_lo, v45, v34
	s_wait_alu 0xfffd
	v_add_co_ci_u32_e64 v108, null, v46, v35, vcc_lo
	global_load_u16 v17, v[104:105], off
	global_load_u16 v33, v[107:108], off
	s_wait_loadcnt 0x1
	v_lshlrev_b32_e32 v17, 16, v17
	s_wait_loadcnt 0x0
	v_lshlrev_b32_e32 v33, 16, v33
.LBB197_63:                             ;   in Loop: Header=BB197_3 Depth=1
	s_wait_alu 0xfffe
	s_or_b32 exec_lo, exec_lo, s3
	s_wait_loadcnt 0x0
	ds_bpermute_b32 v104, v1, v106
	ds_bpermute_b32 v105, v1, v106 offset:4
	ds_bpermute_b32 v107, v1, v106 offset:8
	v_dual_mul_f32 v2, v18, v2 :: v_dual_mul_f32 v3, v19, v3
	ds_bpermute_b32 v18, v1, v106 offset:12
	ds_bpermute_b32 v19, v1, v106 offset:16
	s_wait_dscnt 0x4
	v_fmac_f32_e32 v103, v2, v104
	v_mul_f32_e32 v2, v20, v4
	ds_bpermute_b32 v4, v1, v106 offset:20
	s_wait_dscnt 0x4
	v_fmac_f32_e32 v103, v3, v105
	v_mul_f32_e32 v3, v21, v5
	;; [unrolled: 4-line block ×4, first 2 shown]
	ds_bpermute_b32 v7, v1, v106 offset:32
	s_wait_dscnt 0x4
	v_dual_fmac_f32 v103, v2, v19 :: v_dual_mul_f32 v2, v24, v8
	ds_bpermute_b32 v8, v1, v106 offset:36
	s_wait_dscnt 0x4
	v_fmac_f32_e32 v103, v3, v4
	v_mul_f32_e32 v3, v25, v9
	ds_bpermute_b32 v4, v1, v106 offset:40
	s_wait_dscnt 0x4
	v_fmac_f32_e32 v103, v2, v5
	v_mul_f32_e32 v2, v26, v10
	;; [unrolled: 4-line block ×3, first 2 shown]
	ds_bpermute_b32 v6, v1, v106 offset:48
	s_wait_dscnt 0x4
	v_dual_fmac_f32 v103, v2, v7 :: v_dual_mul_f32 v2, v28, v12
	ds_bpermute_b32 v7, v1, v106 offset:52
	s_wait_dscnt 0x4
	v_fmac_f32_e32 v103, v3, v8
	v_mul_f32_e32 v3, v29, v13
	s_wait_dscnt 0x3
	s_delay_alu instid0(VALU_DEP_2)
	v_fmac_f32_e32 v103, v2, v4
	ds_bpermute_b32 v4, v1, v106 offset:56
	s_wait_dscnt 0x3
	v_dual_mul_f32 v2, v30, v14 :: v_dual_fmac_f32 v103, v3, v5
	v_mul_f32_e32 v3, v31, v15
	s_wait_dscnt 0x2
	s_delay_alu instid0(VALU_DEP_2)
	v_fmac_f32_e32 v103, v2, v6
	ds_bpermute_b32 v2, v1, v106 offset:60
	s_wait_dscnt 0x2
	v_fmac_f32_e32 v103, v3, v7
	v_mul_f32_e32 v3, v32, v16
	s_wait_dscnt 0x1
	s_delay_alu instid0(VALU_DEP_1) | instskip(NEXT) | instid1(VALU_DEP_1)
	v_fmac_f32_e32 v103, v3, v4
	v_mov_b32_e32 v166, v103
.LBB197_64:                             ;   in Loop: Header=BB197_3 Depth=1
	v_add_co_u32 v39, vcc_lo, v39, s22
	s_wait_alu 0xfffd
	v_add_co_ci_u32_e64 v40, null, s23, v40, vcc_lo
	v_add_co_u32 v41, vcc_lo, v41, s22
	s_wait_alu 0xfffd
	v_add_co_ci_u32_e64 v42, null, s23, v42, vcc_lo
	;; [unrolled: 3-line block ×29, first 2 shown]
	v_add_co_u32 v97, vcc_lo, v97, s22
	v_mul_f32_e32 v3, v17, v33
	s_add_nc_u64 s[26:27], s[26:27], s[20:21]
	s_wait_alu 0xfffd
	v_add_co_ci_u32_e64 v98, null, s23, v98, vcc_lo
	v_add_co_u32 v99, vcc_lo, v99, s22
	s_wait_alu 0xfffe
	v_cmp_lt_i64_e64 s3, s[26:27], s[4:5]
	s_wait_alu 0xfffd
	v_add_co_ci_u32_e64 v100, null, s23, v100, vcc_lo
	v_add_co_u32 v101, vcc_lo, v101, s22
	s_wait_dscnt 0x0
	v_fmac_f32_e32 v166, v3, v2
	s_wait_alu 0xfffd
	v_add_co_ci_u32_e64 v102, null, s23, v102, vcc_lo
	s_and_b32 vcc_lo, exec_lo, s3
	s_add_nc_u64 s[24:25], s[24:25], s[20:21]
	s_wait_alu 0xfffe
	s_cbranch_vccz .LBB197_82
; %bb.65:                               ;   in Loop: Header=BB197_3 Depth=1
	v_mov_b32_e32 v103, v166
	s_branch .LBB197_3
.LBB197_66:                             ;   in Loop: Header=BB197_3 Depth=1
	v_add_co_u32 v2, vcc_lo, v39, v34
	s_wait_alu 0xfffd
	v_add_co_ci_u32_e64 v3, null, v40, v35, vcc_lo
	v_add_co_u32 v4, vcc_lo, v41, v34
	s_wait_alu 0xfffd
	v_add_co_ci_u32_e64 v5, null, v42, v35, vcc_lo
	global_load_u16 v2, v[2:3], off
	global_load_u16 v18, v[4:5], off
	v_dual_mov_b32 v3, v1 :: v_dual_mov_b32 v4, v1
	v_dual_mov_b32 v5, v1 :: v_dual_mov_b32 v6, v1
	;; [unrolled: 1-line block ×14, first 2 shown]
	v_mov_b32_e32 v31, v1
	s_wait_loadcnt 0x1
	v_dual_mov_b32 v33, v1 :: v_dual_lshlrev_b32 v2, 16, v2
	s_wait_loadcnt 0x0
	v_lshlrev_b32_e32 v18, 16, v18
	s_wait_alu 0xfffe
	s_or_b32 exec_lo, exec_lo, s3
	s_and_saveexec_b32 s3, s2
	s_cbranch_execz .LBB197_48
.LBB197_67:                             ;   in Loop: Header=BB197_3 Depth=1
	v_add_co_u32 v104, vcc_lo, v99, v34
	s_wait_alu 0xfffd
	v_add_co_ci_u32_e64 v105, null, v100, v35, vcc_lo
	v_add_co_u32 v107, vcc_lo, v101, v34
	s_wait_alu 0xfffd
	v_add_co_ci_u32_e64 v108, null, v102, v35, vcc_lo
	global_load_u16 v3, v[104:105], off
	global_load_u16 v19, v[107:108], off
	s_wait_loadcnt 0x1
	v_lshlrev_b32_e32 v3, 16, v3
	s_wait_loadcnt 0x0
	v_lshlrev_b32_e32 v19, 16, v19
	s_wait_alu 0xfffe
	s_or_b32 exec_lo, exec_lo, s3
	s_and_saveexec_b32 s3, s2
	s_cbranch_execz .LBB197_49
.LBB197_68:                             ;   in Loop: Header=BB197_3 Depth=1
	v_add_co_u32 v104, vcc_lo, v95, v34
	s_wait_alu 0xfffd
	v_add_co_ci_u32_e64 v105, null, v96, v35, vcc_lo
	v_add_co_u32 v107, vcc_lo, v97, v34
	s_wait_alu 0xfffd
	v_add_co_ci_u32_e64 v108, null, v98, v35, vcc_lo
	global_load_u16 v4, v[104:105], off
	global_load_u16 v20, v[107:108], off
	s_wait_loadcnt 0x1
	v_lshlrev_b32_e32 v4, 16, v4
	s_wait_loadcnt 0x0
	v_lshlrev_b32_e32 v20, 16, v20
	s_wait_alu 0xfffe
	s_or_b32 exec_lo, exec_lo, s3
	s_and_saveexec_b32 s3, s2
	s_cbranch_execz .LBB197_50
.LBB197_69:                             ;   in Loop: Header=BB197_3 Depth=1
	v_add_co_u32 v104, vcc_lo, v91, v34
	s_wait_alu 0xfffd
	v_add_co_ci_u32_e64 v105, null, v92, v35, vcc_lo
	v_add_co_u32 v107, vcc_lo, v93, v34
	s_wait_alu 0xfffd
	v_add_co_ci_u32_e64 v108, null, v94, v35, vcc_lo
	global_load_u16 v5, v[104:105], off
	global_load_u16 v21, v[107:108], off
	s_wait_loadcnt 0x1
	v_lshlrev_b32_e32 v5, 16, v5
	s_wait_loadcnt 0x0
	v_lshlrev_b32_e32 v21, 16, v21
	s_wait_alu 0xfffe
	s_or_b32 exec_lo, exec_lo, s3
	s_and_saveexec_b32 s3, s2
	s_cbranch_execz .LBB197_51
.LBB197_70:                             ;   in Loop: Header=BB197_3 Depth=1
	v_add_co_u32 v104, vcc_lo, v87, v34
	s_wait_alu 0xfffd
	v_add_co_ci_u32_e64 v105, null, v88, v35, vcc_lo
	v_add_co_u32 v107, vcc_lo, v89, v34
	s_wait_alu 0xfffd
	v_add_co_ci_u32_e64 v108, null, v90, v35, vcc_lo
	global_load_u16 v6, v[104:105], off
	global_load_u16 v22, v[107:108], off
	s_wait_loadcnt 0x1
	v_lshlrev_b32_e32 v6, 16, v6
	s_wait_loadcnt 0x0
	v_lshlrev_b32_e32 v22, 16, v22
	s_wait_alu 0xfffe
	s_or_b32 exec_lo, exec_lo, s3
	s_and_saveexec_b32 s3, s2
	s_cbranch_execz .LBB197_52
.LBB197_71:                             ;   in Loop: Header=BB197_3 Depth=1
	v_add_co_u32 v104, vcc_lo, v83, v34
	s_wait_alu 0xfffd
	v_add_co_ci_u32_e64 v105, null, v84, v35, vcc_lo
	v_add_co_u32 v107, vcc_lo, v85, v34
	s_wait_alu 0xfffd
	v_add_co_ci_u32_e64 v108, null, v86, v35, vcc_lo
	global_load_u16 v7, v[104:105], off
	global_load_u16 v23, v[107:108], off
	s_wait_loadcnt 0x1
	v_lshlrev_b32_e32 v7, 16, v7
	s_wait_loadcnt 0x0
	v_lshlrev_b32_e32 v23, 16, v23
	s_wait_alu 0xfffe
	s_or_b32 exec_lo, exec_lo, s3
	s_and_saveexec_b32 s3, s2
	s_cbranch_execz .LBB197_53
.LBB197_72:                             ;   in Loop: Header=BB197_3 Depth=1
	v_add_co_u32 v104, vcc_lo, v79, v34
	s_wait_alu 0xfffd
	v_add_co_ci_u32_e64 v105, null, v80, v35, vcc_lo
	v_add_co_u32 v107, vcc_lo, v81, v34
	s_wait_alu 0xfffd
	v_add_co_ci_u32_e64 v108, null, v82, v35, vcc_lo
	global_load_u16 v8, v[104:105], off
	global_load_u16 v24, v[107:108], off
	s_wait_loadcnt 0x1
	v_lshlrev_b32_e32 v8, 16, v8
	s_wait_loadcnt 0x0
	v_lshlrev_b32_e32 v24, 16, v24
	s_wait_alu 0xfffe
	s_or_b32 exec_lo, exec_lo, s3
	s_and_saveexec_b32 s3, s2
	s_cbranch_execz .LBB197_54
.LBB197_73:                             ;   in Loop: Header=BB197_3 Depth=1
	v_add_co_u32 v104, vcc_lo, v75, v34
	s_wait_alu 0xfffd
	v_add_co_ci_u32_e64 v105, null, v76, v35, vcc_lo
	v_add_co_u32 v107, vcc_lo, v77, v34
	s_wait_alu 0xfffd
	v_add_co_ci_u32_e64 v108, null, v78, v35, vcc_lo
	global_load_u16 v9, v[104:105], off
	global_load_u16 v25, v[107:108], off
	s_wait_loadcnt 0x1
	v_lshlrev_b32_e32 v9, 16, v9
	s_wait_loadcnt 0x0
	v_lshlrev_b32_e32 v25, 16, v25
	s_wait_alu 0xfffe
	s_or_b32 exec_lo, exec_lo, s3
	s_and_saveexec_b32 s3, s2
	s_cbranch_execz .LBB197_55
.LBB197_74:                             ;   in Loop: Header=BB197_3 Depth=1
	v_add_co_u32 v104, vcc_lo, v71, v34
	s_wait_alu 0xfffd
	v_add_co_ci_u32_e64 v105, null, v72, v35, vcc_lo
	v_add_co_u32 v107, vcc_lo, v73, v34
	s_wait_alu 0xfffd
	v_add_co_ci_u32_e64 v108, null, v74, v35, vcc_lo
	global_load_u16 v10, v[104:105], off
	global_load_u16 v26, v[107:108], off
	s_wait_loadcnt 0x1
	v_lshlrev_b32_e32 v10, 16, v10
	s_wait_loadcnt 0x0
	v_lshlrev_b32_e32 v26, 16, v26
	s_wait_alu 0xfffe
	s_or_b32 exec_lo, exec_lo, s3
	s_and_saveexec_b32 s3, s2
	s_cbranch_execz .LBB197_56
.LBB197_75:                             ;   in Loop: Header=BB197_3 Depth=1
	v_add_co_u32 v104, vcc_lo, v67, v34
	s_wait_alu 0xfffd
	v_add_co_ci_u32_e64 v105, null, v68, v35, vcc_lo
	v_add_co_u32 v107, vcc_lo, v69, v34
	s_wait_alu 0xfffd
	v_add_co_ci_u32_e64 v108, null, v70, v35, vcc_lo
	global_load_u16 v11, v[104:105], off
	global_load_u16 v27, v[107:108], off
	s_wait_loadcnt 0x1
	v_lshlrev_b32_e32 v11, 16, v11
	s_wait_loadcnt 0x0
	v_lshlrev_b32_e32 v27, 16, v27
	s_wait_alu 0xfffe
	s_or_b32 exec_lo, exec_lo, s3
	s_and_saveexec_b32 s3, s2
	s_cbranch_execz .LBB197_57
.LBB197_76:                             ;   in Loop: Header=BB197_3 Depth=1
	v_add_co_u32 v104, vcc_lo, v63, v34
	s_wait_alu 0xfffd
	v_add_co_ci_u32_e64 v105, null, v64, v35, vcc_lo
	v_add_co_u32 v107, vcc_lo, v65, v34
	s_wait_alu 0xfffd
	v_add_co_ci_u32_e64 v108, null, v66, v35, vcc_lo
	global_load_u16 v12, v[104:105], off
	global_load_u16 v28, v[107:108], off
	s_wait_loadcnt 0x1
	v_lshlrev_b32_e32 v12, 16, v12
	s_wait_loadcnt 0x0
	v_lshlrev_b32_e32 v28, 16, v28
	s_wait_alu 0xfffe
	s_or_b32 exec_lo, exec_lo, s3
	s_and_saveexec_b32 s3, s2
	s_cbranch_execz .LBB197_58
.LBB197_77:                             ;   in Loop: Header=BB197_3 Depth=1
	v_add_co_u32 v104, vcc_lo, v59, v34
	s_wait_alu 0xfffd
	v_add_co_ci_u32_e64 v105, null, v60, v35, vcc_lo
	v_add_co_u32 v107, vcc_lo, v61, v34
	s_wait_alu 0xfffd
	v_add_co_ci_u32_e64 v108, null, v62, v35, vcc_lo
	global_load_u16 v13, v[104:105], off
	global_load_u16 v29, v[107:108], off
	s_wait_loadcnt 0x1
	v_lshlrev_b32_e32 v13, 16, v13
	s_wait_loadcnt 0x0
	v_lshlrev_b32_e32 v29, 16, v29
	s_wait_alu 0xfffe
	s_or_b32 exec_lo, exec_lo, s3
	s_and_saveexec_b32 s3, s2
	s_cbranch_execz .LBB197_59
.LBB197_78:                             ;   in Loop: Header=BB197_3 Depth=1
	v_add_co_u32 v104, vcc_lo, v55, v34
	s_wait_alu 0xfffd
	v_add_co_ci_u32_e64 v105, null, v56, v35, vcc_lo
	v_add_co_u32 v107, vcc_lo, v57, v34
	s_wait_alu 0xfffd
	v_add_co_ci_u32_e64 v108, null, v58, v35, vcc_lo
	global_load_u16 v14, v[104:105], off
	global_load_u16 v30, v[107:108], off
	s_wait_loadcnt 0x1
	v_lshlrev_b32_e32 v14, 16, v14
	s_wait_loadcnt 0x0
	v_lshlrev_b32_e32 v30, 16, v30
	s_wait_alu 0xfffe
	s_or_b32 exec_lo, exec_lo, s3
	s_and_saveexec_b32 s3, s2
	s_cbranch_execz .LBB197_60
.LBB197_79:                             ;   in Loop: Header=BB197_3 Depth=1
	v_add_co_u32 v104, vcc_lo, v51, v34
	s_wait_alu 0xfffd
	v_add_co_ci_u32_e64 v105, null, v52, v35, vcc_lo
	v_add_co_u32 v107, vcc_lo, v53, v34
	s_wait_alu 0xfffd
	v_add_co_ci_u32_e64 v108, null, v54, v35, vcc_lo
	global_load_u16 v15, v[104:105], off
	global_load_u16 v31, v[107:108], off
	s_wait_loadcnt 0x1
	v_lshlrev_b32_e32 v15, 16, v15
	s_wait_loadcnt 0x0
	v_lshlrev_b32_e32 v31, 16, v31
	s_wait_alu 0xfffe
	s_or_b32 exec_lo, exec_lo, s3
	s_and_saveexec_b32 s3, s2
	s_cbranch_execz .LBB197_61
.LBB197_80:                             ;   in Loop: Header=BB197_3 Depth=1
	v_add_co_u32 v104, vcc_lo, v47, v34
	s_wait_alu 0xfffd
	v_add_co_ci_u32_e64 v105, null, v48, v35, vcc_lo
	v_add_co_u32 v107, vcc_lo, v49, v34
	s_wait_alu 0xfffd
	v_add_co_ci_u32_e64 v108, null, v50, v35, vcc_lo
	global_load_u16 v16, v[104:105], off
	global_load_u16 v32, v[107:108], off
	s_wait_loadcnt 0x1
	v_lshlrev_b32_e32 v16, 16, v16
	s_wait_loadcnt 0x0
	v_lshlrev_b32_e32 v32, 16, v32
	s_wait_alu 0xfffe
	s_or_b32 exec_lo, exec_lo, s3
	s_and_saveexec_b32 s3, s2
	s_cbranch_execnz .LBB197_62
	s_branch .LBB197_63
.LBB197_81:
                                        ; implicit-def: $vgpr166
	s_branch .LBB197_83
.LBB197_82:
	s_cbranch_execnz .LBB197_131
.LBB197_83:
	v_mov_b32_e32 v166, 0
	s_and_not1_b32 vcc_lo, exec_lo, s29
	s_wait_alu 0xfffe
	s_cbranch_vccnz .LBB197_131
; %bb.84:
	v_bfe_u32 v96, v0, 10, 10
	s_lshl_b64 s[2:3], s[14:15], 1
	v_dual_mov_b32 v163, 0 :: v_dual_and_b32 v158, 0x3ff, v0
	s_add_nc_u64 s[18:19], s[14:15], 0xff
	s_delay_alu instid0(VALU_DEP_2) | instskip(SKIP_1) | instid1(VALU_DEP_2)
	v_lshlrev_b32_e32 v97, 4, v96
	v_lshlrev_b32_e32 v1, 5, v96
	v_add_co_u32 v3, s16, v97, s14
	s_wait_alu 0xf1ff
	v_add_co_ci_u32_e64 v4, null, 0, 0, s16
	s_wait_alu 0xfffe
	v_add_co_u32 v5, s2, v1, s2
	v_mul_lo_u32 v7, s7, v3
	s_delay_alu instid0(VALU_DEP_3)
	v_mul_lo_u32 v8, s6, v4
	v_mad_co_u64_u32 v[1:2], null, s6, v3, 0
	s_wait_alu 0xf1ff
	v_add_co_ci_u32_e64 v6, null, 0, s3, s2
	v_add_co_u32 v9, vcc_lo, v5, 2
	s_load_b32 s2, s[0:1], 0x44
	v_add_co_ci_u32_e64 v10, null, 0, v6, vcc_lo
	v_add_co_u32 v11, vcc_lo, v5, 4
	s_wait_alu 0xfffd
	v_add_co_ci_u32_e64 v12, null, 0, v6, vcc_lo
	v_add3_u32 v2, v2, v8, v7
	v_add_co_u32 v7, vcc_lo, v5, 6
	s_wait_alu 0xfffd
	v_add_co_ci_u32_e64 v8, null, 0, v6, vcc_lo
	v_add_co_u32 v15, vcc_lo, v5, 8
	s_wait_alu 0xfffd
	v_add_co_ci_u32_e64 v16, null, 0, v6, vcc_lo
	;; [unrolled: 3-line block ×12, first 2 shown]
	v_add_co_u32 v5, vcc_lo, v5, 30
	v_mad_co_u64_u32 v[52:53], null, s6, v33, s[8:9]
	v_mul_lo_u32 v91, s6, v54
	v_mul_lo_u32 v92, s7, v33
	v_mad_co_u64_u32 v[54:55], null, s6, v84, s[8:9]
	v_mul_lo_u32 v93, s6, v56
	v_mul_lo_u32 v94, s7, v84
	v_mad_co_u64_u32 v[82:83], null, s6, v33, s[10:11]
	v_mad_co_u64_u32 v[84:85], null, s6, v84, s[10:11]
	s_wait_alu 0xfffd
	v_add_co_ci_u32_e64 v6, null, 0, v6, vcc_lo
	v_mad_co_u64_u32 v[38:39], null, s6, v7, s[8:9]
	v_mul_lo_u32 v8, s6, v8
	v_mul_lo_u32 v17, s7, v7
	v_mad_co_u64_u32 v[68:69], null, s6, v7, s[10:11]
	v_mul_lo_u32 v104, s6, v6
	v_add_co_u32 v6, vcc_lo, v3, 15
	v_mad_co_u64_u32 v[36:37], null, s6, v11, s[8:9]
	v_mul_lo_u32 v12, s6, v12
	v_mul_lo_u32 v14, s7, v11
	v_mad_co_u64_u32 v[66:67], null, s6, v11, s[10:11]
	v_add3_u32 v53, v92, v53, v91
	v_add3_u32 v55, v94, v55, v93
	v_mul_lo_u32 v102, s6, v62
	v_mad_co_u64_u32 v[62:63], null, s6, v5, s[8:9]
	v_mul_lo_u32 v105, s7, v5
	v_add3_u32 v83, v92, v83, v91
	v_add3_u32 v85, v94, v85, v93
	v_mad_co_u64_u32 v[92:93], null, s6, v5, s[10:11]
	s_wait_alu 0xfffd
	v_add_co_ci_u32_e64 v5, null, 0, v4, vcc_lo
	v_add_co_u32 v7, vcc_lo, v3, 14
	v_mad_co_u64_u32 v[34:35], null, s6, v9, s[8:9]
	v_mul_lo_u32 v10, s6, v10
	v_mul_lo_u32 v13, s7, v9
	v_mad_co_u64_u32 v[64:65], null, s6, v9, s[10:11]
	v_add3_u32 v39, v17, v39, v8
	v_add3_u32 v69, v17, v69, v8
	s_wait_alu 0xfffd
	v_add_co_ci_u32_e64 v8, null, 0, v4, vcc_lo
	v_add3_u32 v37, v14, v37, v12
	v_add3_u32 v67, v14, v67, v12
	v_mul_lo_u32 v11, s7, v7
	s_delay_alu instid0(VALU_DEP_4)
	v_mul_lo_u32 v12, s6, v8
	v_mad_co_u64_u32 v[7:8], null, s6, v7, 0
	v_add3_u32 v35, v13, v35, v10
	v_mad_co_u64_u32 v[40:41], null, s6, v15, s[8:9]
	v_mul_lo_u32 v16, s6, v16
	v_mul_lo_u32 v19, s7, v15
	v_mad_co_u64_u32 v[70:71], null, s6, v15, s[10:11]
	v_add3_u32 v65, v13, v65, v10
	v_mul_lo_u32 v9, s7, v6
	v_mul_lo_u32 v10, s6, v5
	v_mad_co_u64_u32 v[5:6], null, s6, v6, 0
	v_mad_co_u64_u32 v[42:43], null, s6, v18, s[8:9]
	v_mul_lo_u32 v20, s6, v20
	v_mul_lo_u32 v23, s7, v18
	v_mad_co_u64_u32 v[72:73], null, s6, v18, s[10:11]
	v_add_co_u32 v13, vcc_lo, v3, 13
	v_mad_co_u64_u32 v[44:45], null, s6, v21, s[8:9]
	v_mul_lo_u32 v22, s6, v22
	v_mul_lo_u32 v25, s7, v21
	v_mad_co_u64_u32 v[74:75], null, s6, v21, s[10:11]
	s_wait_alu 0xfffd
	v_add_co_ci_u32_e64 v14, null, 0, v4, vcc_lo
	v_add3_u32 v8, v8, v12, v11
	v_add_co_u32 v11, vcc_lo, v3, 12
	v_add3_u32 v41, v19, v41, v16
	v_add3_u32 v71, v19, v71, v16
	;; [unrolled: 1-line block ×3, first 2 shown]
	v_mul_lo_u32 v19, s7, v13
	v_mad_co_u64_u32 v[9:10], null, s6, v13, 0
	s_wait_alu 0xfffd
	v_add_co_ci_u32_e64 v12, null, 0, v4, vcc_lo
	v_add_co_u32 v13, vcc_lo, v3, 11
	v_mad_co_u64_u32 v[46:47], null, s6, v24, s[8:9]
	v_mul_lo_u32 v26, s6, v26
	v_mul_lo_u32 v29, s7, v24
	v_mad_co_u64_u32 v[76:77], null, s6, v24, s[10:11]
	v_add3_u32 v43, v23, v43, v20
	v_add3_u32 v73, v23, v73, v20
	v_mul_lo_u32 v20, s6, v14
	s_wait_alu 0xfffd
	v_add_co_ci_u32_e64 v14, null, 0, v4, vcc_lo
	v_add_co_u32 v15, vcc_lo, v3, 10
	s_wait_alu 0xfffd
	v_add_co_ci_u32_e64 v16, null, 0, v4, vcc_lo
	v_add3_u32 v45, v25, v45, v22
	v_add3_u32 v75, v25, v75, v22
	v_mul_lo_u32 v21, s7, v11
	v_mul_lo_u32 v22, s6, v12
	v_mad_co_u64_u32 v[11:12], null, s6, v11, 0
	v_mul_lo_u32 v23, s7, v13
	v_mul_lo_u32 v24, s6, v14
	v_mad_co_u64_u32 v[13:14], null, s6, v13, 0
	v_mad_co_u64_u32 v[50:51], null, s6, v31, s[8:9]
	v_mul_lo_u32 v32, s6, v32
	v_mul_lo_u32 v90, s7, v31
	v_mad_co_u64_u32 v[80:81], null, s6, v31, s[10:11]
	v_add3_u32 v47, v29, v47, v26
	v_add3_u32 v77, v29, v77, v26
	v_mul_lo_u32 v25, s7, v15
	v_add_co_u32 v17, vcc_lo, v3, 9
	v_mul_lo_u32 v26, s6, v16
	v_mad_co_u64_u32 v[15:16], null, s6, v15, 0
	s_wait_alu 0xfffd
	v_add_co_ci_u32_e64 v18, null, 0, v4, vcc_lo
	v_add3_u32 v10, v10, v20, v19
	v_add_co_u32 v19, vcc_lo, v3, 8
	v_mad_co_u64_u32 v[48:49], null, s6, v27, s[8:9]
	v_mul_lo_u32 v28, s6, v28
	v_mul_lo_u32 v30, s7, v27
	v_mad_co_u64_u32 v[78:79], null, s6, v27, s[10:11]
	v_add3_u32 v12, v12, v22, v21
	s_wait_alu 0xfffd
	v_add_co_ci_u32_e64 v20, null, 0, v4, vcc_lo
	v_add_co_u32 v21, vcc_lo, v3, 7
	v_mad_co_u64_u32 v[56:57], null, s6, v86, s[8:9]
	v_mul_lo_u32 v95, s6, v58
	v_mul_lo_u32 v98, s7, v86
	v_mad_co_u64_u32 v[86:87], null, s6, v86, s[10:11]
	v_add3_u32 v14, v14, v24, v23
	s_wait_alu 0xfffd
	v_add_co_ci_u32_e64 v22, null, 0, v4, vcc_lo
	v_add_co_u32 v23, vcc_lo, v3, 6
	v_add3_u32 v51, v90, v51, v32
	v_mad_co_u64_u32 v[58:59], null, s6, v88, s[8:9]
	v_mul_lo_u32 v99, s6, v60
	v_mul_lo_u32 v101, s7, v88
	v_mad_co_u64_u32 v[88:89], null, s6, v88, s[10:11]
	v_add3_u32 v81, v90, v81, v32
	v_mul_lo_u32 v31, s7, v17
	v_mul_lo_u32 v32, s6, v18
	v_mad_co_u64_u32 v[17:18], null, s6, v17, 0
	v_add3_u32 v16, v16, v26, v25
	s_wait_alu 0xfffd
	v_add_co_ci_u32_e64 v24, null, 0, v4, vcc_lo
	v_add_co_u32 v25, vcc_lo, v3, 5
	v_mad_co_u64_u32 v[60:61], null, s6, v100, s[8:9]
	v_mul_lo_u32 v103, s7, v100
	v_mad_co_u64_u32 v[90:91], null, s6, v100, s[10:11]
	s_wait_alu 0xfffd
	v_add_co_ci_u32_e64 v26, null, 0, v4, vcc_lo
	v_add_co_u32 v27, vcc_lo, v3, 4
	v_add3_u32 v49, v30, v49, v28
	v_add3_u32 v79, v30, v79, v28
	s_wait_alu 0xfffd
	v_add_co_ci_u32_e64 v28, null, 0, v4, vcc_lo
	v_add_co_u32 v29, vcc_lo, v3, 3
	v_add3_u32 v57, v98, v57, v95
	v_add3_u32 v87, v98, v87, v95
	v_mul_lo_u32 v95, s7, v21
	v_mul_lo_u32 v98, s6, v22
	v_mad_co_u64_u32 v[21:22], null, s6, v21, 0
	v_add3_u32 v63, v105, v63, v104
	v_add3_u32 v93, v105, v93, v104
	s_wait_alu 0xfffd
	v_add_co_ci_u32_e64 v30, null, 0, v4, vcc_lo
	v_add_co_u32 v105, vcc_lo, v3, 2
	v_add3_u32 v59, v101, v59, v99
	v_add3_u32 v89, v101, v89, v99
	v_mul_lo_u32 v99, s7, v23
	v_mul_lo_u32 v100, s6, v24
	v_mad_co_u64_u32 v[23:24], null, s6, v23, 0
	v_add3_u32 v18, v18, v32, v31
	v_lshlrev_b64_e32 v[31:32], 1, v[1:2]
	s_wait_alu 0xfffd
	v_add_co_ci_u32_e64 v106, null, 0, v4, vcc_lo
	v_add3_u32 v61, v103, v61, v102
	v_add3_u32 v91, v103, v91, v102
	v_mul_lo_u32 v101, s7, v25
	v_mul_lo_u32 v102, s6, v26
	v_mad_co_u64_u32 v[25:26], null, s6, v25, 0
	v_mul_lo_u32 v103, s7, v27
	v_mul_lo_u32 v104, s6, v28
	v_mad_co_u64_u32 v[27:28], null, s6, v27, 0
	v_add_co_u32 v1, vcc_lo, v1, s6
	v_lshlrev_b64_e32 v[5:6], 1, v[5:6]
	v_mul_lo_u32 v107, s6, v30
	v_mul_lo_u32 v108, s7, v29
	v_mad_co_u64_u32 v[3:4], null, s6, v29, 0
	v_mul_lo_u32 v106, s6, v106
	v_mul_lo_u32 v109, s7, v105
	v_mad_co_u64_u32 v[29:30], null, s6, v105, 0
	v_add3_u32 v22, v22, v98, v95
	s_wait_alu 0xfffd
	v_add_co_ci_u32_e64 v2, null, s7, v2, vcc_lo
	v_add_co_u32 v98, vcc_lo, s8, v31
	v_add3_u32 v24, v24, v100, v99
	s_wait_alu 0xfffd
	v_add_co_ci_u32_e64 v99, null, s9, v32, vcc_lo
	v_add_co_u32 v100, vcc_lo, s10, v31
	v_lshlrev_b64_e32 v[7:8], 1, v[7:8]
	v_add3_u32 v26, v26, v102, v101
	s_wait_alu 0xfffd
	v_add_co_ci_u32_e64 v101, null, s11, v32, vcc_lo
	v_add_co_u32 v102, vcc_lo, s8, v5
	v_add3_u32 v28, v28, v104, v103
	s_wait_alu 0xfffd
	v_add_co_ci_u32_e64 v103, null, s9, v6, vcc_lo
	v_add_co_u32 v104, vcc_lo, s10, v5
	;; [unrolled: 4-line block ×3, first 2 shown]
	v_lshlrev_b64_e32 v[5:6], 1, v[9:10]
	v_add3_u32 v4, v4, v107, v108
	s_wait_alu 0xfffd
	v_add_co_ci_u32_e64 v107, null, s9, v8, vcc_lo
	v_add_co_u32 v108, vcc_lo, s10, v7
	s_wait_alu 0xfffd
	v_add_co_ci_u32_e64 v109, null, s11, v8, vcc_lo
	v_lshlrev_b64_e32 v[7:8], 1, v[11:12]
	v_add_co_u32 v110, vcc_lo, s8, v5
	s_wait_alu 0xfffd
	v_add_co_ci_u32_e64 v111, null, s9, v6, vcc_lo
	v_add_co_u32 v112, vcc_lo, s10, v5
	s_wait_alu 0xfffd
	v_add_co_ci_u32_e64 v113, null, s11, v6, vcc_lo
	v_add_co_u32 v114, vcc_lo, s8, v7
	v_lshlrev_b64_e32 v[5:6], 1, v[13:14]
	v_mul_lo_u32 v33, s7, v19
	v_mul_lo_u32 v94, s6, v20
	v_mad_co_u64_u32 v[19:20], null, s6, v19, 0
	s_wait_alu 0xfffd
	v_add_co_ci_u32_e64 v115, null, s9, v8, vcc_lo
	v_add_co_u32 v116, vcc_lo, s10, v7
	s_wait_alu 0xfffd
	v_add_co_ci_u32_e64 v117, null, s11, v8, vcc_lo
	v_lshlrev_b64_e32 v[7:8], 1, v[15:16]
	v_add_co_u32 v118, vcc_lo, s8, v5
	s_wait_alu 0xfffd
	v_add_co_ci_u32_e64 v119, null, s9, v6, vcc_lo
	v_add_co_u32 v120, vcc_lo, s10, v5
	v_add3_u32 v20, v20, v94, v33
	s_wait_alu 0xfffd
	v_add_co_ci_u32_e64 v121, null, s11, v6, vcc_lo
	v_add_co_u32 v122, vcc_lo, s8, v7
	v_lshlrev_b64_e32 v[5:6], 1, v[17:18]
	s_wait_alu 0xfffd
	v_add_co_ci_u32_e64 v123, null, s9, v8, vcc_lo
	v_add_co_u32 v124, vcc_lo, s10, v7
	s_wait_alu 0xfffd
	v_add_co_ci_u32_e64 v125, null, s11, v8, vcc_lo
	v_lshlrev_b64_e32 v[7:8], 1, v[19:20]
	v_add_co_u32 v126, vcc_lo, s8, v5
	s_wait_alu 0xfffd
	v_add_co_ci_u32_e64 v127, null, s9, v6, vcc_lo
	v_add_co_u32 v128, vcc_lo, s10, v5
	s_wait_alu 0xfffd
	v_add_co_ci_u32_e64 v129, null, s11, v6, vcc_lo
	v_add_co_u32 v130, vcc_lo, s8, v7
	v_lshlrev_b64_e32 v[5:6], 1, v[21:22]
	s_wait_alu 0xfffd
	v_add_co_ci_u32_e64 v131, null, s9, v8, vcc_lo
	v_add_co_u32 v132, vcc_lo, s10, v7
	s_wait_alu 0xfffd
	v_add_co_ci_u32_e64 v133, null, s11, v8, vcc_lo
	v_lshlrev_b64_e32 v[7:8], 1, v[23:24]
	v_add_co_u32 v134, vcc_lo, s8, v5
	s_wait_alu 0xfffd
	v_add_co_ci_u32_e64 v135, null, s9, v6, vcc_lo
	v_add_co_u32 v136, vcc_lo, s10, v5
	;; [unrolled: 14-line block ×3, first 2 shown]
	v_lshlrev_b64_e32 v[3:4], 1, v[3:4]
	s_wait_alu 0xfffd
	v_add_co_ci_u32_e64 v145, null, s11, v6, vcc_lo
	v_add_co_u32 v146, vcc_lo, s8, v7
	s_wait_alu 0xfffd
	v_add_co_ci_u32_e64 v147, null, s9, v8, vcc_lo
	v_add_co_u32 v148, vcc_lo, s10, v7
	v_lshlrev_b64_e32 v[5:6], 1, v[29:30]
	s_wait_alu 0xfffd
	v_add_co_ci_u32_e64 v149, null, s11, v8, vcc_lo
	v_add_co_u32 v150, vcc_lo, s8, v3
	s_wait_alu 0xfffd
	v_add_co_ci_u32_e64 v151, null, s9, v4, vcc_lo
	v_add_co_u32 v152, vcc_lo, s10, v3
	v_lshlrev_b64_e32 v[2:3], 1, v[1:2]
	v_mov_b32_e32 v1, 0
	s_wait_alu 0xfffd
	v_add_co_ci_u32_e64 v153, null, s11, v4, vcc_lo
	v_add_co_u32 v154, vcc_lo, s8, v5
	s_wait_alu 0xfffd
	v_add_co_ci_u32_e64 v155, null, s9, v6, vcc_lo
	v_add_co_u32 v156, vcc_lo, s10, v5
	v_dual_mov_b32 v5, v1 :: v_dual_add_nc_u32 v4, s28, v158
	s_wait_alu 0xfffd
	v_add_co_ci_u32_e64 v157, null, s11, v6, vcc_lo
	v_add_co_u32 v159, vcc_lo, s8, v2
	s_mov_b32 s3, 0
	s_wait_alu 0xfffd
	v_add_co_ci_u32_e64 v160, null, s9, v3, vcc_lo
	v_add_co_u32 v161, vcc_lo, s10, v2
	s_wait_kmcnt 0x0
	s_lshl_b32 s8, s2, 8
	s_wait_alu 0xfffe
	s_mov_b32 s9, s3
	v_lshlrev_b64_e32 v[94:95], 1, v[4:5]
	s_wait_alu 0xfffd
	v_add_co_ci_u32_e64 v162, null, s11, v3, vcc_lo
	s_wait_alu 0xfffe
	s_mul_u64 s[16:17], s[6:7], s[8:9]
	s_add_nc_u64 s[10:11], s[0:1], 64
	s_wait_alu 0xfffe
	s_lshl_b64 s[16:17], s[16:17], 1
.LBB197_85:                             ; =>This Inner Loop Header: Depth=1
	v_cmp_ge_i64_e64 s2, s[18:19], s[4:5]
	v_add_co_u32 v164, s20, v97, s18
	s_wait_alu 0xf1ff
	v_add_co_ci_u32_e64 v165, null, 0, s19, s20
                                        ; implicit-def: $vgpr166
	s_and_b32 vcc_lo, exec_lo, s2
	s_mov_b32 s2, -1
	s_wait_alu 0xfffe
	s_cbranch_vccz .LBB197_123
; %bb.86:                               ;   in Loop: Header=BB197_85 Depth=1
	s_load_b32 s2, s[10:11], 0xc
	v_mov_b32_e32 v167, 0
	s_wait_kmcnt 0x0
	s_and_b32 s2, s2, 0xffff
	s_wait_alu 0xfffe
	v_mad_u32_u24 v2, v96, s2, v158
	s_mov_b32 s2, exec_lo
	s_delay_alu instid0(VALU_DEP_1) | instskip(NEXT) | instid1(VALU_DEP_1)
	v_and_b32_e32 v2, 31, v2
	v_cmpx_gt_u32_e32 16, v2
	s_cbranch_execz .LBB197_90
; %bb.87:                               ;   in Loop: Header=BB197_85 Depth=1
	v_add_co_u32 v2, vcc_lo, v164, v2
	s_wait_alu 0xfffd
	v_add_co_ci_u32_e64 v3, null, 0, v165, vcc_lo
	v_mov_b32_e32 v167, 0
	s_delay_alu instid0(VALU_DEP_3) | instskip(SKIP_1) | instid1(VALU_DEP_3)
	v_add_co_u32 v2, vcc_lo, 0xffffff01, v2
	s_wait_alu 0xfffd
	v_add_co_ci_u32_e64 v3, null, -1, v3, vcc_lo
	s_mov_b32 s20, exec_lo
	v_cmpx_gt_i64_e64 s[4:5], v[2:3]
	s_cbranch_execz .LBB197_89
; %bb.88:                               ;   in Loop: Header=BB197_85 Depth=1
	v_lshlrev_b64_e32 v[2:3], 2, v[2:3]
	s_delay_alu instid0(VALU_DEP_1) | instskip(SKIP_1) | instid1(VALU_DEP_2)
	v_add_co_u32 v2, vcc_lo, s12, v2
	s_wait_alu 0xfffd
	v_add_co_ci_u32_e64 v3, null, s13, v3, vcc_lo
	global_load_b32 v167, v[2:3], off
.LBB197_89:                             ;   in Loop: Header=BB197_85 Depth=1
	s_wait_alu 0xfffe
	s_or_b32 exec_lo, exec_lo, s20
.LBB197_90:                             ;   in Loop: Header=BB197_85 Depth=1
	s_wait_alu 0xfffe
	s_or_b32 exec_lo, exec_lo, s2
	v_add_co_u32 v17, vcc_lo, 0xffffff01, v164
	s_wait_alu 0xfffd
	v_add_co_ci_u32_e64 v18, null, -1, v165, vcc_lo
	v_mov_b32_e32 v16, v1
	v_dual_mov_b32 v2, v1 :: v_dual_mov_b32 v3, v1
	v_dual_mov_b32 v4, v1 :: v_dual_mov_b32 v5, v1
	;; [unrolled: 1-line block ×7, first 2 shown]
	v_cmp_gt_i64_e32 vcc_lo, s[4:5], v[17:18]
	s_delay_alu instid0(VALU_DEP_3) | instskip(NEXT) | instid1(VALU_DEP_3)
	v_dual_mov_b32 v33, v16 :: v_dual_mov_b32 v30, v13
	v_dual_mov_b32 v31, v14 :: v_dual_mov_b32 v32, v15
	;; [unrolled: 1-line block ×8, first 2 shown]
	v_mov_b32_e32 v17, v16
	v_mov_b32_e32 v16, v15
	;; [unrolled: 1-line block ×16, first 2 shown]
	s_and_saveexec_b32 s2, vcc_lo
	s_cbranch_execz .LBB197_92
; %bb.91:                               ;   in Loop: Header=BB197_85 Depth=1
	v_add_co_u32 v2, vcc_lo, v98, v94
	s_wait_alu 0xfffd
	v_add_co_ci_u32_e64 v3, null, v99, v95, vcc_lo
	v_add_co_u32 v4, vcc_lo, v100, v94
	s_wait_alu 0xfffd
	v_add_co_ci_u32_e64 v5, null, v101, v95, vcc_lo
	global_load_u16 v2, v[2:3], off
	global_load_u16 v18, v[4:5], off
	v_dual_mov_b32 v3, v1 :: v_dual_mov_b32 v4, v1
	v_dual_mov_b32 v5, v1 :: v_dual_mov_b32 v6, v1
	;; [unrolled: 1-line block ×14, first 2 shown]
	v_mov_b32_e32 v31, v1
	s_wait_loadcnt 0x1
	v_dual_mov_b32 v33, v1 :: v_dual_lshlrev_b32 v2, 16, v2
	s_wait_loadcnt 0x0
	v_lshlrev_b32_e32 v18, 16, v18
.LBB197_92:                             ;   in Loop: Header=BB197_85 Depth=1
	s_wait_alu 0xfffe
	s_or_b32 exec_lo, exec_lo, s2
	v_add_co_u32 v168, vcc_lo, 0xffffff02, v164
	s_wait_alu 0xfffd
	v_add_co_ci_u32_e64 v169, null, -1, v165, vcc_lo
	s_mov_b32 s2, exec_lo
	v_cmpx_gt_i64_e64 s[4:5], v[168:169]
	s_cbranch_execz .LBB197_94
; %bb.93:                               ;   in Loop: Header=BB197_85 Depth=1
	v_add_co_u32 v168, vcc_lo, v159, v94
	s_wait_alu 0xfffd
	v_add_co_ci_u32_e64 v169, null, v160, v95, vcc_lo
	v_add_co_u32 v170, vcc_lo, v161, v94
	s_wait_alu 0xfffd
	v_add_co_ci_u32_e64 v171, null, v162, v95, vcc_lo
	global_load_u16 v3, v[168:169], off
	global_load_u16 v19, v[170:171], off
	s_wait_loadcnt 0x1
	v_lshlrev_b32_e32 v3, 16, v3
	s_wait_loadcnt 0x0
	v_lshlrev_b32_e32 v19, 16, v19
.LBB197_94:                             ;   in Loop: Header=BB197_85 Depth=1
	s_wait_alu 0xfffe
	s_or_b32 exec_lo, exec_lo, s2
	v_add_co_u32 v168, vcc_lo, 0xffffff03, v164
	s_wait_alu 0xfffd
	v_add_co_ci_u32_e64 v169, null, -1, v165, vcc_lo
	s_mov_b32 s2, exec_lo
	v_cmpx_gt_i64_e64 s[4:5], v[168:169]
	s_cbranch_execz .LBB197_96
; %bb.95:                               ;   in Loop: Header=BB197_85 Depth=1
	v_add_co_u32 v168, vcc_lo, v154, v94
	s_wait_alu 0xfffd
	v_add_co_ci_u32_e64 v169, null, v155, v95, vcc_lo
	v_add_co_u32 v170, vcc_lo, v156, v94
	s_wait_alu 0xfffd
	v_add_co_ci_u32_e64 v171, null, v157, v95, vcc_lo
	global_load_u16 v4, v[168:169], off
	global_load_u16 v20, v[170:171], off
	s_wait_loadcnt 0x1
	v_lshlrev_b32_e32 v4, 16, v4
	s_wait_loadcnt 0x0
	v_lshlrev_b32_e32 v20, 16, v20
.LBB197_96:                             ;   in Loop: Header=BB197_85 Depth=1
	;; [unrolled: 22-line block ×3, first 2 shown]
	s_wait_alu 0xfffe
	s_or_b32 exec_lo, exec_lo, s2
	v_add_co_u32 v168, vcc_lo, 0xffffff05, v164
	s_wait_alu 0xfffd
	v_add_co_ci_u32_e64 v169, null, -1, v165, vcc_lo
	s_mov_b32 s2, exec_lo
	v_cmpx_gt_i64_e64 s[4:5], v[168:169]
	s_cbranch_execz .LBB197_100
; %bb.99:                               ;   in Loop: Header=BB197_85 Depth=1
	v_add_co_u32 v168, vcc_lo, v146, v94
	s_wait_alu 0xfffd
	v_add_co_ci_u32_e64 v169, null, v147, v95, vcc_lo
	v_add_co_u32 v170, vcc_lo, v148, v94
	s_wait_alu 0xfffd
	v_add_co_ci_u32_e64 v171, null, v149, v95, vcc_lo
	global_load_u16 v6, v[168:169], off
	global_load_u16 v22, v[170:171], off
	s_wait_loadcnt 0x1
	v_lshlrev_b32_e32 v6, 16, v6
	s_wait_loadcnt 0x0
	v_lshlrev_b32_e32 v22, 16, v22
.LBB197_100:                            ;   in Loop: Header=BB197_85 Depth=1
	s_wait_alu 0xfffe
	s_or_b32 exec_lo, exec_lo, s2
	v_add_co_u32 v168, vcc_lo, 0xffffff06, v164
	s_wait_alu 0xfffd
	v_add_co_ci_u32_e64 v169, null, -1, v165, vcc_lo
	s_mov_b32 s2, exec_lo
	v_cmpx_gt_i64_e64 s[4:5], v[168:169]
	s_cbranch_execz .LBB197_102
; %bb.101:                              ;   in Loop: Header=BB197_85 Depth=1
	v_add_co_u32 v168, vcc_lo, v142, v94
	s_wait_alu 0xfffd
	v_add_co_ci_u32_e64 v169, null, v143, v95, vcc_lo
	v_add_co_u32 v170, vcc_lo, v144, v94
	s_wait_alu 0xfffd
	v_add_co_ci_u32_e64 v171, null, v145, v95, vcc_lo
	global_load_u16 v7, v[168:169], off
	global_load_u16 v23, v[170:171], off
	s_wait_loadcnt 0x1
	v_lshlrev_b32_e32 v7, 16, v7
	s_wait_loadcnt 0x0
	v_lshlrev_b32_e32 v23, 16, v23
.LBB197_102:                            ;   in Loop: Header=BB197_85 Depth=1
	s_wait_alu 0xfffe
	s_or_b32 exec_lo, exec_lo, s2
	v_add_co_u32 v168, vcc_lo, 0xffffff07, v164
	s_wait_alu 0xfffd
	v_add_co_ci_u32_e64 v169, null, -1, v165, vcc_lo
	s_mov_b32 s2, exec_lo
	v_cmpx_gt_i64_e64 s[4:5], v[168:169]
	s_cbranch_execz .LBB197_104
; %bb.103:                              ;   in Loop: Header=BB197_85 Depth=1
	v_add_co_u32 v168, vcc_lo, v138, v94
	s_wait_alu 0xfffd
	v_add_co_ci_u32_e64 v169, null, v139, v95, vcc_lo
	v_add_co_u32 v170, vcc_lo, v140, v94
	s_wait_alu 0xfffd
	v_add_co_ci_u32_e64 v171, null, v141, v95, vcc_lo
	global_load_u16 v8, v[168:169], off
	global_load_u16 v24, v[170:171], off
	s_wait_loadcnt 0x1
	v_lshlrev_b32_e32 v8, 16, v8
	s_wait_loadcnt 0x0
	v_lshlrev_b32_e32 v24, 16, v24
.LBB197_104:                            ;   in Loop: Header=BB197_85 Depth=1
	;; [unrolled: 22-line block ×11, first 2 shown]
	s_wait_alu 0xfffe
	s_or_b32 exec_lo, exec_lo, s2
	s_wait_loadcnt 0x0
	ds_bpermute_b32 v166, v1, v167
	ds_bpermute_b32 v168, v1, v167 offset:4
	ds_bpermute_b32 v169, v1, v167 offset:8
	v_dual_mul_f32 v2, v18, v2 :: v_dual_mul_f32 v3, v19, v3
	ds_bpermute_b32 v18, v1, v167 offset:12
	ds_bpermute_b32 v19, v1, v167 offset:16
	s_mov_b32 s2, 0
	s_wait_dscnt 0x4
	v_fma_f32 v166, v2, v166, v163
	v_mul_f32_e32 v2, v20, v4
	ds_bpermute_b32 v4, v1, v167 offset:20
	s_wait_dscnt 0x4
	v_dual_fmac_f32 v166, v3, v168 :: v_dual_mul_f32 v3, v21, v5
	ds_bpermute_b32 v5, v1, v167 offset:24
	s_wait_dscnt 0x4
	v_fmac_f32_e32 v166, v2, v169
	v_mul_f32_e32 v2, v22, v6
	ds_bpermute_b32 v6, v1, v167 offset:28
	s_wait_dscnt 0x4
	v_fmac_f32_e32 v166, v3, v18
	v_mul_f32_e32 v3, v23, v7
	;; [unrolled: 4-line block ×3, first 2 shown]
	ds_bpermute_b32 v8, v1, v167 offset:36
	s_wait_dscnt 0x4
	v_dual_fmac_f32 v166, v3, v4 :: v_dual_mul_f32 v3, v25, v9
	ds_bpermute_b32 v4, v1, v167 offset:40
	s_wait_dscnt 0x4
	v_fmac_f32_e32 v166, v2, v5
	v_mul_f32_e32 v2, v26, v10
	ds_bpermute_b32 v5, v1, v167 offset:44
	s_wait_dscnt 0x4
	v_fmac_f32_e32 v166, v3, v6
	v_mul_f32_e32 v3, v27, v11
	;; [unrolled: 4-line block ×3, first 2 shown]
	ds_bpermute_b32 v7, v1, v167 offset:52
	s_wait_dscnt 0x4
	v_dual_fmac_f32 v166, v3, v8 :: v_dual_mul_f32 v3, v29, v13
	ds_bpermute_b32 v8, v1, v167 offset:56
	s_wait_dscnt 0x4
	v_fmac_f32_e32 v166, v2, v4
	v_mul_f32_e32 v2, v30, v14
	v_mul_f32_e32 v4, v31, v15
	s_wait_dscnt 0x3
	s_delay_alu instid0(VALU_DEP_3)
	v_fmac_f32_e32 v166, v3, v5
	ds_bpermute_b32 v3, v1, v167 offset:60
	s_wait_dscnt 0x3
	v_fmac_f32_e32 v166, v2, v6
	v_mul_f32_e32 v2, v32, v16
	s_wait_dscnt 0x2
	s_delay_alu instid0(VALU_DEP_2) | instskip(SKIP_1) | instid1(VALU_DEP_1)
	v_fmac_f32_e32 v166, v4, v7
	s_wait_dscnt 0x1
	v_fmac_f32_e32 v166, v2, v8
	v_mul_f32_e32 v2, v33, v17
	s_wait_dscnt 0x0
	s_delay_alu instid0(VALU_DEP_1)
	v_fmac_f32_e32 v166, v2, v3
.LBB197_123:                            ;   in Loop: Header=BB197_85 Depth=1
	s_wait_alu 0xfffe
	s_and_b32 vcc_lo, exec_lo, s2
	s_wait_alu 0xfffe
	s_cbranch_vccz .LBB197_129
; %bb.124:                              ;   in Loop: Header=BB197_85 Depth=1
	s_load_b32 s2, s[10:11], 0x0
	v_mov_b32_e32 v4, 0
	s_wait_kmcnt 0x0
	s_cmp_lt_u32 ttmp9, s2
	s_cselect_b32 s2, 12, 18
	s_wait_alu 0xfffe
	s_add_nc_u64 s[20:21], s[10:11], s[2:3]
	s_load_u16 s2, s[20:21], 0x0
	s_wait_kmcnt 0x0
	v_mad_u32_u24 v2, v96, s2, v158
	s_mov_b32 s2, exec_lo
	s_delay_alu instid0(VALU_DEP_1) | instskip(NEXT) | instid1(VALU_DEP_1)
	v_and_b32_e32 v2, 31, v2
	v_cmpx_gt_u32_e32 16, v2
	s_cbranch_execz .LBB197_128
; %bb.125:                              ;   in Loop: Header=BB197_85 Depth=1
	v_add_co_u32 v2, vcc_lo, v164, v2
	s_wait_alu 0xfffd
	v_add_co_ci_u32_e64 v3, null, 0, v165, vcc_lo
	v_mov_b32_e32 v4, 0
	s_delay_alu instid0(VALU_DEP_3) | instskip(SKIP_1) | instid1(VALU_DEP_3)
	v_add_co_u32 v2, vcc_lo, 0xffffff01, v2
	s_wait_alu 0xfffd
	v_add_co_ci_u32_e64 v3, null, -1, v3, vcc_lo
	s_mov_b32 s20, exec_lo
	v_cmpx_gt_i64_e64 s[4:5], v[2:3]
	s_cbranch_execz .LBB197_127
; %bb.126:                              ;   in Loop: Header=BB197_85 Depth=1
	v_lshlrev_b64_e32 v[2:3], 2, v[2:3]
	s_delay_alu instid0(VALU_DEP_1) | instskip(SKIP_1) | instid1(VALU_DEP_2)
	v_add_co_u32 v2, vcc_lo, s12, v2
	s_wait_alu 0xfffd
	v_add_co_ci_u32_e64 v3, null, s13, v3, vcc_lo
	global_load_b32 v4, v[2:3], off
.LBB197_127:                            ;   in Loop: Header=BB197_85 Depth=1
	s_wait_alu 0xfffe
	s_or_b32 exec_lo, exec_lo, s20
.LBB197_128:                            ;   in Loop: Header=BB197_85 Depth=1
	s_wait_alu 0xfffe
	s_or_b32 exec_lo, exec_lo, s2
	v_add_co_u32 v2, vcc_lo, v98, v94
	s_wait_alu 0xfffd
	v_add_co_ci_u32_e64 v3, null, v99, v95, vcc_lo
	global_load_u16 v2, v[2:3], off
	s_wait_loadcnt 0x0
	v_lshlrev_b32_e32 v7, 16, v2
	v_add_co_u32 v2, vcc_lo, v100, v94
	s_wait_alu 0xfffd
	v_add_co_ci_u32_e64 v3, null, v101, v95, vcc_lo
	global_load_u16 v2, v[2:3], off
	s_wait_loadcnt 0x0
	v_lshlrev_b32_e32 v8, 16, v2
	;; [unrolled: 6-line block ×12, first 2 shown]
	v_add_co_u32 v2, vcc_lo, v44, v94
	s_wait_alu 0xfffd
	v_add_co_ci_u32_e64 v3, null, v45, v95, vcc_lo
	v_add_co_u32 v5, vcc_lo, v74, v94
	s_wait_alu 0xfffd
	v_add_co_ci_u32_e64 v6, null, v75, v95, vcc_lo
	global_load_u16 v2, v[2:3], off
	global_load_u16 v3, v[5:6], off
	s_wait_loadcnt 0x1
	v_lshlrev_b32_e32 v20, 16, v2
	v_add_co_u32 v2, vcc_lo, v46, v94
	s_wait_loadcnt 0x0
	v_lshlrev_b32_e32 v19, 16, v3
	s_wait_alu 0xfffd
	v_add_co_ci_u32_e64 v3, null, v47, v95, vcc_lo
	v_add_co_u32 v5, vcc_lo, v76, v94
	s_wait_alu 0xfffd
	v_add_co_ci_u32_e64 v6, null, v77, v95, vcc_lo
	global_load_u16 v2, v[2:3], off
	global_load_u16 v3, v[5:6], off
	s_wait_loadcnt 0x1
	v_lshlrev_b32_e32 v22, 16, v2
	v_add_co_u32 v2, vcc_lo, v48, v94
	s_wait_loadcnt 0x0
	v_lshlrev_b32_e32 v21, 16, v3
	;; [unrolled: 12-line block ×9, first 2 shown]
	s_wait_alu 0xfffd
	v_add_co_ci_u32_e64 v3, null, v63, v95, vcc_lo
	v_add_co_u32 v5, vcc_lo, v92, v94
	s_wait_alu 0xfffd
	v_add_co_ci_u32_e64 v6, null, v93, v95, vcc_lo
	global_load_u16 v2, v[2:3], off
	global_load_u16 v3, v[5:6], off
	ds_bpermute_b32 v5, v1, v4
	v_mul_f32_e32 v6, v7, v8
	s_wait_dscnt 0x0
	s_delay_alu instid0(VALU_DEP_1) | instskip(SKIP_3) | instid1(VALU_DEP_1)
	v_fmac_f32_e32 v163, v6, v5
	ds_bpermute_b32 v5, v1, v4 offset:4
	v_mul_f32_e32 v6, v9, v10
	s_wait_dscnt 0x0
	v_fmac_f32_e32 v163, v6, v5
	ds_bpermute_b32 v5, v1, v4 offset:8
	v_mul_f32_e32 v6, v11, v12
	s_wait_dscnt 0x0
	s_delay_alu instid0(VALU_DEP_1) | instskip(SKIP_3) | instid1(VALU_DEP_1)
	v_fmac_f32_e32 v163, v6, v5
	ds_bpermute_b32 v5, v1, v4 offset:12
	v_mul_f32_e32 v6, v13, v14
	s_wait_dscnt 0x0
	v_fmac_f32_e32 v163, v6, v5
	ds_bpermute_b32 v5, v1, v4 offset:16
	;; [unrolled: 9-line block ×5, first 2 shown]
	s_wait_loadcnt 0x1
	v_lshlrev_b32_e32 v2, 16, v2
	s_wait_loadcnt 0x0
	v_lshlrev_b32_e32 v3, 16, v3
	s_delay_alu instid0(VALU_DEP_1) | instskip(SKIP_2) | instid1(VALU_DEP_1)
	v_mul_f32_e32 v2, v2, v3
	v_mul_f32_e32 v6, v28, v27
	s_wait_dscnt 0x0
	v_fmac_f32_e32 v163, v6, v5
	ds_bpermute_b32 v5, v1, v4 offset:44
	v_mul_f32_e32 v6, v30, v29
	s_wait_dscnt 0x0
	s_delay_alu instid0(VALU_DEP_1) | instskip(SKIP_3) | instid1(VALU_DEP_1)
	v_fmac_f32_e32 v163, v6, v5
	ds_bpermute_b32 v5, v1, v4 offset:48
	v_mul_f32_e32 v6, v32, v31
	s_wait_dscnt 0x0
	v_fmac_f32_e32 v163, v6, v5
	ds_bpermute_b32 v5, v1, v4 offset:52
	v_mul_f32_e32 v6, v164, v33
	s_wait_dscnt 0x0
	s_delay_alu instid0(VALU_DEP_1) | instskip(SKIP_4) | instid1(VALU_DEP_1)
	v_fmac_f32_e32 v163, v6, v5
	ds_bpermute_b32 v5, v1, v4 offset:56
	ds_bpermute_b32 v4, v1, v4 offset:60
	v_mul_f32_e32 v6, v166, v165
	s_wait_dscnt 0x1
	v_fmac_f32_e32 v163, v6, v5
	s_wait_dscnt 0x0
	s_delay_alu instid0(VALU_DEP_1) | instskip(NEXT) | instid1(VALU_DEP_1)
	v_fmac_f32_e32 v163, v2, v4
	v_mov_b32_e32 v166, v163
.LBB197_129:                            ;   in Loop: Header=BB197_85 Depth=1
	v_add_co_u32 v98, vcc_lo, v98, s16
	s_wait_alu 0xfffd
	v_add_co_ci_u32_e64 v99, null, s17, v99, vcc_lo
	v_add_co_u32 v100, vcc_lo, v100, s16
	s_wait_alu 0xfffd
	v_add_co_ci_u32_e64 v101, null, s17, v101, vcc_lo
	;; [unrolled: 3-line block ×59, first 2 shown]
	v_add_co_u32 v156, vcc_lo, v156, s16
	s_add_nc_u64 s[14:15], s[14:15], s[8:9]
	s_wait_alu 0xfffd
	v_add_co_ci_u32_e64 v157, null, s17, v157, vcc_lo
	v_add_co_u32 v159, vcc_lo, v159, s16
	s_wait_alu 0xfffe
	v_cmp_ge_i64_e64 s2, s[14:15], s[4:5]
	s_wait_alu 0xfffd
	v_add_co_ci_u32_e64 v160, null, s17, v160, vcc_lo
	v_add_co_u32 v161, vcc_lo, v161, s16
	s_wait_alu 0xfffd
	v_add_co_ci_u32_e64 v162, null, s17, v162, vcc_lo
	s_and_b32 vcc_lo, exec_lo, s2
	s_add_nc_u64 s[18:19], s[18:19], s[8:9]
	s_wait_alu 0xfffe
	s_cbranch_vccnz .LBB197_131
; %bb.130:                              ;   in Loop: Header=BB197_85 Depth=1
	v_mov_b32_e32 v163, v166
	s_branch .LBB197_85
.LBB197_131:
	v_dual_mov_b32 v4, 0 :: v_dual_and_b32 v5, 0x3ff, v0
	v_bfe_u32 v0, v0, 10, 10
	s_mov_b32 s2, exec_lo
	s_delay_alu instid0(VALU_DEP_1) | instskip(NEXT) | instid1(VALU_DEP_1)
	v_mad_u32_u24 v1, 0x41, v0, v5
	v_lshl_add_u32 v2, v1, 2, 0
	v_sub_nc_u32_e32 v3, v1, v0
	ds_store_b32 v2, v166
	ds_store_b32 v2, v4 offset:4160
	s_wait_dscnt 0x0
	s_barrier_signal -1
	s_barrier_wait -1
	global_inv scope:SCOPE_SE
	v_cmpx_gt_u32_e32 0x800, v3
	s_cbranch_execz .LBB197_141
; %bb.132:
	s_load_b64 s[2:3], s[0:1], 0x30
	v_and_b32_e32 v0, 31, v5
	v_lshrrev_b32_e32 v2, 5, v3
	s_delay_alu instid0(VALU_DEP_2)
	v_cmp_gt_u32_e32 vcc_lo, 16, v0
	v_mul_u32_u24_e32 v4, 0x41, v0
                                        ; implicit-def: $vgpr0
	s_and_saveexec_b32 s0, vcc_lo
	s_cbranch_execz .LBB197_134
; %bb.133:
	v_lshlrev_b32_e32 v0, 2, v2
	s_delay_alu instid0(VALU_DEP_2) | instskip(NEXT) | instid1(VALU_DEP_1)
	v_lshlrev_b32_e32 v1, 2, v4
	v_add3_u32 v0, 0, v0, v1
	ds_load_b32 v0, v0
.LBB197_134:
	s_or_b32 exec_lo, exec_lo, s0
	v_mbcnt_lo_u32_b32 v1, -1, 0
	s_mov_b32 s4, ttmp9
	s_mov_b32 s5, 0
	s_wait_alu 0xfffe
	s_lshl_b64 s[4:5], s[4:5], 6
	v_xor_b32_e32 v6, 8, v1
	v_xor_b32_e32 v7, 4, v1
	;; [unrolled: 1-line block ×3, first 2 shown]
	s_wait_kmcnt 0x0
	s_cmp_eq_u64 s[2:3], 0
	s_cselect_b32 s8, -1, 0
	v_cmp_gt_i32_e64 s0, 32, v6
	s_delay_alu instid0(VALU_DEP_1) | instskip(SKIP_1) | instid1(VALU_DEP_2)
	v_cndmask_b32_e64 v6, v1, v6, s0
	v_cmp_gt_i32_e64 s0, 32, v7
	v_lshlrev_b32_e32 v6, 2, v6
	s_wait_alu 0xf1ff
	s_delay_alu instid0(VALU_DEP_2)
	v_cndmask_b32_e64 v7, v1, v7, s0
	s_wait_dscnt 0x0
	ds_bpermute_b32 v8, v6, v0
	s_wait_dscnt 0x0
	v_dual_add_f32 v0, v0, v8 :: v_dual_lshlrev_b32 v7, 2, v7
	v_xor_b32_e32 v8, 2, v1
	ds_bpermute_b32 v9, v7, v0
	v_cmp_gt_i32_e64 s0, 32, v8
	s_wait_alu 0xf1ff
	s_delay_alu instid0(VALU_DEP_1) | instskip(SKIP_1) | instid1(VALU_DEP_2)
	v_cndmask_b32_e64 v8, v1, v8, s0
	v_cmp_gt_i32_e64 s0, 32, v10
	v_lshlrev_b32_e32 v8, 2, v8
	s_wait_alu 0xf1ff
	s_delay_alu instid0(VALU_DEP_2)
	v_cndmask_b32_e64 v1, v1, v10, s0
	v_cmp_ne_u32_e64 s0, 0, v5
	s_wait_dscnt 0x0
	v_add_f32_e32 v0, v0, v9
	ds_bpermute_b32 v9, v8, v0
	s_wait_dscnt 0x0
	v_add_f32_e32 v10, v0, v9
	v_lshlrev_b32_e32 v9, 2, v1
	s_wait_alu 0xfffe
	v_or_b32_e32 v0, s4, v2
	v_mov_b32_e32 v1, s5
	ds_bpermute_b32 v11, v9, v10
	v_cmp_le_i64_e64 s1, s[6:7], v[0:1]
	s_or_b32 s1, s0, s1
	s_wait_alu 0xfffe
	s_nor_b32 s1, s8, s1
	s_wait_dscnt 0x0
	v_add_f32_e32 v5, v10, v11
	s_wait_alu 0xfffe
	s_and_saveexec_b32 s9, s1
	s_cbranch_execz .LBB197_136
; %bb.135:
	s_delay_alu instid0(VALU_DEP_1) | instskip(SKIP_2) | instid1(VALU_DEP_3)
	v_bfe_u32 v10, v5, 16, 1
	v_lshlrev_b64_e32 v[0:1], 1, v[0:1]
	v_cmp_o_f32_e64 s1, v5, v5
	v_add3_u32 v10, v5, v10, 0x7fff
	s_delay_alu instid0(VALU_DEP_1) | instskip(SKIP_1) | instid1(VALU_DEP_1)
	v_lshrrev_b32_e32 v10, 16, v10
	s_wait_alu 0xf1ff
	v_cndmask_b32_e64 v10, 0x7fc0, v10, s1
	v_add_co_u32 v0, s1, s2, v0
	s_wait_alu 0xf1ff
	v_add_co_ci_u32_e64 v1, null, s3, v1, s1
	global_store_b16 v[0:1], v10, off
.LBB197_136:
	s_wait_alu 0xfffe
	s_or_b32 exec_lo, exec_lo, s9
	v_cmp_gt_u32_e64 s1, 0x400, v3
	s_and_b32 exec_lo, exec_lo, s1
	s_cbranch_execz .LBB197_141
; %bb.137:
	s_and_saveexec_b32 s1, vcc_lo
	s_cbranch_execz .LBB197_139
; %bb.138:
	v_lshlrev_b32_e32 v0, 2, v2
	v_lshlrev_b32_e32 v1, 2, v4
	s_delay_alu instid0(VALU_DEP_1)
	v_add3_u32 v0, 0, v0, v1
	ds_load_b32 v5, v0 offset:128
.LBB197_139:
	s_wait_alu 0xfffe
	s_or_b32 exec_lo, exec_lo, s1
	s_wait_dscnt 0x0
	ds_bpermute_b32 v0, v6, v5
	v_dual_mov_b32 v4, s5 :: v_dual_add_nc_u32 v3, 32, v2
	s_delay_alu instid0(VALU_DEP_1) | instskip(NEXT) | instid1(VALU_DEP_1)
	v_or_b32_e32 v3, s4, v3
	v_cmp_le_i64_e32 vcc_lo, s[6:7], v[3:4]
	s_or_b32 s0, s0, vcc_lo
	s_wait_dscnt 0x0
	v_add_f32_e32 v0, v5, v0
	s_wait_alu 0xfffe
	s_nor_b32 s0, s8, s0
	ds_bpermute_b32 v1, v7, v0
	s_wait_dscnt 0x0
	v_add_f32_e32 v0, v0, v1
	ds_bpermute_b32 v1, v8, v0
	s_wait_dscnt 0x0
	v_add_f32_e32 v0, v0, v1
	ds_bpermute_b32 v1, v9, v0
	s_wait_alu 0xfffe
	s_and_saveexec_b32 s1, s0
	s_wait_alu 0xfffe
	s_xor_b32 s1, exec_lo, s1
	s_cbranch_execz .LBB197_141
; %bb.140:
	s_wait_dscnt 0x0
	v_add_f32_e32 v3, v0, v1
	s_delay_alu instid0(VALU_DEP_1) | instskip(SKIP_1) | instid1(VALU_DEP_2)
	v_bfe_u32 v0, v3, 16, 1
	v_cmp_o_f32_e32 vcc_lo, v3, v3
	v_add3_u32 v4, v3, v0, 0x7fff
	v_add_co_u32 v0, s0, s4, v2
	s_wait_alu 0xf1ff
	v_add_co_ci_u32_e64 v1, null, s5, 0, s0
	s_delay_alu instid0(VALU_DEP_3) | instskip(NEXT) | instid1(VALU_DEP_2)
	v_lshrrev_b32_e32 v2, 16, v4
	v_lshlrev_b64_e32 v[0:1], 1, v[0:1]
	s_wait_alu 0xfffd
	s_delay_alu instid0(VALU_DEP_2) | instskip(NEXT) | instid1(VALU_DEP_2)
	v_cndmask_b32_e32 v2, 0x7fc0, v2, vcc_lo
	v_add_co_u32 v0, vcc_lo, s2, v0
	s_wait_alu 0xfffd
	s_delay_alu instid0(VALU_DEP_3)
	v_add_co_ci_u32_e64 v1, null, s3, v1, vcc_lo
	global_store_b16 v[0:1], v2, off offset:64
.LBB197_141:
	s_nop 0
	s_sendmsg sendmsg(MSG_DEALLOC_VGPRS)
	s_endpgm
	.section	.rodata,"a",@progbits
	.p2align	6, 0x0
	.amdhsa_kernel _ZN2at6native12_GLOBAL__N_135GammaBetaBackwardCUDAKernelTemplateIN3c108BFloat16EfLj64ELj16ELj256ELb0ELb0ELb1EEEvllPKT_S7_PKT0_SA_PS5_SB_
		.amdhsa_group_segment_fixed_size 0
		.amdhsa_private_segment_fixed_size 0
		.amdhsa_kernarg_size 320
		.amdhsa_user_sgpr_count 2
		.amdhsa_user_sgpr_dispatch_ptr 0
		.amdhsa_user_sgpr_queue_ptr 0
		.amdhsa_user_sgpr_kernarg_segment_ptr 1
		.amdhsa_user_sgpr_dispatch_id 0
		.amdhsa_user_sgpr_private_segment_size 0
		.amdhsa_wavefront_size32 1
		.amdhsa_uses_dynamic_stack 0
		.amdhsa_enable_private_segment 0
		.amdhsa_system_sgpr_workgroup_id_x 1
		.amdhsa_system_sgpr_workgroup_id_y 1
		.amdhsa_system_sgpr_workgroup_id_z 0
		.amdhsa_system_sgpr_workgroup_info 0
		.amdhsa_system_vgpr_workitem_id 1
		.amdhsa_next_free_vgpr 172
		.amdhsa_next_free_sgpr 32
		.amdhsa_reserve_vcc 1
		.amdhsa_float_round_mode_32 0
		.amdhsa_float_round_mode_16_64 0
		.amdhsa_float_denorm_mode_32 3
		.amdhsa_float_denorm_mode_16_64 3
		.amdhsa_fp16_overflow 0
		.amdhsa_workgroup_processor_mode 1
		.amdhsa_memory_ordered 1
		.amdhsa_forward_progress 1
		.amdhsa_inst_pref_size 139
		.amdhsa_round_robin_scheduling 0
		.amdhsa_exception_fp_ieee_invalid_op 0
		.amdhsa_exception_fp_denorm_src 0
		.amdhsa_exception_fp_ieee_div_zero 0
		.amdhsa_exception_fp_ieee_overflow 0
		.amdhsa_exception_fp_ieee_underflow 0
		.amdhsa_exception_fp_ieee_inexact 0
		.amdhsa_exception_int_div_zero 0
	.end_amdhsa_kernel
	.section	.text._ZN2at6native12_GLOBAL__N_135GammaBetaBackwardCUDAKernelTemplateIN3c108BFloat16EfLj64ELj16ELj256ELb0ELb0ELb1EEEvllPKT_S7_PKT0_SA_PS5_SB_,"axG",@progbits,_ZN2at6native12_GLOBAL__N_135GammaBetaBackwardCUDAKernelTemplateIN3c108BFloat16EfLj64ELj16ELj256ELb0ELb0ELb1EEEvllPKT_S7_PKT0_SA_PS5_SB_,comdat
.Lfunc_end197:
	.size	_ZN2at6native12_GLOBAL__N_135GammaBetaBackwardCUDAKernelTemplateIN3c108BFloat16EfLj64ELj16ELj256ELb0ELb0ELb1EEEvllPKT_S7_PKT0_SA_PS5_SB_, .Lfunc_end197-_ZN2at6native12_GLOBAL__N_135GammaBetaBackwardCUDAKernelTemplateIN3c108BFloat16EfLj64ELj16ELj256ELb0ELb0ELb1EEEvllPKT_S7_PKT0_SA_PS5_SB_
                                        ; -- End function
	.set _ZN2at6native12_GLOBAL__N_135GammaBetaBackwardCUDAKernelTemplateIN3c108BFloat16EfLj64ELj16ELj256ELb0ELb0ELb1EEEvllPKT_S7_PKT0_SA_PS5_SB_.num_vgpr, 172
	.set _ZN2at6native12_GLOBAL__N_135GammaBetaBackwardCUDAKernelTemplateIN3c108BFloat16EfLj64ELj16ELj256ELb0ELb0ELb1EEEvllPKT_S7_PKT0_SA_PS5_SB_.num_agpr, 0
	.set _ZN2at6native12_GLOBAL__N_135GammaBetaBackwardCUDAKernelTemplateIN3c108BFloat16EfLj64ELj16ELj256ELb0ELb0ELb1EEEvllPKT_S7_PKT0_SA_PS5_SB_.numbered_sgpr, 32
	.set _ZN2at6native12_GLOBAL__N_135GammaBetaBackwardCUDAKernelTemplateIN3c108BFloat16EfLj64ELj16ELj256ELb0ELb0ELb1EEEvllPKT_S7_PKT0_SA_PS5_SB_.num_named_barrier, 0
	.set _ZN2at6native12_GLOBAL__N_135GammaBetaBackwardCUDAKernelTemplateIN3c108BFloat16EfLj64ELj16ELj256ELb0ELb0ELb1EEEvllPKT_S7_PKT0_SA_PS5_SB_.private_seg_size, 0
	.set _ZN2at6native12_GLOBAL__N_135GammaBetaBackwardCUDAKernelTemplateIN3c108BFloat16EfLj64ELj16ELj256ELb0ELb0ELb1EEEvllPKT_S7_PKT0_SA_PS5_SB_.uses_vcc, 1
	.set _ZN2at6native12_GLOBAL__N_135GammaBetaBackwardCUDAKernelTemplateIN3c108BFloat16EfLj64ELj16ELj256ELb0ELb0ELb1EEEvllPKT_S7_PKT0_SA_PS5_SB_.uses_flat_scratch, 0
	.set _ZN2at6native12_GLOBAL__N_135GammaBetaBackwardCUDAKernelTemplateIN3c108BFloat16EfLj64ELj16ELj256ELb0ELb0ELb1EEEvllPKT_S7_PKT0_SA_PS5_SB_.has_dyn_sized_stack, 0
	.set _ZN2at6native12_GLOBAL__N_135GammaBetaBackwardCUDAKernelTemplateIN3c108BFloat16EfLj64ELj16ELj256ELb0ELb0ELb1EEEvllPKT_S7_PKT0_SA_PS5_SB_.has_recursion, 0
	.set _ZN2at6native12_GLOBAL__N_135GammaBetaBackwardCUDAKernelTemplateIN3c108BFloat16EfLj64ELj16ELj256ELb0ELb0ELb1EEEvllPKT_S7_PKT0_SA_PS5_SB_.has_indirect_call, 0
	.section	.AMDGPU.csdata,"",@progbits
; Kernel info:
; codeLenInByte = 17712
; TotalNumSgprs: 34
; NumVgprs: 172
; ScratchSize: 0
; MemoryBound: 0
; FloatMode: 240
; IeeeMode: 1
; LDSByteSize: 0 bytes/workgroup (compile time only)
; SGPRBlocks: 0
; VGPRBlocks: 21
; NumSGPRsForWavesPerEU: 34
; NumVGPRsForWavesPerEU: 172
; Occupancy: 8
; WaveLimiterHint : 0
; COMPUTE_PGM_RSRC2:SCRATCH_EN: 0
; COMPUTE_PGM_RSRC2:USER_SGPR: 2
; COMPUTE_PGM_RSRC2:TRAP_HANDLER: 0
; COMPUTE_PGM_RSRC2:TGID_X_EN: 1
; COMPUTE_PGM_RSRC2:TGID_Y_EN: 1
; COMPUTE_PGM_RSRC2:TGID_Z_EN: 0
; COMPUTE_PGM_RSRC2:TIDIG_COMP_CNT: 1
	.section	.text._ZN2at6native12_GLOBAL__N_135GammaBetaBackwardCUDAKernelTemplateIN3c108BFloat16EfLj32ELj1ELj32ELb1ELb1ELb1EEEvllPKT_S7_PKT0_SA_PS5_SB_,"axG",@progbits,_ZN2at6native12_GLOBAL__N_135GammaBetaBackwardCUDAKernelTemplateIN3c108BFloat16EfLj32ELj1ELj32ELb1ELb1ELb1EEEvllPKT_S7_PKT0_SA_PS5_SB_,comdat
	.globl	_ZN2at6native12_GLOBAL__N_135GammaBetaBackwardCUDAKernelTemplateIN3c108BFloat16EfLj32ELj1ELj32ELb1ELb1ELb1EEEvllPKT_S7_PKT0_SA_PS5_SB_ ; -- Begin function _ZN2at6native12_GLOBAL__N_135GammaBetaBackwardCUDAKernelTemplateIN3c108BFloat16EfLj32ELj1ELj32ELb1ELb1ELb1EEEvllPKT_S7_PKT0_SA_PS5_SB_
	.p2align	8
	.type	_ZN2at6native12_GLOBAL__N_135GammaBetaBackwardCUDAKernelTemplateIN3c108BFloat16EfLj32ELj1ELj32ELb1ELb1ELb1EEEvllPKT_S7_PKT0_SA_PS5_SB_,@function
_ZN2at6native12_GLOBAL__N_135GammaBetaBackwardCUDAKernelTemplateIN3c108BFloat16EfLj32ELj1ELj32ELb1ELb1ELb1EEEvllPKT_S7_PKT0_SA_PS5_SB_: ; @_ZN2at6native12_GLOBAL__N_135GammaBetaBackwardCUDAKernelTemplateIN3c108BFloat16EfLj32ELj1ELj32ELb1ELb1ELb1EEEvllPKT_S7_PKT0_SA_PS5_SB_
; %bb.0:
	s_clause 0x1
	s_load_b128 s[4:7], s[0:1], 0x0
	s_load_b64 s[2:3], s[0:1], 0x30
	s_lshl_b32 s12, ttmp7, 5
	s_mov_b32 s13, 0
	v_mov_b32_e32 v24, 0
	v_bfe_u32 v1, v0, 10, 10
	v_and_b32_e32 v0, 0x3ff, v0
	s_wait_kmcnt 0x0
	v_cmp_le_i64_e64 s8, s[4:5], s[12:13]
	s_and_b32 vcc_lo, exec_lo, s8
	s_cbranch_vccnz .LBB198_5
; %bb.1:
	s_clause 0x3
	s_load_b32 s14, s[0:1], 0x4c
	s_load_b32 s15, s[0:1], 0x44
	s_load_b128 s[8:11], s[0:1], 0x10
	s_load_b64 s[16:17], s[0:1], 0x28
	v_dual_mov_b32 v3, 0 :: v_dual_lshlrev_b32 v4, 5, v1
	v_lshl_or_b32 v2, ttmp9, 5, v0
	v_dual_mov_b32 v8, 4 :: v_dual_mov_b32 v9, 8
	v_dual_mov_b32 v10, 12 :: v_dual_mov_b32 v11, 16
	;; [unrolled: 1-line block ×7, first 2 shown]
	s_wait_kmcnt 0x0
	s_and_b32 s14, s14, 0xffff
	v_dual_mov_b32 v22, 60 :: v_dual_mov_b32 v23, 64
	v_mad_u32_u24 v5, v1, s14, v0
	v_add_co_u32 v39, s14, v4, s12
	s_wait_alu 0xf1ff
	v_add_co_ci_u32_e64 v40, null, 0, 0, s14
	s_delay_alu instid0(VALU_DEP_3) | instskip(NEXT) | instid1(VALU_DEP_3)
	v_dual_mov_b32 v25, 0x44 :: v_dual_and_b32 v24, 31, v5
	v_mul_lo_u32 v6, s7, v39
	s_delay_alu instid0(VALU_DEP_3)
	v_mul_lo_u32 v7, s6, v40
	v_mad_co_u64_u32 v[4:5], null, s6, v39, 0
	s_lshl_b32 s14, s15, 5
	s_mov_b32 s15, s13
	v_mov_b32_e32 v26, 0x48
	v_mov_b32_e32 v27, 0x4c
	;; [unrolled: 1-line block ×4, first 2 shown]
	v_add3_u32 v5, v5, v7, v6
	v_mov_b32_e32 v30, 0x58
	v_mov_b32_e32 v31, 0x5c
	;; [unrolled: 1-line block ×4, first 2 shown]
	v_lshlrev_b64_e32 v[6:7], 1, v[4:5]
	v_add_co_u32 v4, vcc_lo, v39, v24
	s_delay_alu instid0(VALU_DEP_1) | instskip(SKIP_3) | instid1(VALU_DEP_4)
	v_add_co_ci_u32_e64 v5, null, 0, v40, vcc_lo
	v_lshlrev_b64_e32 v[39:40], 1, v[2:3]
	v_mov_b32_e32 v34, 0x68
	v_mov_b32_e32 v35, 0x6c
	v_lshlrev_b64_e32 v[41:42], 2, v[4:5]
	v_mov_b32_e32 v36, 0x70
	v_mov_b32_e32 v37, 0x74
	v_add_co_u32 v39, vcc_lo, v6, v39
	s_wait_alu 0xfffd
	v_add_co_ci_u32_e64 v40, null, v7, v40, vcc_lo
	v_add_co_u32 v6, vcc_lo, s16, v41
	v_mov_b32_e32 v38, 0x78
	v_mov_b32_e32 v2, 0x7c
	s_wait_alu 0xfffd
	v_add_co_ci_u32_e64 v7, null, s17, v42, vcc_lo
	v_mov_b32_e32 v24, 0
	s_wait_alu 0xfffe
	s_mul_u64 s[18:19], s[6:7], s[14:15]
	s_lshl_b64 s[20:21], s[6:7], 1
	s_lshl_b64 s[16:17], s[18:19], 1
	;; [unrolled: 1-line block ×3, first 2 shown]
	s_branch .LBB198_3
.LBB198_2:                              ;   in Loop: Header=BB198_3 Depth=1
	s_or_b32 exec_lo, exec_lo, s22
	v_add_co_u32 v42, vcc_lo, s8, v39
	s_wait_alu 0xfffd
	v_add_co_ci_u32_e64 v43, null, s9, v40, vcc_lo
	v_add_co_u32 v44, vcc_lo, s10, v39
	s_wait_alu 0xfffd
	v_add_co_ci_u32_e64 v45, null, s11, v40, vcc_lo
	global_load_u16 v52, v[42:43], off
	global_load_u16 v53, v[44:45], off
	v_add_co_u32 v42, vcc_lo, v42, s20
	s_wait_alu 0xfffd
	v_add_co_ci_u32_e64 v43, null, s21, v43, vcc_lo
	v_add_co_u32 v44, vcc_lo, v44, s20
	s_wait_alu 0xfffd
	v_add_co_ci_u32_e64 v45, null, s21, v45, vcc_lo
	global_load_u16 v54, v[42:43], off
	global_load_u16 v55, v[44:45], off
	;; [unrolled: 8-line block ×4, first 2 shown]
	v_add_co_u32 v42, vcc_lo, v42, s20
	s_wait_alu 0xfffd
	v_add_co_ci_u32_e64 v43, null, s21, v43, vcc_lo
	v_add_co_u32 v44, vcc_lo, v44, s20
	s_wait_alu 0xfffd
	v_add_co_ci_u32_e64 v45, null, s21, v45, vcc_lo
	global_load_u16 v60, v[42:43], off
	v_add_co_u32 v42, vcc_lo, v42, s20
	s_wait_alu 0xfffd
	v_add_co_ci_u32_e64 v43, null, s21, v43, vcc_lo
	v_add_co_u32 v46, vcc_lo, v44, s20
	s_wait_alu 0xfffd
	v_add_co_ci_u32_e64 v47, null, s21, v45, vcc_lo
	v_add_co_u32 v48, vcc_lo, v42, s20
	s_wait_alu 0xfffd
	v_add_co_ci_u32_e64 v49, null, s21, v43, vcc_lo
	v_add_co_u32 v50, vcc_lo, v46, s20
	s_wait_alu 0xfffd
	v_add_co_ci_u32_e64 v51, null, s21, v47, vcc_lo
	global_load_u16 v61, v[44:45], off
	global_load_u16 v62, v[42:43], off
	global_load_u16 v63, v[46:47], off
	global_load_u16 v64, v[48:49], off
	global_load_u16 v65, v[50:51], off
	v_add_co_u32 v42, vcc_lo, v48, s20
	s_wait_alu 0xfffd
	v_add_co_ci_u32_e64 v43, null, s21, v49, vcc_lo
	v_add_co_u32 v44, vcc_lo, v50, s20
	s_wait_alu 0xfffd
	v_add_co_ci_u32_e64 v45, null, s21, v51, vcc_lo
	global_load_u16 v66, v[42:43], off
	v_add_co_u32 v42, vcc_lo, v42, s20
	s_wait_alu 0xfffd
	v_add_co_ci_u32_e64 v43, null, s21, v43, vcc_lo
	v_add_co_u32 v46, vcc_lo, v44, s20
	s_wait_alu 0xfffd
	v_add_co_ci_u32_e64 v47, null, s21, v45, vcc_lo
	v_add_co_u32 v48, vcc_lo, v42, s20
	s_wait_alu 0xfffd
	v_add_co_ci_u32_e64 v49, null, s21, v43, vcc_lo
	v_add_co_u32 v50, vcc_lo, v46, s20
	s_wait_alu 0xfffd
	v_add_co_ci_u32_e64 v51, null, s21, v47, vcc_lo
	global_load_u16 v67, v[44:45], off
	global_load_u16 v68, v[42:43], off
	global_load_u16 v69, v[46:47], off
	global_load_u16 v70, v[48:49], off
	global_load_u16 v71, v[50:51], off
	;; [unrolled: 24-line block ×6, first 2 shown]
	v_add_co_u32 v42, vcc_lo, v48, s20
	s_wait_alu 0xfffd
	v_add_co_ci_u32_e64 v43, null, s21, v49, vcc_lo
	v_add_co_u32 v44, vcc_lo, v50, s20
	s_wait_alu 0xfffd
	v_add_co_ci_u32_e64 v45, null, s21, v51, vcc_lo
	global_load_u16 v48, v[42:43], off
	v_add_co_u32 v42, vcc_lo, v42, s20
	global_load_u16 v49, v[44:45], off
	s_wait_alu 0xfffd
	v_add_co_ci_u32_e64 v43, null, s21, v43, vcc_lo
	v_add_co_u32 v46, vcc_lo, v44, s20
	s_wait_alu 0xfffd
	v_add_co_ci_u32_e64 v47, null, s21, v45, vcc_lo
	v_add_co_u32 v44, vcc_lo, v42, s20
	s_wait_alu 0xfffd
	v_add_co_ci_u32_e64 v45, null, s21, v43, vcc_lo
	global_load_u16 v51, v[46:47], off
	global_load_u16 v50, v[42:43], off
	s_add_nc_u64 s[12:13], s[12:13], s[14:15]
	s_wait_alu 0xfffe
	v_cmp_lt_i64_e64 s22, s[12:13], s[4:5]
	s_wait_loadcnt 0x2f
	v_lshlrev_b32_e32 v42, 16, v52
	s_wait_loadcnt 0x2e
	v_lshlrev_b32_e32 v43, 16, v53
	global_load_u16 v52, v[44:45], off
	v_mul_f32_e32 v42, v42, v43
	ds_bpermute_b32 v43, v3, v41
	s_wait_dscnt 0x0
	v_fmac_f32_e32 v24, v42, v43
	v_add_co_u32 v42, vcc_lo, v46, s20
	s_wait_alu 0xfffd
	v_add_co_ci_u32_e64 v43, null, s21, v47, vcc_lo
	v_add_co_u32 v46, vcc_lo, v44, s20
	s_wait_alu 0xfffd
	v_add_co_ci_u32_e64 v47, null, s21, v45, vcc_lo
	s_wait_loadcnt 0x2d
	v_lshlrev_b32_e32 v45, 16, v55
	global_load_u16 v53, v[42:43], off
	s_wait_loadcnt 0x4
	v_lshlrev_b32_e32 v49, 16, v49
	v_lshlrev_b32_e32 v44, 16, v54
	global_load_u16 v54, v[46:47], off
	v_mul_f32_e32 v44, v44, v45
	ds_bpermute_b32 v45, v8, v41
	s_wait_loadcnt_dscnt 0x400
	v_dual_fmac_f32 v24, v44, v45 :: v_dual_lshlrev_b32 v51, 16, v51
	v_add_co_u32 v44, vcc_lo, v42, s20
	s_wait_alu 0xfffd
	v_add_co_ci_u32_e64 v45, null, s21, v43, vcc_lo
	v_add_co_u32 v42, vcc_lo, v46, s20
	s_wait_alu 0xfffd
	v_add_co_ci_u32_e64 v43, null, s21, v47, vcc_lo
	v_lshlrev_b32_e32 v46, 16, v56
	v_lshlrev_b32_e32 v47, 16, v57
	global_load_u16 v55, v[44:45], off
	global_load_u16 v56, v[42:43], off
	v_mul_f32_e32 v46, v46, v47
	ds_bpermute_b32 v47, v9, v41
	s_wait_dscnt 0x0
	v_fmac_f32_e32 v24, v46, v47
	v_add_co_u32 v46, vcc_lo, v44, s20
	s_wait_alu 0xfffd
	v_add_co_ci_u32_e64 v47, null, s21, v45, vcc_lo
	v_add_co_u32 v44, vcc_lo, v42, s20
	s_wait_alu 0xfffd
	v_add_co_ci_u32_e64 v45, null, s21, v43, vcc_lo
	v_lshlrev_b32_e32 v42, 16, v58
	v_lshlrev_b32_e32 v43, 16, v59
	global_load_u16 v57, v[46:47], off
	global_load_u16 v58, v[44:45], off
	v_mul_f32_e32 v42, v42, v43
	ds_bpermute_b32 v43, v10, v41
	s_wait_dscnt 0x0
	v_fmac_f32_e32 v24, v42, v43
	v_add_co_u32 v42, vcc_lo, v46, s20
	s_wait_alu 0xfffd
	v_add_co_ci_u32_e64 v43, null, s21, v47, vcc_lo
	v_add_co_u32 v46, vcc_lo, v44, s20
	s_wait_alu 0xfffd
	v_add_co_ci_u32_e64 v47, null, s21, v45, vcc_lo
	v_lshlrev_b32_e32 v44, 16, v60
	v_lshlrev_b32_e32 v45, 16, v61
	global_load_u16 v59, v[42:43], off
	global_load_u16 v60, v[46:47], off
	v_mul_f32_e32 v44, v44, v45
	ds_bpermute_b32 v45, v11, v41
	s_wait_dscnt 0x0
	v_fmac_f32_e32 v24, v44, v45
	v_add_co_u32 v44, vcc_lo, v42, s20
	s_wait_alu 0xfffd
	v_add_co_ci_u32_e64 v45, null, s21, v43, vcc_lo
	v_add_co_u32 v42, vcc_lo, v46, s20
	s_wait_alu 0xfffd
	v_add_co_ci_u32_e64 v43, null, s21, v47, vcc_lo
	v_lshlrev_b32_e32 v46, 16, v62
	v_lshlrev_b32_e32 v47, 16, v63
	global_load_u16 v61, v[44:45], off
	global_load_u16 v62, v[42:43], off
	v_mul_f32_e32 v46, v46, v47
	ds_bpermute_b32 v47, v12, v41
	s_wait_dscnt 0x0
	v_fmac_f32_e32 v24, v46, v47
	v_add_co_u32 v46, vcc_lo, v44, s20
	s_wait_alu 0xfffd
	v_add_co_ci_u32_e64 v47, null, s21, v45, vcc_lo
	v_add_co_u32 v44, vcc_lo, v42, s20
	s_wait_alu 0xfffd
	v_add_co_ci_u32_e64 v45, null, s21, v43, vcc_lo
	v_lshlrev_b32_e32 v42, 16, v64
	v_lshlrev_b32_e32 v43, 16, v65
	global_load_u16 v63, v[46:47], off
	v_lshlrev_b32_e32 v65, 16, v69
	v_dual_mul_f32 v42, v42, v43 :: v_dual_lshlrev_b32 v69, 16, v72
	ds_bpermute_b32 v43, v13, v41
	s_wait_dscnt 0x0
	v_fmac_f32_e32 v24, v42, v43
	v_add_co_u32 v42, vcc_lo, v46, s20
	s_wait_alu 0xfffd
	v_add_co_ci_u32_e64 v43, null, s21, v47, vcc_lo
	s_delay_alu instid0(VALU_DEP_2) | instskip(SKIP_1) | instid1(VALU_DEP_2)
	v_add_co_u32 v46, vcc_lo, v42, s20
	s_wait_alu 0xfffd
	v_add_co_ci_u32_e64 v47, null, s21, v43, vcc_lo
	global_load_u16 v64, v[42:43], off
	v_add_co_u32 v42, vcc_lo, v44, s20
	s_wait_alu 0xfffd
	v_add_co_ci_u32_e64 v43, null, s21, v45, vcc_lo
	global_load_u16 v44, v[44:45], off
	global_load_u16 v45, v[46:47], off
	;; [unrolled: 1-line block ×3, first 2 shown]
	ds_bpermute_b32 v43, v14, v41
	v_lshlrev_b32_e32 v46, 16, v66
	v_lshlrev_b32_e32 v47, 16, v67
	ds_bpermute_b32 v66, v17, v41
	v_lshlrev_b32_e32 v67, 16, v70
	v_add_co_u32 v39, vcc_lo, v39, s16
	v_mul_f32_e32 v46, v46, v47
	ds_bpermute_b32 v47, v15, v41
	s_wait_alu 0xfffd
	v_add_co_ci_u32_e64 v40, null, s17, v40, vcc_lo
	v_add_co_u32 v6, vcc_lo, v6, s18
	s_wait_alu 0xfffd
	v_add_co_ci_u32_e64 v7, null, s19, v7, vcc_lo
	v_add_co_u32 v4, vcc_lo, v4, s14
	s_wait_alu 0xfffd
	v_add_co_ci_u32_e64 v5, null, 0, v5, vcc_lo
	s_and_b32 vcc_lo, exec_lo, s22
	s_wait_dscnt 0x2
	v_fmac_f32_e32 v24, v46, v43
	ds_bpermute_b32 v43, v16, v41
	v_lshlrev_b32_e32 v46, 16, v68
	ds_bpermute_b32 v68, v18, v41
	v_dual_mul_f32 v46, v46, v65 :: v_dual_lshlrev_b32 v65, 16, v71
	s_wait_dscnt 0x2
	s_delay_alu instid0(VALU_DEP_1) | instskip(NEXT) | instid1(VALU_DEP_2)
	v_fmac_f32_e32 v24, v46, v47
	v_mul_f32_e32 v46, v67, v65
	v_lshlrev_b32_e32 v47, 16, v73
	ds_bpermute_b32 v65, v19, v41
	s_wait_dscnt 0x2
	v_dual_fmac_f32 v24, v46, v43 :: v_dual_lshlrev_b32 v67, 16, v74
	v_mul_f32_e32 v43, v69, v47
	v_lshlrev_b32_e32 v46, 16, v75
	ds_bpermute_b32 v47, v20, v41
	v_dual_fmac_f32 v24, v43, v66 :: v_dual_lshlrev_b32 v69, 16, v76
	v_dual_mul_f32 v43, v67, v46 :: v_dual_lshlrev_b32 v46, 16, v77
	ds_bpermute_b32 v66, v21, v41
	s_wait_dscnt 0x3
	v_dual_fmac_f32 v24, v43, v68 :: v_dual_lshlrev_b32 v67, 16, v78
	v_dual_mul_f32 v43, v69, v46 :: v_dual_lshlrev_b32 v46, 16, v79
	ds_bpermute_b32 v68, v22, v41
	s_wait_dscnt 0x3
	;; [unrolled: 4-line block ×10, first 2 shown]
	v_fmac_f32_e32 v24, v43, v65
	v_dual_mul_f32 v43, v67, v46 :: v_dual_lshlrev_b32 v46, 16, v48
	ds_bpermute_b32 v48, v32, v41
	s_wait_dscnt 0x3
	v_dual_fmac_f32 v24, v43, v47 :: v_dual_mul_f32 v43, v46, v49
	s_wait_loadcnt 0x10
	v_lshlrev_b32_e32 v46, 16, v50
	ds_bpermute_b32 v47, v33, v41
	s_wait_loadcnt 0xe
	v_lshlrev_b32_e32 v49, 16, v53
	ds_bpermute_b32 v50, v34, v41
	s_wait_dscnt 0x4
	v_dual_fmac_f32 v24, v43, v66 :: v_dual_mul_f32 v43, v46, v51
	v_lshlrev_b32_e32 v46, 16, v52
	s_wait_dscnt 0x3
	s_delay_alu instid0(VALU_DEP_1)
	v_dual_fmac_f32 v24, v43, v68 :: v_dual_mul_f32 v43, v46, v49
	s_wait_loadcnt 0xd
	v_lshlrev_b32_e32 v46, 16, v54
	ds_bpermute_b32 v49, v35, v41
	s_wait_dscnt 0x3
	v_fmac_f32_e32 v24, v43, v48
	ds_bpermute_b32 v48, v36, v41
	s_wait_loadcnt 0xc
	v_lshlrev_b32_e32 v51, 16, v55
	s_wait_loadcnt 0xb
	s_delay_alu instid0(VALU_DEP_1)
	v_dual_mul_f32 v43, v46, v51 :: v_dual_lshlrev_b32 v46, 16, v56
	s_wait_loadcnt 0xa
	v_lshlrev_b32_e32 v52, 16, v57
	s_wait_loadcnt 0x8
	v_lshlrev_b32_e32 v51, 16, v59
	s_wait_dscnt 0x3
	s_delay_alu instid0(VALU_DEP_2)
	v_dual_fmac_f32 v24, v43, v47 :: v_dual_mul_f32 v43, v46, v52
	v_lshlrev_b32_e32 v46, 16, v58
	ds_bpermute_b32 v47, v37, v41
	s_wait_dscnt 0x3
	v_dual_fmac_f32 v24, v43, v50 :: v_dual_mul_f32 v43, v46, v51
	s_wait_loadcnt 0x7
	v_lshlrev_b32_e32 v46, 16, v60
	ds_bpermute_b32 v50, v38, v41
	ds_bpermute_b32 v41, v2, v41
	s_wait_loadcnt 0x6
	v_lshlrev_b32_e32 v52, 16, v61
	s_wait_loadcnt_dscnt 0x404
	v_dual_fmac_f32 v24, v43, v49 :: v_dual_lshlrev_b32 v51, 16, v63
	s_delay_alu instid0(VALU_DEP_2) | instskip(SKIP_1) | instid1(VALU_DEP_1)
	v_dual_mul_f32 v43, v46, v52 :: v_dual_lshlrev_b32 v46, 16, v62
	s_wait_dscnt 0x3
	v_dual_fmac_f32 v24, v43, v48 :: v_dual_mul_f32 v43, v46, v51
	s_wait_loadcnt_dscnt 0x302
	s_delay_alu instid0(VALU_DEP_1) | instskip(SKIP_3) | instid1(VALU_DEP_1)
	v_dual_fmac_f32 v24, v43, v47 :: v_dual_lshlrev_b32 v49, 16, v64
	s_wait_loadcnt 0x2
	v_lshlrev_b32_e32 v44, 16, v44
	s_wait_loadcnt 0x0
	v_dual_mul_f32 v43, v44, v49 :: v_dual_lshlrev_b32 v42, 16, v42
	s_wait_dscnt 0x1
	s_delay_alu instid0(VALU_DEP_1) | instskip(NEXT) | instid1(VALU_DEP_1)
	v_dual_fmac_f32 v24, v43, v50 :: v_dual_lshlrev_b32 v45, 16, v45
	v_mul_f32_e32 v42, v42, v45
	s_wait_dscnt 0x0
	s_delay_alu instid0(VALU_DEP_1)
	v_fmac_f32_e32 v24, v42, v41
	s_wait_alu 0xfffe
	s_cbranch_vccz .LBB198_5
.LBB198_3:                              ; =>This Inner Loop Header: Depth=1
	v_mov_b32_e32 v41, 0
	s_mov_b32 s22, exec_lo
	v_cmpx_gt_i64_e64 s[4:5], v[4:5]
	s_cbranch_execz .LBB198_2
; %bb.4:                                ;   in Loop: Header=BB198_3 Depth=1
	global_load_b32 v41, v[6:7], off
	s_branch .LBB198_2
.LBB198_5:
	s_cmp_eq_u64 s[2:3], 0
	s_cbranch_scc1 .LBB198_7
; %bb.6:
	s_load_u16 s0, s[0:1], 0x4e
	v_mov_b32_e32 v2, 0
	s_mov_b32 s4, ttmp9
	s_mov_b32 s5, 0
	v_lshlrev_b32_e32 v0, 1, v0
	s_wait_kmcnt 0x0
	v_mad_co_u64_u32 v[1:2], null, s0, ttmp7, v[1:2]
	s_wait_alu 0xfffe
	s_lshl_b64 s[0:1], s[4:5], 6
	s_delay_alu instid0(VALU_DEP_1) | instskip(NEXT) | instid1(VALU_DEP_2)
	v_mul_lo_u32 v3, v2, s6
	v_mul_lo_u32 v4, v1, s7
	v_mad_co_u64_u32 v[1:2], null, v1, s6, 0
	s_delay_alu instid0(VALU_DEP_1) | instskip(SKIP_1) | instid1(VALU_DEP_2)
	v_add3_u32 v2, v2, v4, v3
	v_bfe_u32 v3, v24, 16, 1
	v_lshlrev_b64_e32 v[1:2], 1, v[1:2]
	s_delay_alu instid0(VALU_DEP_2) | instskip(NEXT) | instid1(VALU_DEP_1)
	v_add3_u32 v3, v24, v3, 0x7fff
	v_lshrrev_b32_e32 v3, 16, v3
	s_delay_alu instid0(VALU_DEP_3) | instskip(SKIP_1) | instid1(VALU_DEP_4)
	v_add_co_u32 v1, vcc_lo, s2, v1
	s_wait_alu 0xfffd
	v_add_co_ci_u32_e64 v2, null, s3, v2, vcc_lo
	s_wait_alu 0xfffe
	s_delay_alu instid0(VALU_DEP_2) | instskip(SKIP_1) | instid1(VALU_DEP_2)
	v_add_co_u32 v1, vcc_lo, v1, s0
	s_wait_alu 0xfffd
	v_add_co_ci_u32_e64 v2, null, s1, v2, vcc_lo
	v_cmp_o_f32_e32 vcc_lo, v24, v24
	s_wait_alu 0xfffd
	v_cndmask_b32_e32 v3, 0x7fc0, v3, vcc_lo
	v_add_co_u32 v0, vcc_lo, v1, v0
	s_wait_alu 0xfffd
	v_add_co_ci_u32_e64 v1, null, 0, v2, vcc_lo
	global_store_b16 v[0:1], v3, off
.LBB198_7:
	s_endpgm
	.section	.rodata,"a",@progbits
	.p2align	6, 0x0
	.amdhsa_kernel _ZN2at6native12_GLOBAL__N_135GammaBetaBackwardCUDAKernelTemplateIN3c108BFloat16EfLj32ELj1ELj32ELb1ELb1ELb1EEEvllPKT_S7_PKT0_SA_PS5_SB_
		.amdhsa_group_segment_fixed_size 0
		.amdhsa_private_segment_fixed_size 0
		.amdhsa_kernarg_size 320
		.amdhsa_user_sgpr_count 2
		.amdhsa_user_sgpr_dispatch_ptr 0
		.amdhsa_user_sgpr_queue_ptr 0
		.amdhsa_user_sgpr_kernarg_segment_ptr 1
		.amdhsa_user_sgpr_dispatch_id 0
		.amdhsa_user_sgpr_private_segment_size 0
		.amdhsa_wavefront_size32 1
		.amdhsa_uses_dynamic_stack 0
		.amdhsa_enable_private_segment 0
		.amdhsa_system_sgpr_workgroup_id_x 1
		.amdhsa_system_sgpr_workgroup_id_y 1
		.amdhsa_system_sgpr_workgroup_id_z 0
		.amdhsa_system_sgpr_workgroup_info 0
		.amdhsa_system_vgpr_workitem_id 1
		.amdhsa_next_free_vgpr 96
		.amdhsa_next_free_sgpr 23
		.amdhsa_reserve_vcc 1
		.amdhsa_float_round_mode_32 0
		.amdhsa_float_round_mode_16_64 0
		.amdhsa_float_denorm_mode_32 3
		.amdhsa_float_denorm_mode_16_64 3
		.amdhsa_fp16_overflow 0
		.amdhsa_workgroup_processor_mode 1
		.amdhsa_memory_ordered 1
		.amdhsa_forward_progress 1
		.amdhsa_inst_pref_size 31
		.amdhsa_round_robin_scheduling 0
		.amdhsa_exception_fp_ieee_invalid_op 0
		.amdhsa_exception_fp_denorm_src 0
		.amdhsa_exception_fp_ieee_div_zero 0
		.amdhsa_exception_fp_ieee_overflow 0
		.amdhsa_exception_fp_ieee_underflow 0
		.amdhsa_exception_fp_ieee_inexact 0
		.amdhsa_exception_int_div_zero 0
	.end_amdhsa_kernel
	.section	.text._ZN2at6native12_GLOBAL__N_135GammaBetaBackwardCUDAKernelTemplateIN3c108BFloat16EfLj32ELj1ELj32ELb1ELb1ELb1EEEvllPKT_S7_PKT0_SA_PS5_SB_,"axG",@progbits,_ZN2at6native12_GLOBAL__N_135GammaBetaBackwardCUDAKernelTemplateIN3c108BFloat16EfLj32ELj1ELj32ELb1ELb1ELb1EEEvllPKT_S7_PKT0_SA_PS5_SB_,comdat
.Lfunc_end198:
	.size	_ZN2at6native12_GLOBAL__N_135GammaBetaBackwardCUDAKernelTemplateIN3c108BFloat16EfLj32ELj1ELj32ELb1ELb1ELb1EEEvllPKT_S7_PKT0_SA_PS5_SB_, .Lfunc_end198-_ZN2at6native12_GLOBAL__N_135GammaBetaBackwardCUDAKernelTemplateIN3c108BFloat16EfLj32ELj1ELj32ELb1ELb1ELb1EEEvllPKT_S7_PKT0_SA_PS5_SB_
                                        ; -- End function
	.set _ZN2at6native12_GLOBAL__N_135GammaBetaBackwardCUDAKernelTemplateIN3c108BFloat16EfLj32ELj1ELj32ELb1ELb1ELb1EEEvllPKT_S7_PKT0_SA_PS5_SB_.num_vgpr, 96
	.set _ZN2at6native12_GLOBAL__N_135GammaBetaBackwardCUDAKernelTemplateIN3c108BFloat16EfLj32ELj1ELj32ELb1ELb1ELb1EEEvllPKT_S7_PKT0_SA_PS5_SB_.num_agpr, 0
	.set _ZN2at6native12_GLOBAL__N_135GammaBetaBackwardCUDAKernelTemplateIN3c108BFloat16EfLj32ELj1ELj32ELb1ELb1ELb1EEEvllPKT_S7_PKT0_SA_PS5_SB_.numbered_sgpr, 23
	.set _ZN2at6native12_GLOBAL__N_135GammaBetaBackwardCUDAKernelTemplateIN3c108BFloat16EfLj32ELj1ELj32ELb1ELb1ELb1EEEvllPKT_S7_PKT0_SA_PS5_SB_.num_named_barrier, 0
	.set _ZN2at6native12_GLOBAL__N_135GammaBetaBackwardCUDAKernelTemplateIN3c108BFloat16EfLj32ELj1ELj32ELb1ELb1ELb1EEEvllPKT_S7_PKT0_SA_PS5_SB_.private_seg_size, 0
	.set _ZN2at6native12_GLOBAL__N_135GammaBetaBackwardCUDAKernelTemplateIN3c108BFloat16EfLj32ELj1ELj32ELb1ELb1ELb1EEEvllPKT_S7_PKT0_SA_PS5_SB_.uses_vcc, 1
	.set _ZN2at6native12_GLOBAL__N_135GammaBetaBackwardCUDAKernelTemplateIN3c108BFloat16EfLj32ELj1ELj32ELb1ELb1ELb1EEEvllPKT_S7_PKT0_SA_PS5_SB_.uses_flat_scratch, 0
	.set _ZN2at6native12_GLOBAL__N_135GammaBetaBackwardCUDAKernelTemplateIN3c108BFloat16EfLj32ELj1ELj32ELb1ELb1ELb1EEEvllPKT_S7_PKT0_SA_PS5_SB_.has_dyn_sized_stack, 0
	.set _ZN2at6native12_GLOBAL__N_135GammaBetaBackwardCUDAKernelTemplateIN3c108BFloat16EfLj32ELj1ELj32ELb1ELb1ELb1EEEvllPKT_S7_PKT0_SA_PS5_SB_.has_recursion, 0
	.set _ZN2at6native12_GLOBAL__N_135GammaBetaBackwardCUDAKernelTemplateIN3c108BFloat16EfLj32ELj1ELj32ELb1ELb1ELb1EEEvllPKT_S7_PKT0_SA_PS5_SB_.has_indirect_call, 0
	.section	.AMDGPU.csdata,"",@progbits
; Kernel info:
; codeLenInByte = 3888
; TotalNumSgprs: 25
; NumVgprs: 96
; ScratchSize: 0
; MemoryBound: 0
; FloatMode: 240
; IeeeMode: 1
; LDSByteSize: 0 bytes/workgroup (compile time only)
; SGPRBlocks: 0
; VGPRBlocks: 11
; NumSGPRsForWavesPerEU: 25
; NumVGPRsForWavesPerEU: 96
; Occupancy: 16
; WaveLimiterHint : 0
; COMPUTE_PGM_RSRC2:SCRATCH_EN: 0
; COMPUTE_PGM_RSRC2:USER_SGPR: 2
; COMPUTE_PGM_RSRC2:TRAP_HANDLER: 0
; COMPUTE_PGM_RSRC2:TGID_X_EN: 1
; COMPUTE_PGM_RSRC2:TGID_Y_EN: 1
; COMPUTE_PGM_RSRC2:TGID_Z_EN: 0
; COMPUTE_PGM_RSRC2:TIDIG_COMP_CNT: 1
	.section	.text._ZN2at6native12_GLOBAL__N_135GammaBetaBackwardCUDAKernelTemplateIN3c108BFloat16EfLj32ELj1ELj32ELb1ELb0ELb1EEEvllPKT_S7_PKT0_SA_PS5_SB_,"axG",@progbits,_ZN2at6native12_GLOBAL__N_135GammaBetaBackwardCUDAKernelTemplateIN3c108BFloat16EfLj32ELj1ELj32ELb1ELb0ELb1EEEvllPKT_S7_PKT0_SA_PS5_SB_,comdat
	.globl	_ZN2at6native12_GLOBAL__N_135GammaBetaBackwardCUDAKernelTemplateIN3c108BFloat16EfLj32ELj1ELj32ELb1ELb0ELb1EEEvllPKT_S7_PKT0_SA_PS5_SB_ ; -- Begin function _ZN2at6native12_GLOBAL__N_135GammaBetaBackwardCUDAKernelTemplateIN3c108BFloat16EfLj32ELj1ELj32ELb1ELb0ELb1EEEvllPKT_S7_PKT0_SA_PS5_SB_
	.p2align	8
	.type	_ZN2at6native12_GLOBAL__N_135GammaBetaBackwardCUDAKernelTemplateIN3c108BFloat16EfLj32ELj1ELj32ELb1ELb0ELb1EEEvllPKT_S7_PKT0_SA_PS5_SB_,@function
_ZN2at6native12_GLOBAL__N_135GammaBetaBackwardCUDAKernelTemplateIN3c108BFloat16EfLj32ELj1ELj32ELb1ELb0ELb1EEEvllPKT_S7_PKT0_SA_PS5_SB_: ; @_ZN2at6native12_GLOBAL__N_135GammaBetaBackwardCUDAKernelTemplateIN3c108BFloat16EfLj32ELj1ELj32ELb1ELb0ELb1EEEvllPKT_S7_PKT0_SA_PS5_SB_
; %bb.0:
	s_clause 0x1
	s_load_b256 s[4:11], s[0:1], 0x0
	s_load_b64 s[12:13], s[0:1], 0x28
	s_lshl_b32 s28, ttmp9, 5
	s_mov_b32 s15, 0
	s_or_b32 s14, s28, 31
	v_mov_b32_e32 v208, v0
	s_wait_kmcnt 0x0
	v_cmp_le_i64_e64 s2, s[6:7], s[14:15]
	s_lshl_b32 s14, ttmp7, 5
	s_wait_alu 0xfffe
	v_cmp_gt_i64_e64 s29, s[4:5], s[14:15]
	s_and_b32 vcc_lo, exec_lo, s2
	v_cndmask_b32_e64 v0, 0, 1, s29
	s_delay_alu instid0(VALU_DEP_1)
	v_cmp_ne_u32_e64 s2, 1, v0
	s_cbranch_vccz .LBB199_141
; %bb.1:
	v_mov_b32_e32 v202, 0
	s_and_b32 vcc_lo, exec_lo, s2
	s_cbranch_vccnz .LBB199_142
; %bb.2:
	v_bfe_u32 v38, v208, 10, 10
	v_dual_mov_b32 v1, 0 :: v_dual_and_b32 v40, 0x3ff, v208
	s_load_b32 s3, s[0:1], 0x44
	s_mov_b32 s17, 0
	s_delay_alu instid0(VALU_DEP_2) | instskip(NEXT) | instid1(VALU_DEP_2)
	v_lshlrev_b32_e32 v39, 5, v38
	v_dual_mov_b32 v7, v1 :: v_dual_add_nc_u32 v6, s28, v40
	s_mov_b32 s21, s17
	v_mov_b32_e32 v41, v1
	s_delay_alu instid0(VALU_DEP_3) | instskip(NEXT) | instid1(VALU_DEP_1)
	v_add_co_u32 v4, s2, v39, s14
	v_add_co_ci_u32_e64 v5, null, 0, 0, s2
	v_cmp_gt_i64_e64 s2, s[6:7], v[6:7]
	s_delay_alu instid0(VALU_DEP_3) | instskip(SKIP_1) | instid1(VALU_DEP_4)
	v_mul_lo_u32 v0, s7, v4
	v_mad_co_u64_u32 v[2:3], null, s6, v4, 0
	v_mul_lo_u32 v8, s6, v5
	v_lshlrev_b64_e32 v[34:35], 1, v[6:7]
	v_mov_b32_e32 v169, 0
	s_add_nc_u64 s[18:19], s[0:1], 64
	s_mov_b64 s[24:25], 31
	s_wait_kmcnt 0x0
	s_lshl_b32 s20, s3, 5
	s_mov_b64 s[26:27], s[14:15]
	s_mul_u64 s[22:23], s[6:7], s[20:21]
	v_add3_u32 v3, v3, v8, v0
	v_add_co_u32 v0, vcc_lo, v4, 31
	s_delay_alu instid0(VALU_DEP_1) | instskip(NEXT) | instid1(VALU_DEP_3)
	v_add_co_ci_u32_e64 v8, null, 0, v5, vcc_lo
	v_lshlrev_b64_e32 v[6:7], 1, v[2:3]
	s_delay_alu instid0(VALU_DEP_3) | instskip(SKIP_1) | instid1(VALU_DEP_3)
	v_mul_lo_u32 v12, s7, v0
	s_lshl_b64 s[22:23], s[22:23], 1
	v_mul_lo_u32 v13, s6, v8
	v_mad_co_u64_u32 v[8:9], null, s6, v0, 0
	v_add_co_u32 v0, vcc_lo, v4, 30
	s_wait_alu 0xfffd
	v_add_co_ci_u32_e64 v10, null, 0, v5, vcc_lo
	v_add_co_u32 v42, vcc_lo, s8, v6
	s_delay_alu instid0(VALU_DEP_3) | instskip(NEXT) | instid1(VALU_DEP_3)
	v_mul_lo_u32 v14, s7, v0
	v_mul_lo_u32 v15, s6, v10
	v_mad_co_u64_u32 v[10:11], null, s6, v0, 0
	s_wait_alu 0xfffd
	v_add_co_ci_u32_e64 v43, null, s9, v7, vcc_lo
	v_add_co_u32 v44, vcc_lo, s10, v6
	s_wait_alu 0xfffd
	v_add_co_ci_u32_e64 v45, null, s11, v7, vcc_lo
	v_add_co_u32 v0, vcc_lo, v4, 29
	v_add3_u32 v9, v9, v13, v12
	v_add3_u32 v11, v11, v15, v14
	s_wait_alu 0xfffd
	v_add_co_ci_u32_e64 v12, null, 0, v5, vcc_lo
	v_mul_lo_u32 v13, s7, v0
	v_lshlrev_b64_e32 v[6:7], 1, v[8:9]
	v_lshlrev_b64_e32 v[8:9], 1, v[10:11]
	s_delay_alu instid0(VALU_DEP_4) | instskip(SKIP_1) | instid1(VALU_DEP_4)
	v_mul_lo_u32 v12, s6, v12
	v_mad_co_u64_u32 v[10:11], null, s6, v0, 0
	v_add_co_u32 v46, vcc_lo, s8, v6
	s_wait_alu 0xfffd
	v_add_co_ci_u32_e64 v47, null, s9, v7, vcc_lo
	v_add_co_u32 v48, vcc_lo, s10, v6
	s_delay_alu instid0(VALU_DEP_4)
	v_add3_u32 v11, v11, v12, v13
	s_wait_alu 0xfffd
	v_add_co_ci_u32_e64 v49, null, s11, v7, vcc_lo
	v_add_co_u32 v50, vcc_lo, s8, v8
	s_wait_alu 0xfffd
	v_add_co_ci_u32_e64 v51, null, s9, v9, vcc_lo
	v_add_co_u32 v0, vcc_lo, v4, 28
	v_add_co_u32 v52, s3, s10, v8
	v_lshlrev_b64_e32 v[6:7], 1, v[10:11]
	s_wait_alu 0xfffd
	v_add_co_ci_u32_e64 v8, null, 0, v5, vcc_lo
	v_add_co_u32 v10, vcc_lo, v4, 27
	s_wait_alu 0xfffd
	v_add_co_ci_u32_e64 v11, null, 0, v5, vcc_lo
	s_wait_alu 0xf1ff
	v_add_co_ci_u32_e64 v53, null, s11, v9, s3
	v_mul_lo_u32 v12, s7, v0
	v_mul_lo_u32 v13, s6, v8
	v_mad_co_u64_u32 v[8:9], null, s6, v0, 0
	v_mul_lo_u32 v0, s7, v10
	v_mul_lo_u32 v14, s6, v11
	v_mad_co_u64_u32 v[10:11], null, s6, v10, 0
	v_add_co_u32 v54, vcc_lo, s8, v6
	s_wait_alu 0xfffd
	v_add_co_ci_u32_e64 v55, null, s9, v7, vcc_lo
	v_add_co_u32 v56, vcc_lo, s10, v6
	s_wait_alu 0xfffd
	v_add_co_ci_u32_e64 v57, null, s11, v7, vcc_lo
	v_add3_u32 v11, v11, v14, v0
	v_add_co_u32 v0, vcc_lo, v4, 26
	v_add3_u32 v9, v9, v13, v12
	s_wait_alu 0xfffd
	v_add_co_ci_u32_e64 v12, null, 0, v5, vcc_lo
	s_delay_alu instid0(VALU_DEP_3) | instskip(NEXT) | instid1(VALU_DEP_3)
	v_mul_lo_u32 v13, s7, v0
	v_lshlrev_b64_e32 v[6:7], 1, v[8:9]
	v_lshlrev_b64_e32 v[8:9], 1, v[10:11]
	s_delay_alu instid0(VALU_DEP_4) | instskip(SKIP_1) | instid1(VALU_DEP_4)
	v_mul_lo_u32 v12, s6, v12
	v_mad_co_u64_u32 v[10:11], null, s6, v0, 0
	v_add_co_u32 v58, vcc_lo, s8, v6
	s_wait_alu 0xfffd
	v_add_co_ci_u32_e64 v59, null, s9, v7, vcc_lo
	v_add_co_u32 v60, vcc_lo, s10, v6
	s_delay_alu instid0(VALU_DEP_4)
	v_add3_u32 v11, v11, v12, v13
	s_wait_alu 0xfffd
	v_add_co_ci_u32_e64 v61, null, s11, v7, vcc_lo
	v_add_co_u32 v62, vcc_lo, s8, v8
	s_wait_alu 0xfffd
	v_add_co_ci_u32_e64 v63, null, s9, v9, vcc_lo
	v_add_co_u32 v0, vcc_lo, v4, 25
	v_add_co_u32 v64, s3, s10, v8
	v_lshlrev_b64_e32 v[6:7], 1, v[10:11]
	s_wait_alu 0xfffd
	v_add_co_ci_u32_e64 v8, null, 0, v5, vcc_lo
	v_add_co_u32 v10, vcc_lo, v4, 24
	s_wait_alu 0xfffd
	v_add_co_ci_u32_e64 v11, null, 0, v5, vcc_lo
	s_wait_alu 0xf1ff
	v_add_co_ci_u32_e64 v65, null, s11, v9, s3
	v_mul_lo_u32 v12, s7, v0
	v_mul_lo_u32 v13, s6, v8
	v_mad_co_u64_u32 v[8:9], null, s6, v0, 0
	v_mul_lo_u32 v0, s7, v10
	v_mul_lo_u32 v14, s6, v11
	v_mad_co_u64_u32 v[10:11], null, s6, v10, 0
	v_add_co_u32 v66, vcc_lo, s8, v6
	s_wait_alu 0xfffd
	v_add_co_ci_u32_e64 v67, null, s9, v7, vcc_lo
	v_add_co_u32 v68, vcc_lo, s10, v6
	s_wait_alu 0xfffd
	v_add_co_ci_u32_e64 v69, null, s11, v7, vcc_lo
	v_add3_u32 v11, v11, v14, v0
	v_add_co_u32 v0, vcc_lo, v4, 23
	v_add3_u32 v9, v9, v13, v12
	s_wait_alu 0xfffd
	v_add_co_ci_u32_e64 v12, null, 0, v5, vcc_lo
	s_delay_alu instid0(VALU_DEP_3) | instskip(NEXT) | instid1(VALU_DEP_3)
	;; [unrolled: 45-line block ×3, first 2 shown]
	v_mul_lo_u32 v13, s7, v0
	v_lshlrev_b64_e32 v[6:7], 1, v[8:9]
	v_lshlrev_b64_e32 v[8:9], 1, v[10:11]
	s_delay_alu instid0(VALU_DEP_4) | instskip(SKIP_1) | instid1(VALU_DEP_4)
	v_mul_lo_u32 v12, s6, v12
	v_mad_co_u64_u32 v[10:11], null, s6, v0, 0
	v_add_co_u32 v82, vcc_lo, s8, v6
	s_wait_alu 0xfffd
	v_add_co_ci_u32_e64 v83, null, s9, v7, vcc_lo
	v_add_co_u32 v84, vcc_lo, s10, v6
	s_delay_alu instid0(VALU_DEP_4)
	v_add3_u32 v11, v11, v12, v13
	s_wait_alu 0xfffd
	v_add_co_ci_u32_e64 v85, null, s11, v7, vcc_lo
	v_add_co_u32 v86, vcc_lo, s8, v8
	s_wait_alu 0xfffd
	v_add_co_ci_u32_e64 v87, null, s9, v9, vcc_lo
	v_add_co_u32 v0, vcc_lo, v4, 19
	v_add_co_u32 v88, s3, s10, v8
	v_lshlrev_b64_e32 v[6:7], 1, v[10:11]
	s_wait_alu 0xfffd
	v_add_co_ci_u32_e64 v8, null, 0, v5, vcc_lo
	v_add_co_u32 v10, vcc_lo, v4, 18
	s_wait_alu 0xfffd
	v_add_co_ci_u32_e64 v11, null, 0, v5, vcc_lo
	s_wait_alu 0xf1ff
	v_add_co_ci_u32_e64 v89, null, s11, v9, s3
	v_mul_lo_u32 v12, s7, v0
	v_mul_lo_u32 v13, s6, v8
	v_mad_co_u64_u32 v[8:9], null, s6, v0, 0
	v_mul_lo_u32 v0, s7, v10
	v_mul_lo_u32 v14, s6, v11
	v_mad_co_u64_u32 v[10:11], null, s6, v10, 0
	v_add_co_u32 v90, vcc_lo, s8, v6
	s_wait_alu 0xfffd
	v_add_co_ci_u32_e64 v91, null, s9, v7, vcc_lo
	v_add_co_u32 v92, vcc_lo, s10, v6
	v_add3_u32 v9, v9, v13, v12
	s_wait_alu 0xfffd
	v_add_co_ci_u32_e64 v93, null, s11, v7, vcc_lo
	v_add_co_u32 v12, vcc_lo, v4, 17
	v_add3_u32 v11, v11, v14, v0
	s_wait_alu 0xfffd
	v_add_co_ci_u32_e64 v13, null, 0, v5, vcc_lo
	v_lshlrev_b64_e32 v[6:7], 1, v[8:9]
	v_mul_lo_u32 v14, s7, v12
	v_lshlrev_b64_e32 v[8:9], 1, v[10:11]
	s_delay_alu instid0(VALU_DEP_4)
	v_mul_lo_u32 v13, s6, v13
	v_mad_co_u64_u32 v[10:11], null, s6, v12, 0
	v_add_co_u32 v0, vcc_lo, s8, v6
	s_wait_alu 0xfffd
	v_add_co_ci_u32_e64 v94, null, s9, v7, vcc_lo
	v_add_co_u32 v95, vcc_lo, s10, v6
	s_delay_alu instid0(VALU_DEP_4)
	v_add3_u32 v11, v11, v13, v14
	s_wait_alu 0xfffd
	v_add_co_ci_u32_e64 v96, null, s11, v7, vcc_lo
	v_add_co_u32 v97, vcc_lo, s8, v8
	s_wait_alu 0xfffd
	v_add_co_ci_u32_e64 v98, null, s9, v9, vcc_lo
	v_add_co_u32 v12, vcc_lo, v4, 16
	v_add_co_u32 v99, s3, s10, v8
	v_lshlrev_b64_e32 v[6:7], 1, v[10:11]
	s_wait_alu 0xfffd
	v_add_co_ci_u32_e64 v8, null, 0, v5, vcc_lo
	v_add_co_u32 v10, vcc_lo, v4, 15
	s_wait_alu 0xfffd
	v_add_co_ci_u32_e64 v11, null, 0, v5, vcc_lo
	s_wait_alu 0xf1ff
	v_add_co_ci_u32_e64 v100, null, s11, v9, s3
	v_mul_lo_u32 v13, s7, v12
	v_mul_lo_u32 v14, s6, v8
	v_mad_co_u64_u32 v[8:9], null, s6, v12, 0
	v_mul_lo_u32 v12, s7, v10
	v_mul_lo_u32 v15, s6, v11
	v_mad_co_u64_u32 v[10:11], null, s6, v10, 0
	v_add_co_u32 v101, vcc_lo, s8, v6
	s_wait_alu 0xfffd
	v_add_co_ci_u32_e64 v102, null, s9, v7, vcc_lo
	v_add_co_u32 v103, vcc_lo, s10, v6
	s_wait_alu 0xfffd
	v_add_co_ci_u32_e64 v104, null, s11, v7, vcc_lo
	v_add3_u32 v11, v11, v15, v12
	v_add_co_u32 v12, vcc_lo, v4, 14
	v_add3_u32 v9, v9, v14, v13
	s_wait_alu 0xfffd
	v_add_co_ci_u32_e64 v13, null, 0, v5, vcc_lo
	s_delay_alu instid0(VALU_DEP_3) | instskip(NEXT) | instid1(VALU_DEP_3)
	v_mul_lo_u32 v14, s7, v12
	v_lshlrev_b64_e32 v[6:7], 1, v[8:9]
	v_lshlrev_b64_e32 v[8:9], 1, v[10:11]
	s_delay_alu instid0(VALU_DEP_4) | instskip(SKIP_1) | instid1(VALU_DEP_4)
	v_mul_lo_u32 v13, s6, v13
	v_mad_co_u64_u32 v[10:11], null, s6, v12, 0
	v_add_co_u32 v105, vcc_lo, s8, v6
	s_wait_alu 0xfffd
	v_add_co_ci_u32_e64 v106, null, s9, v7, vcc_lo
	v_add_co_u32 v107, vcc_lo, s10, v6
	s_delay_alu instid0(VALU_DEP_4)
	v_add3_u32 v11, v11, v13, v14
	s_wait_alu 0xfffd
	v_add_co_ci_u32_e64 v108, null, s11, v7, vcc_lo
	v_add_co_u32 v109, vcc_lo, s8, v8
	s_wait_alu 0xfffd
	v_add_co_ci_u32_e64 v110, null, s9, v9, vcc_lo
	v_add_co_u32 v12, vcc_lo, v4, 13
	v_add_co_u32 v111, s3, s10, v8
	v_lshlrev_b64_e32 v[6:7], 1, v[10:11]
	s_wait_alu 0xfffd
	v_add_co_ci_u32_e64 v8, null, 0, v5, vcc_lo
	v_add_co_u32 v10, vcc_lo, v4, 12
	s_wait_alu 0xfffd
	v_add_co_ci_u32_e64 v11, null, 0, v5, vcc_lo
	s_wait_alu 0xf1ff
	v_add_co_ci_u32_e64 v112, null, s11, v9, s3
	v_mul_lo_u32 v13, s7, v12
	v_mul_lo_u32 v14, s6, v8
	v_mad_co_u64_u32 v[8:9], null, s6, v12, 0
	v_mul_lo_u32 v12, s7, v10
	v_mul_lo_u32 v15, s6, v11
	v_mad_co_u64_u32 v[10:11], null, s6, v10, 0
	v_add_co_u32 v113, vcc_lo, s8, v6
	s_wait_alu 0xfffd
	v_add_co_ci_u32_e64 v114, null, s9, v7, vcc_lo
	v_add_co_u32 v115, vcc_lo, s10, v6
	s_wait_alu 0xfffd
	v_add_co_ci_u32_e64 v116, null, s11, v7, vcc_lo
	v_add3_u32 v11, v11, v15, v12
	v_add_co_u32 v12, vcc_lo, v4, 11
	v_add3_u32 v9, v9, v14, v13
	s_wait_alu 0xfffd
	v_add_co_ci_u32_e64 v13, null, 0, v5, vcc_lo
	s_delay_alu instid0(VALU_DEP_3) | instskip(NEXT) | instid1(VALU_DEP_3)
	v_mul_lo_u32 v14, s7, v12
	v_lshlrev_b64_e32 v[6:7], 1, v[8:9]
	v_lshlrev_b64_e32 v[8:9], 1, v[10:11]
	s_delay_alu instid0(VALU_DEP_4) | instskip(SKIP_1) | instid1(VALU_DEP_4)
	v_mul_lo_u32 v13, s6, v13
	v_mad_co_u64_u32 v[10:11], null, s6, v12, 0
	v_add_co_u32 v117, vcc_lo, s8, v6
	s_wait_alu 0xfffd
	v_add_co_ci_u32_e64 v118, null, s9, v7, vcc_lo
	v_add_co_u32 v119, vcc_lo, s10, v6
	s_delay_alu instid0(VALU_DEP_4)
	v_add3_u32 v11, v11, v13, v14
	s_wait_alu 0xfffd
	v_add_co_ci_u32_e64 v120, null, s11, v7, vcc_lo
	v_add_co_u32 v121, vcc_lo, s8, v8
	s_wait_alu 0xfffd
	v_add_co_ci_u32_e64 v122, null, s9, v9, vcc_lo
	v_add_co_u32 v12, vcc_lo, v4, 10
	v_add_co_u32 v123, s3, s10, v8
	v_lshlrev_b64_e32 v[6:7], 1, v[10:11]
	s_wait_alu 0xfffd
	v_add_co_ci_u32_e64 v8, null, 0, v5, vcc_lo
	v_add_co_u32 v10, vcc_lo, v4, 9
	s_wait_alu 0xfffd
	v_add_co_ci_u32_e64 v11, null, 0, v5, vcc_lo
	s_wait_alu 0xf1ff
	v_add_co_ci_u32_e64 v124, null, s11, v9, s3
	v_mul_lo_u32 v13, s7, v12
	v_mul_lo_u32 v14, s6, v8
	v_mad_co_u64_u32 v[8:9], null, s6, v12, 0
	v_mul_lo_u32 v12, s7, v10
	v_mul_lo_u32 v15, s6, v11
	v_mad_co_u64_u32 v[10:11], null, s6, v10, 0
	v_add_co_u32 v125, vcc_lo, s8, v6
	s_wait_alu 0xfffd
	v_add_co_ci_u32_e64 v126, null, s9, v7, vcc_lo
	v_add_co_u32 v127, vcc_lo, s10, v6
	v_add3_u32 v9, v9, v14, v13
	s_wait_alu 0xfffd
	v_add_co_ci_u32_e64 v128, null, s11, v7, vcc_lo
	v_add3_u32 v11, v11, v15, v12
	v_add_co_u32 v12, vcc_lo, v4, 8
	s_wait_alu 0xfffd
	v_add_co_ci_u32_e64 v13, null, 0, v5, vcc_lo
	v_lshlrev_b64_e32 v[6:7], 1, v[8:9]
	v_lshlrev_b64_e32 v[8:9], 1, v[10:11]
	v_mul_lo_u32 v14, s7, v12
	s_delay_alu instid0(VALU_DEP_4)
	v_mul_lo_u32 v13, s6, v13
	v_mad_co_u64_u32 v[10:11], null, s6, v12, 0
	v_add_co_u32 v129, vcc_lo, s8, v6
	s_wait_alu 0xfffd
	v_add_co_ci_u32_e64 v130, null, s9, v7, vcc_lo
	v_add_co_u32 v131, vcc_lo, s10, v6
	s_wait_alu 0xfffd
	v_add_co_ci_u32_e64 v132, null, s11, v7, vcc_lo
	v_add_co_u32 v133, vcc_lo, s8, v8
	v_add3_u32 v11, v11, v13, v14
	s_wait_alu 0xfffd
	v_add_co_ci_u32_e64 v134, null, s9, v9, vcc_lo
	v_add_co_u32 v12, vcc_lo, v4, 7
	v_add_co_u32 v135, s3, s10, v8
	s_wait_alu 0xfffd
	v_add_co_ci_u32_e64 v8, null, 0, v5, vcc_lo
	v_lshlrev_b64_e32 v[6:7], 1, v[10:11]
	v_add_co_u32 v10, vcc_lo, v4, 6
	s_wait_alu 0xfffd
	v_add_co_ci_u32_e64 v11, null, 0, v5, vcc_lo
	s_wait_alu 0xf1ff
	v_add_co_ci_u32_e64 v136, null, s11, v9, s3
	v_mul_lo_u32 v13, s7, v12
	v_mul_lo_u32 v14, s6, v8
	v_mad_co_u64_u32 v[8:9], null, s6, v12, 0
	v_mul_lo_u32 v12, s7, v10
	v_mul_lo_u32 v15, s6, v11
	v_mad_co_u64_u32 v[10:11], null, s6, v10, 0
	v_add_co_u32 v137, vcc_lo, s8, v6
	v_add3_u32 v9, v9, v14, v13
	s_wait_alu 0xfffd
	v_add_co_ci_u32_e64 v138, null, s9, v7, vcc_lo
	v_add_co_u32 v139, vcc_lo, s10, v6
	s_wait_alu 0xfffd
	v_add_co_ci_u32_e64 v140, null, s11, v7, vcc_lo
	v_add3_u32 v11, v11, v15, v12
	v_add_co_u32 v12, vcc_lo, v4, 5
	v_lshlrev_b64_e32 v[6:7], 1, v[8:9]
	s_wait_alu 0xfffd
	v_add_co_ci_u32_e64 v13, null, 0, v5, vcc_lo
	v_lshlrev_b64_e32 v[8:9], 1, v[10:11]
	v_mul_lo_u32 v14, s7, v12
	v_mad_co_u64_u32 v[10:11], null, s6, v12, 0
	v_add_co_u32 v141, vcc_lo, s8, v6
	v_mul_lo_u32 v13, s6, v13
	s_wait_alu 0xfffd
	v_add_co_ci_u32_e64 v142, null, s9, v7, vcc_lo
	v_add_co_u32 v143, vcc_lo, s10, v6
	s_wait_alu 0xfffd
	v_add_co_ci_u32_e64 v144, null, s11, v7, vcc_lo
	v_add_co_u32 v145, vcc_lo, s8, v8
	;; [unrolled: 3-line block ×3, first 2 shown]
	v_add3_u32 v11, v11, v13, v14
	v_add_co_u32 v147, s3, s10, v8
	s_wait_alu 0xfffd
	v_add_co_ci_u32_e64 v8, null, 0, v5, vcc_lo
	s_wait_alu 0xf1ff
	v_add_co_ci_u32_e64 v148, null, s11, v9, s3
	v_lshlrev_b64_e32 v[6:7], 1, v[10:11]
	v_mul_lo_u32 v13, s7, v12
	v_add_co_u32 v10, vcc_lo, v4, 3
	v_mul_lo_u32 v14, s6, v8
	v_mad_co_u64_u32 v[8:9], null, s6, v12, 0
	s_wait_alu 0xfffd
	v_add_co_ci_u32_e64 v11, null, 0, v5, vcc_lo
	v_mul_lo_u32 v12, s7, v10
	v_add_co_u32 v149, vcc_lo, s8, v6
	s_delay_alu instid0(VALU_DEP_3)
	v_mul_lo_u32 v15, s6, v11
	v_mad_co_u64_u32 v[10:11], null, s6, v10, 0
	v_add3_u32 v9, v9, v14, v13
	s_wait_alu 0xfffd
	v_add_co_ci_u32_e64 v150, null, s9, v7, vcc_lo
	v_add_co_u32 v151, vcc_lo, s10, v6
	s_wait_alu 0xfffd
	v_add_co_ci_u32_e64 v152, null, s11, v7, vcc_lo
	v_lshlrev_b64_e32 v[6:7], 1, v[8:9]
	v_add_co_u32 v8, vcc_lo, v4, 2
	v_add3_u32 v11, v11, v15, v12
	s_wait_alu 0xfffd
	v_add_co_ci_u32_e64 v9, null, 0, v5, vcc_lo
	s_delay_alu instid0(VALU_DEP_4) | instskip(NEXT) | instid1(VALU_DEP_3)
	v_add_co_u32 v153, vcc_lo, s8, v6
	v_lshlrev_b64_e32 v[4:5], 1, v[10:11]
	v_mul_lo_u32 v10, s7, v8
	s_delay_alu instid0(VALU_DEP_4)
	v_mul_lo_u32 v11, s6, v9
	v_mad_co_u64_u32 v[8:9], null, s6, v8, 0
	s_wait_alu 0xfffd
	v_add_co_ci_u32_e64 v154, null, s9, v7, vcc_lo
	v_add_co_u32 v155, vcc_lo, s10, v6
	s_wait_alu 0xfffd
	v_add_co_ci_u32_e64 v156, null, s11, v7, vcc_lo
	v_add_co_u32 v157, vcc_lo, s8, v4
	s_wait_alu 0xfffd
	v_add_co_ci_u32_e64 v158, null, s9, v5, vcc_lo
	v_add3_u32 v9, v9, v11, v10
	v_add_co_u32 v159, vcc_lo, s10, v4
	s_wait_alu 0xfffd
	v_add_co_ci_u32_e64 v160, null, s11, v5, vcc_lo
	v_add_co_u32 v2, vcc_lo, v2, s6
	s_wait_alu 0xfffd
	v_add_co_ci_u32_e64 v3, null, s7, v3, vcc_lo
	v_lshlrev_b64_e32 v[4:5], 1, v[8:9]
	s_delay_alu instid0(VALU_DEP_2) | instskip(NEXT) | instid1(VALU_DEP_2)
	v_lshlrev_b64_e32 v[2:3], 1, v[2:3]
	v_add_co_u32 v161, vcc_lo, s8, v4
	s_wait_alu 0xfffd
	s_delay_alu instid0(VALU_DEP_3)
	v_add_co_ci_u32_e64 v162, null, s9, v5, vcc_lo
	v_add_co_u32 v163, vcc_lo, s10, v4
	s_wait_alu 0xfffd
	v_add_co_ci_u32_e64 v164, null, s11, v5, vcc_lo
	v_add_co_u32 v165, vcc_lo, s8, v2
	s_wait_alu 0xfffd
	;; [unrolled: 3-line block ×3, first 2 shown]
	v_add_co_ci_u32_e64 v168, null, s11, v3, vcc_lo
.LBB199_3:                              ; =>This Inner Loop Header: Depth=1
	s_add_nc_u64 s[30:31], s[14:15], s[24:25]
	v_add_co_u32 v36, vcc_lo, s14, v39
	s_wait_alu 0xfffe
	v_cmp_ge_i64_e64 s3, s[30:31], s[4:5]
	s_wait_alu 0xfffd
	v_add_co_ci_u32_e64 v37, null, 0, v41, vcc_lo
                                        ; implicit-def: $vgpr2_vgpr3_vgpr4_vgpr5_vgpr6_vgpr7_vgpr8_vgpr9_vgpr10_vgpr11_vgpr12_vgpr13_vgpr14_vgpr15_vgpr16_vgpr17_vgpr18_vgpr19_vgpr20_vgpr21_vgpr22_vgpr23_vgpr24_vgpr25_vgpr26_vgpr27_vgpr28_vgpr29_vgpr30_vgpr31_vgpr32_vgpr33
                                        ; implicit-def: $vgpr202
                                        ; implicit-def: $vgpr196
                                        ; implicit-def: $vgpr2
	s_and_b32 vcc_lo, exec_lo, s3
	s_mov_b32 s3, -1
	s_wait_alu 0xfffe
	s_cbranch_vccz .LBB199_71
; %bb.4:                                ;   in Loop: Header=BB199_3 Depth=1
	s_load_b32 s3, s[18:19], 0xc
	v_dual_mov_b32 v170, 0 :: v_dual_mov_b32 v171, 0
	s_wait_kmcnt 0x0
	s_and_b32 s3, s3, 0xffff
	s_wait_alu 0xfffe
	v_mad_u32_u24 v2, v38, s3, v40
	s_mov_b32 s3, exec_lo
	s_delay_alu instid0(VALU_DEP_1) | instskip(NEXT) | instid1(VALU_DEP_1)
	v_and_b32_e32 v2, 31, v2
	v_add_co_u32 v2, vcc_lo, v36, v2
	s_wait_alu 0xfffd
	v_add_co_ci_u32_e64 v3, null, 0, v37, vcc_lo
	s_delay_alu instid0(VALU_DEP_1)
	v_cmpx_gt_i64_e64 s[4:5], v[2:3]
	s_cbranch_execz .LBB199_6
; %bb.5:                                ;   in Loop: Header=BB199_3 Depth=1
	v_lshlrev_b64_e32 v[2:3], 2, v[2:3]
	s_delay_alu instid0(VALU_DEP_1) | instskip(SKIP_1) | instid1(VALU_DEP_2)
	v_add_co_u32 v2, vcc_lo, s12, v2
	s_wait_alu 0xfffd
	v_add_co_ci_u32_e64 v3, null, s13, v3, vcc_lo
	global_load_b32 v170, v[2:3], off
.LBB199_6:                              ;   in Loop: Header=BB199_3 Depth=1
	s_wait_alu 0xfffe
	s_or_b32 exec_lo, exec_lo, s3
	v_mov_b32_e32 v32, v1
	v_cmp_gt_i64_e32 vcc_lo, s[4:5], v[36:37]
	v_dual_mov_b32 v2, v1 :: v_dual_mov_b32 v3, v1
	v_dual_mov_b32 v4, v1 :: v_dual_mov_b32 v5, v1
	;; [unrolled: 1-line block ×15, first 2 shown]
	v_mov_b32_e32 v33, v32
	s_delay_alu instid0(VALU_DEP_2) | instskip(NEXT) | instid1(VALU_DEP_3)
	v_mov_b32_e32 v32, v31
	v_mov_b32_e32 v31, v30
	;; [unrolled: 1-line block ×31, first 2 shown]
	s_and_b32 s16, s2, vcc_lo
	s_delay_alu instid0(SALU_CYCLE_1)
	s_and_saveexec_b32 s3, s16
	s_cbranch_execz .LBB199_8
; %bb.7:                                ;   in Loop: Header=BB199_3 Depth=1
	v_add_co_u32 v2, vcc_lo, v42, v34
	s_wait_alu 0xfffd
	v_add_co_ci_u32_e64 v3, null, v43, v35, vcc_lo
	v_add_co_u32 v4, vcc_lo, v44, v34
	s_wait_alu 0xfffd
	v_add_co_ci_u32_e64 v5, null, v45, v35, vcc_lo
	global_load_u16 v2, v[2:3], off
	global_load_u16 v171, v[4:5], off
	v_dual_mov_b32 v3, v1 :: v_dual_mov_b32 v4, v1
	v_dual_mov_b32 v5, v1 :: v_dual_mov_b32 v6, v1
	;; [unrolled: 1-line block ×15, first 2 shown]
	s_wait_loadcnt 0x1
	v_dual_mov_b32 v33, v1 :: v_dual_lshlrev_b32 v2, 16, v2
	s_wait_loadcnt 0x0
	v_lshlrev_b32_e32 v171, 16, v171
.LBB199_8:                              ;   in Loop: Header=BB199_3 Depth=1
	s_wait_alu 0xfffe
	s_or_b32 exec_lo, exec_lo, s3
	v_add_co_u32 v172, vcc_lo, v36, 1
	s_wait_alu 0xfffd
	v_add_co_ci_u32_e64 v173, null, 0, v37, vcc_lo
	s_delay_alu instid0(VALU_DEP_1) | instskip(SKIP_2) | instid1(SALU_CYCLE_1)
	v_cmp_gt_i64_e32 vcc_lo, s[4:5], v[172:173]
	v_dual_mov_b32 v172, 0 :: v_dual_mov_b32 v173, 0
	s_and_b32 s16, s2, vcc_lo
	s_and_saveexec_b32 s3, s16
	s_cbranch_execz .LBB199_10
; %bb.9:                                ;   in Loop: Header=BB199_3 Depth=1
	v_add_co_u32 v173, vcc_lo, v165, v34
	s_wait_alu 0xfffd
	v_add_co_ci_u32_e64 v174, null, v166, v35, vcc_lo
	v_add_co_u32 v175, vcc_lo, v167, v34
	s_wait_alu 0xfffd
	v_add_co_ci_u32_e64 v176, null, v168, v35, vcc_lo
	global_load_u16 v3, v[173:174], off
	global_load_u16 v173, v[175:176], off
	s_wait_loadcnt 0x1
	v_lshlrev_b32_e32 v3, 16, v3
	s_wait_loadcnt 0x0
	v_lshlrev_b32_e32 v173, 16, v173
.LBB199_10:                             ;   in Loop: Header=BB199_3 Depth=1
	s_wait_alu 0xfffe
	s_or_b32 exec_lo, exec_lo, s3
	v_add_co_u32 v174, vcc_lo, v36, 2
	s_wait_alu 0xfffd
	v_add_co_ci_u32_e64 v175, null, 0, v37, vcc_lo
	s_delay_alu instid0(VALU_DEP_1) | instskip(SKIP_1) | instid1(SALU_CYCLE_1)
	v_cmp_gt_i64_e32 vcc_lo, s[4:5], v[174:175]
	s_and_b32 s16, s2, vcc_lo
	s_and_saveexec_b32 s3, s16
	s_cbranch_execz .LBB199_12
; %bb.11:                               ;   in Loop: Header=BB199_3 Depth=1
	v_add_co_u32 v174, vcc_lo, v161, v34
	s_wait_alu 0xfffd
	v_add_co_ci_u32_e64 v175, null, v162, v35, vcc_lo
	v_add_co_u32 v176, vcc_lo, v163, v34
	s_wait_alu 0xfffd
	v_add_co_ci_u32_e64 v177, null, v164, v35, vcc_lo
	global_load_u16 v4, v[174:175], off
	global_load_u16 v172, v[176:177], off
	s_wait_loadcnt 0x1
	v_lshlrev_b32_e32 v4, 16, v4
	s_wait_loadcnt 0x0
	v_lshlrev_b32_e32 v172, 16, v172
.LBB199_12:                             ;   in Loop: Header=BB199_3 Depth=1
	s_wait_alu 0xfffe
	s_or_b32 exec_lo, exec_lo, s3
	v_add_co_u32 v174, vcc_lo, v36, 3
	s_wait_alu 0xfffd
	v_add_co_ci_u32_e64 v175, null, 0, v37, vcc_lo
	s_delay_alu instid0(VALU_DEP_1) | instskip(SKIP_2) | instid1(SALU_CYCLE_1)
	v_cmp_gt_i64_e32 vcc_lo, s[4:5], v[174:175]
	v_dual_mov_b32 v174, 0 :: v_dual_mov_b32 v175, 0
	s_and_b32 s16, s2, vcc_lo
	s_and_saveexec_b32 s3, s16
	s_cbranch_execz .LBB199_14
; %bb.13:                               ;   in Loop: Header=BB199_3 Depth=1
	v_add_co_u32 v175, vcc_lo, v157, v34
	s_wait_alu 0xfffd
	v_add_co_ci_u32_e64 v176, null, v158, v35, vcc_lo
	v_add_co_u32 v177, vcc_lo, v159, v34
	s_wait_alu 0xfffd
	v_add_co_ci_u32_e64 v178, null, v160, v35, vcc_lo
	global_load_u16 v5, v[175:176], off
	global_load_u16 v175, v[177:178], off
	s_wait_loadcnt 0x1
	v_lshlrev_b32_e32 v5, 16, v5
	s_wait_loadcnt 0x0
	v_lshlrev_b32_e32 v175, 16, v175
.LBB199_14:                             ;   in Loop: Header=BB199_3 Depth=1
	s_wait_alu 0xfffe
	s_or_b32 exec_lo, exec_lo, s3
	v_add_co_u32 v176, vcc_lo, v36, 4
	s_wait_alu 0xfffd
	v_add_co_ci_u32_e64 v177, null, 0, v37, vcc_lo
	s_delay_alu instid0(VALU_DEP_1) | instskip(SKIP_1) | instid1(SALU_CYCLE_1)
	v_cmp_gt_i64_e32 vcc_lo, s[4:5], v[176:177]
	s_and_b32 s16, s2, vcc_lo
	s_and_saveexec_b32 s3, s16
	s_cbranch_execz .LBB199_16
; %bb.15:                               ;   in Loop: Header=BB199_3 Depth=1
	v_add_co_u32 v176, vcc_lo, v153, v34
	s_wait_alu 0xfffd
	v_add_co_ci_u32_e64 v177, null, v154, v35, vcc_lo
	v_add_co_u32 v178, vcc_lo, v155, v34
	s_wait_alu 0xfffd
	v_add_co_ci_u32_e64 v179, null, v156, v35, vcc_lo
	global_load_u16 v6, v[176:177], off
	global_load_u16 v174, v[178:179], off
	s_wait_loadcnt 0x1
	v_lshlrev_b32_e32 v6, 16, v6
	s_wait_loadcnt 0x0
	v_lshlrev_b32_e32 v174, 16, v174
.LBB199_16:                             ;   in Loop: Header=BB199_3 Depth=1
	s_wait_alu 0xfffe
	s_or_b32 exec_lo, exec_lo, s3
	v_add_co_u32 v176, vcc_lo, v36, 5
	s_wait_alu 0xfffd
	v_add_co_ci_u32_e64 v177, null, 0, v37, vcc_lo
	s_delay_alu instid0(VALU_DEP_1) | instskip(SKIP_2) | instid1(SALU_CYCLE_1)
	v_cmp_gt_i64_e32 vcc_lo, s[4:5], v[176:177]
	v_dual_mov_b32 v176, 0 :: v_dual_mov_b32 v177, 0
	s_and_b32 s16, s2, vcc_lo
	s_and_saveexec_b32 s3, s16
	s_cbranch_execz .LBB199_18
; %bb.17:                               ;   in Loop: Header=BB199_3 Depth=1
	v_add_co_u32 v177, vcc_lo, v149, v34
	s_wait_alu 0xfffd
	v_add_co_ci_u32_e64 v178, null, v150, v35, vcc_lo
	v_add_co_u32 v179, vcc_lo, v151, v34
	s_wait_alu 0xfffd
	v_add_co_ci_u32_e64 v180, null, v152, v35, vcc_lo
	global_load_u16 v7, v[177:178], off
	global_load_u16 v177, v[179:180], off
	s_wait_loadcnt 0x1
	v_lshlrev_b32_e32 v7, 16, v7
	s_wait_loadcnt 0x0
	v_lshlrev_b32_e32 v177, 16, v177
.LBB199_18:                             ;   in Loop: Header=BB199_3 Depth=1
	;; [unrolled: 49-line block ×11, first 2 shown]
	s_wait_alu 0xfffe
	s_or_b32 exec_lo, exec_lo, s3
	v_add_co_u32 v196, vcc_lo, v36, 24
	s_wait_alu 0xfffd
	v_add_co_ci_u32_e64 v197, null, 0, v37, vcc_lo
	s_delay_alu instid0(VALU_DEP_1) | instskip(SKIP_1) | instid1(SALU_CYCLE_1)
	v_cmp_gt_i64_e32 vcc_lo, s[4:5], v[196:197]
	s_and_b32 s16, s2, vcc_lo
	s_and_saveexec_b32 s3, s16
	s_cbranch_execz .LBB199_56
; %bb.55:                               ;   in Loop: Header=BB199_3 Depth=1
	v_add_co_u32 v196, vcc_lo, v74, v34
	s_wait_alu 0xfffd
	v_add_co_ci_u32_e64 v197, null, v75, v35, vcc_lo
	v_add_co_u32 v198, vcc_lo, v76, v34
	s_wait_alu 0xfffd
	v_add_co_ci_u32_e64 v199, null, v77, v35, vcc_lo
	global_load_u16 v26, v[196:197], off
	global_load_u16 v194, v[198:199], off
	s_wait_loadcnt 0x1
	v_lshlrev_b32_e32 v26, 16, v26
	s_wait_loadcnt 0x0
	v_lshlrev_b32_e32 v194, 16, v194
.LBB199_56:                             ;   in Loop: Header=BB199_3 Depth=1
	s_wait_alu 0xfffe
	s_or_b32 exec_lo, exec_lo, s3
	v_add_co_u32 v196, vcc_lo, v36, 25
	s_wait_alu 0xfffd
	v_add_co_ci_u32_e64 v197, null, 0, v37, vcc_lo
	v_mov_b32_e32 v198, 0
	s_delay_alu instid0(VALU_DEP_2) | instskip(SKIP_2) | instid1(SALU_CYCLE_1)
	v_cmp_gt_i64_e32 vcc_lo, s[4:5], v[196:197]
	v_mov_b32_e32 v197, 0
	s_and_b32 s16, s2, vcc_lo
	s_and_saveexec_b32 s3, s16
	s_cbranch_execz .LBB199_58
; %bb.57:                               ;   in Loop: Header=BB199_3 Depth=1
	v_add_co_u32 v198, vcc_lo, v70, v34
	s_wait_alu 0xfffd
	v_add_co_ci_u32_e64 v199, null, v71, v35, vcc_lo
	v_add_co_u32 v200, vcc_lo, v72, v34
	s_wait_alu 0xfffd
	v_add_co_ci_u32_e64 v201, null, v73, v35, vcc_lo
	global_load_u16 v27, v[198:199], off
	global_load_u16 v196, v[200:201], off
	s_wait_loadcnt 0x1
	v_lshlrev_b32_e32 v27, 16, v27
	s_wait_loadcnt 0x0
	v_lshlrev_b32_e32 v198, 16, v196
.LBB199_58:                             ;   in Loop: Header=BB199_3 Depth=1
	s_wait_alu 0xfffe
	s_or_b32 exec_lo, exec_lo, s3
	v_add_co_u32 v199, vcc_lo, v36, 26
	s_wait_alu 0xfffd
	v_add_co_ci_u32_e64 v200, null, 0, v37, vcc_lo
	s_delay_alu instid0(VALU_DEP_1) | instskip(SKIP_1) | instid1(SALU_CYCLE_1)
	v_cmp_gt_i64_e32 vcc_lo, s[4:5], v[199:200]
	s_and_b32 s16, s2, vcc_lo
	s_and_saveexec_b32 s3, s16
	s_cbranch_execz .LBB199_60
; %bb.59:                               ;   in Loop: Header=BB199_3 Depth=1
	v_add_co_u32 v196, vcc_lo, v66, v34
	s_wait_alu 0xfffd
	v_add_co_ci_u32_e64 v197, null, v67, v35, vcc_lo
	v_add_co_u32 v199, vcc_lo, v68, v34
	s_wait_alu 0xfffd
	v_add_co_ci_u32_e64 v200, null, v69, v35, vcc_lo
	global_load_u16 v28, v[196:197], off
	global_load_u16 v196, v[199:200], off
	s_wait_loadcnt 0x1
	v_lshlrev_b32_e32 v28, 16, v28
	s_wait_loadcnt 0x0
	v_lshlrev_b32_e32 v197, 16, v196
.LBB199_60:                             ;   in Loop: Header=BB199_3 Depth=1
	s_wait_alu 0xfffe
	s_or_b32 exec_lo, exec_lo, s3
	v_add_co_u32 v199, vcc_lo, v36, 27
	s_wait_alu 0xfffd
	v_add_co_ci_u32_e64 v200, null, 0, v37, vcc_lo
	s_delay_alu instid0(VALU_DEP_1) | instskip(SKIP_2) | instid1(SALU_CYCLE_1)
	v_cmp_gt_i64_e32 vcc_lo, s[4:5], v[199:200]
	v_dual_mov_b32 v199, 0 :: v_dual_mov_b32 v200, 0
	s_and_b32 s16, s2, vcc_lo
	s_and_saveexec_b32 s3, s16
	s_cbranch_execz .LBB199_62
; %bb.61:                               ;   in Loop: Header=BB199_3 Depth=1
	v_add_co_u32 v200, vcc_lo, v62, v34
	s_wait_alu 0xfffd
	v_add_co_ci_u32_e64 v201, null, v63, v35, vcc_lo
	v_add_co_u32 v202, vcc_lo, v64, v34
	s_wait_alu 0xfffd
	v_add_co_ci_u32_e64 v203, null, v65, v35, vcc_lo
	global_load_u16 v29, v[200:201], off
	global_load_u16 v196, v[202:203], off
	s_wait_loadcnt 0x1
	v_lshlrev_b32_e32 v29, 16, v29
	s_wait_loadcnt 0x0
	v_lshlrev_b32_e32 v200, 16, v196
.LBB199_62:                             ;   in Loop: Header=BB199_3 Depth=1
	s_wait_alu 0xfffe
	s_or_b32 exec_lo, exec_lo, s3
	v_add_co_u32 v201, vcc_lo, v36, 28
	s_wait_alu 0xfffd
	v_add_co_ci_u32_e64 v202, null, 0, v37, vcc_lo
	s_delay_alu instid0(VALU_DEP_1) | instskip(SKIP_1) | instid1(SALU_CYCLE_1)
	v_cmp_gt_i64_e32 vcc_lo, s[4:5], v[201:202]
	s_and_b32 s16, s2, vcc_lo
	s_and_saveexec_b32 s3, s16
	s_cbranch_execz .LBB199_64
; %bb.63:                               ;   in Loop: Header=BB199_3 Depth=1
	v_add_co_u32 v201, vcc_lo, v58, v34
	s_wait_alu 0xfffd
	v_add_co_ci_u32_e64 v202, null, v59, v35, vcc_lo
	v_add_co_u32 v203, vcc_lo, v60, v34
	s_wait_alu 0xfffd
	v_add_co_ci_u32_e64 v204, null, v61, v35, vcc_lo
	global_load_u16 v30, v[201:202], off
	global_load_u16 v196, v[203:204], off
	s_wait_loadcnt 0x1
	v_lshlrev_b32_e32 v30, 16, v30
	s_wait_loadcnt 0x0
	v_lshlrev_b32_e32 v199, 16, v196
.LBB199_64:                             ;   in Loop: Header=BB199_3 Depth=1
	s_wait_alu 0xfffe
	s_or_b32 exec_lo, exec_lo, s3
	v_add_co_u32 v201, vcc_lo, v36, 29
	s_wait_alu 0xfffd
	v_add_co_ci_u32_e64 v202, null, 0, v37, vcc_lo
	v_mov_b32_e32 v203, 0
	s_delay_alu instid0(VALU_DEP_2) | instskip(SKIP_2) | instid1(SALU_CYCLE_1)
	v_cmp_gt_i64_e32 vcc_lo, s[4:5], v[201:202]
	v_mov_b32_e32 v201, 0
	s_and_b32 s16, s2, vcc_lo
	s_and_saveexec_b32 s3, s16
	s_cbranch_execz .LBB199_66
; %bb.65:                               ;   in Loop: Header=BB199_3 Depth=1
	v_add_co_u32 v202, vcc_lo, v54, v34
	s_wait_alu 0xfffd
	v_add_co_ci_u32_e64 v203, null, v55, v35, vcc_lo
	v_add_co_u32 v204, vcc_lo, v56, v34
	s_wait_alu 0xfffd
	v_add_co_ci_u32_e64 v205, null, v57, v35, vcc_lo
	global_load_u16 v31, v[202:203], off
	global_load_u16 v196, v[204:205], off
	s_wait_loadcnt 0x1
	v_lshlrev_b32_e32 v31, 16, v31
	s_wait_loadcnt 0x0
	v_lshlrev_b32_e32 v203, 16, v196
.LBB199_66:                             ;   in Loop: Header=BB199_3 Depth=1
	s_wait_alu 0xfffe
	s_or_b32 exec_lo, exec_lo, s3
	v_add_co_u32 v204, vcc_lo, v36, 30
	s_wait_alu 0xfffd
	v_add_co_ci_u32_e64 v205, null, 0, v37, vcc_lo
	s_delay_alu instid0(VALU_DEP_1) | instskip(SKIP_1) | instid1(SALU_CYCLE_1)
	v_cmp_gt_i64_e32 vcc_lo, s[4:5], v[204:205]
	s_and_b32 s16, s2, vcc_lo
	s_and_saveexec_b32 s3, s16
	s_cbranch_execz .LBB199_68
; %bb.67:                               ;   in Loop: Header=BB199_3 Depth=1
	v_add_co_u32 v201, vcc_lo, v50, v34
	s_wait_alu 0xfffd
	v_add_co_ci_u32_e64 v202, null, v51, v35, vcc_lo
	v_add_co_u32 v204, vcc_lo, v52, v34
	s_wait_alu 0xfffd
	v_add_co_ci_u32_e64 v205, null, v53, v35, vcc_lo
	global_load_u16 v32, v[201:202], off
	global_load_u16 v196, v[204:205], off
	s_wait_loadcnt 0x1
	v_lshlrev_b32_e32 v32, 16, v32
	s_wait_loadcnt 0x0
	v_lshlrev_b32_e32 v201, 16, v196
.LBB199_68:                             ;   in Loop: Header=BB199_3 Depth=1
	s_wait_alu 0xfffe
	s_or_b32 exec_lo, exec_lo, s3
	v_add_co_u32 v204, vcc_lo, v36, 31
	s_wait_alu 0xfffd
	v_add_co_ci_u32_e64 v205, null, 0, v37, vcc_lo
	v_mov_b32_e32 v196, 0
	s_delay_alu instid0(VALU_DEP_2) | instskip(SKIP_1) | instid1(SALU_CYCLE_1)
	v_cmp_gt_i64_e32 vcc_lo, s[4:5], v[204:205]
	s_and_b32 s16, s2, vcc_lo
	s_and_saveexec_b32 s3, s16
	s_cbranch_execz .LBB199_70
; %bb.69:                               ;   in Loop: Header=BB199_3 Depth=1
	v_add_co_u32 v204, vcc_lo, v46, v34
	s_wait_alu 0xfffd
	v_add_co_ci_u32_e64 v205, null, v47, v35, vcc_lo
	v_add_co_u32 v206, vcc_lo, v48, v34
	s_wait_alu 0xfffd
	v_add_co_ci_u32_e64 v207, null, v49, v35, vcc_lo
	global_load_u16 v33, v[204:205], off
	global_load_u16 v196, v[206:207], off
	s_wait_loadcnt 0x1
	v_lshlrev_b32_e32 v33, 16, v33
	s_wait_loadcnt 0x0
	v_lshlrev_b32_e32 v196, 16, v196
.LBB199_70:                             ;   in Loop: Header=BB199_3 Depth=1
	s_wait_alu 0xfffe
	s_or_b32 exec_lo, exec_lo, s3
	s_wait_loadcnt 0x0
	ds_bpermute_b32 v202, v1, v170
	ds_bpermute_b32 v204, v1, v170 offset:4
	ds_bpermute_b32 v205, v1, v170 offset:8
	v_dual_mul_f32 v2, v171, v2 :: v_dual_mul_f32 v3, v173, v3
	ds_bpermute_b32 v171, v1, v170 offset:12
	ds_bpermute_b32 v173, v1, v170 offset:16
	s_mov_b32 s3, 0
	s_wait_dscnt 0x4
	v_fma_f32 v202, v2, v202, v169
	v_mul_f32_e32 v2, v172, v4
	ds_bpermute_b32 v4, v1, v170 offset:20
	s_wait_dscnt 0x4
	v_fmac_f32_e32 v202, v3, v204
	v_mul_f32_e32 v3, v175, v5
	ds_bpermute_b32 v5, v1, v170 offset:24
	s_wait_dscnt 0x4
	v_fmac_f32_e32 v202, v2, v205
	;; [unrolled: 4-line block ×6, first 2 shown]
	v_mul_f32_e32 v2, v178, v10
	ds_bpermute_b32 v5, v1, v170 offset:44
	s_wait_dscnt 0x4
	v_dual_fmac_f32 v202, v3, v6 :: v_dual_mul_f32 v3, v181, v11
	ds_bpermute_b32 v6, v1, v170 offset:48
	s_wait_dscnt 0x4
	v_fmac_f32_e32 v202, v2, v7
	v_mul_f32_e32 v2, v180, v12
	ds_bpermute_b32 v7, v1, v170 offset:52
	s_wait_dscnt 0x4
	v_fmac_f32_e32 v202, v3, v8
	v_mul_f32_e32 v3, v183, v13
	ds_bpermute_b32 v8, v1, v170 offset:56
	s_wait_dscnt 0x4
	v_fmac_f32_e32 v202, v2, v4
	v_mul_f32_e32 v2, v182, v14
	ds_bpermute_b32 v4, v1, v170 offset:60
	s_wait_dscnt 0x4
	v_dual_fmac_f32 v202, v3, v5 :: v_dual_mul_f32 v3, v185, v15
	ds_bpermute_b32 v5, v1, v170 offset:64
	s_wait_dscnt 0x4
	v_fmac_f32_e32 v202, v2, v6
	v_mul_f32_e32 v2, v184, v16
	ds_bpermute_b32 v6, v1, v170 offset:68
	s_wait_dscnt 0x4
	v_fmac_f32_e32 v202, v3, v7
	v_mul_f32_e32 v3, v187, v17
	ds_bpermute_b32 v7, v1, v170 offset:72
	s_wait_dscnt 0x4
	v_fmac_f32_e32 v202, v2, v8
	;; [unrolled: 15-line block ×4, first 2 shown]
	v_mul_f32_e32 v2, v194, v26
	ds_bpermute_b32 v6, v1, v170 offset:108
	s_wait_dscnt 0x4
	v_fmac_f32_e32 v202, v3, v7
	v_mul_f32_e32 v3, v198, v27
	ds_bpermute_b32 v7, v1, v170 offset:112
	s_wait_dscnt 0x4
	v_fmac_f32_e32 v202, v2, v8
	v_mul_f32_e32 v2, v197, v28
	ds_bpermute_b32 v8, v1, v170 offset:116
	s_wait_dscnt 0x4
	v_dual_fmac_f32 v202, v3, v4 :: v_dual_mul_f32 v3, v200, v29
	ds_bpermute_b32 v4, v1, v170 offset:120
	s_wait_dscnt 0x4
	v_dual_fmac_f32 v202, v2, v5 :: v_dual_mul_f32 v5, v199, v30
	ds_bpermute_b32 v2, v1, v170 offset:124
	s_wait_dscnt 0x4
	v_fmac_f32_e32 v202, v3, v6
	v_mul_f32_e32 v3, v203, v31
	s_wait_dscnt 0x3
	s_delay_alu instid0(VALU_DEP_2) | instskip(SKIP_1) | instid1(VALU_DEP_1)
	v_fmac_f32_e32 v202, v5, v7
	s_wait_dscnt 0x2
	v_fmac_f32_e32 v202, v3, v8
	v_mul_f32_e32 v3, v201, v32
	s_wait_dscnt 0x1
	s_delay_alu instid0(VALU_DEP_1)
	v_fmac_f32_e32 v202, v3, v4
.LBB199_71:                             ;   in Loop: Header=BB199_3 Depth=1
	s_wait_alu 0xfffe
	s_and_b32 vcc_lo, exec_lo, s3
	s_wait_alu 0xfffe
	s_cbranch_vccz .LBB199_137
; %bb.72:                               ;   in Loop: Header=BB199_3 Depth=1
	s_load_b32 s3, s[18:19], 0x0
	s_wait_kmcnt 0x0
	s_cmp_lt_u32 ttmp9, s3
	s_cselect_b32 s16, 12, 18
	s_delay_alu instid0(SALU_CYCLE_1)
	s_add_nc_u64 s[30:31], s[18:19], s[16:17]
	s_load_u16 s3, s[30:31], 0x0
	s_wait_dscnt 0x0
	s_wait_kmcnt 0x0
	v_mad_u32_u24 v2, v38, s3, v40
	s_mov_b32 s3, exec_lo
	s_delay_alu instid0(VALU_DEP_1) | instskip(NEXT) | instid1(VALU_DEP_1)
	v_and_b32_e32 v2, 31, v2
	v_add_co_u32 v2, vcc_lo, v36, v2
	s_wait_alu 0xfffd
	v_add_co_ci_u32_e64 v3, null, 0, v37, vcc_lo
	v_dual_mov_b32 v37, 0 :: v_dual_mov_b32 v36, 0
	s_delay_alu instid0(VALU_DEP_2)
	v_cmpx_gt_i64_e64 s[4:5], v[2:3]
	s_cbranch_execz .LBB199_74
; %bb.73:                               ;   in Loop: Header=BB199_3 Depth=1
	v_lshlrev_b64_e32 v[2:3], 2, v[2:3]
	s_delay_alu instid0(VALU_DEP_1) | instskip(SKIP_1) | instid1(VALU_DEP_2)
	v_add_co_u32 v2, vcc_lo, s12, v2
	s_wait_alu 0xfffd
	v_add_co_ci_u32_e64 v3, null, s13, v3, vcc_lo
	global_load_b32 v36, v[2:3], off
.LBB199_74:                             ;   in Loop: Header=BB199_3 Depth=1
	s_wait_alu 0xfffe
	s_or_b32 exec_lo, exec_lo, s3
	v_mov_b32_e32 v32, v1
	v_dual_mov_b32 v2, v1 :: v_dual_mov_b32 v3, v1
	v_dual_mov_b32 v4, v1 :: v_dual_mov_b32 v5, v1
	;; [unrolled: 1-line block ×15, first 2 shown]
	v_mov_b32_e32 v33, v32
	s_delay_alu instid0(VALU_DEP_2) | instskip(NEXT) | instid1(VALU_DEP_3)
	v_mov_b32_e32 v32, v31
	v_mov_b32_e32 v31, v30
	;; [unrolled: 1-line block ×31, first 2 shown]
	s_and_saveexec_b32 s3, s2
	s_cbranch_execz .LBB199_76
; %bb.75:                               ;   in Loop: Header=BB199_3 Depth=1
	v_add_co_u32 v2, vcc_lo, v42, v34
	s_wait_alu 0xfffd
	v_add_co_ci_u32_e64 v3, null, v43, v35, vcc_lo
	v_add_co_u32 v4, vcc_lo, v44, v34
	s_wait_alu 0xfffd
	v_add_co_ci_u32_e64 v5, null, v45, v35, vcc_lo
	global_load_u16 v2, v[2:3], off
	global_load_u16 v37, v[4:5], off
	v_dual_mov_b32 v3, v1 :: v_dual_mov_b32 v4, v1
	v_dual_mov_b32 v5, v1 :: v_dual_mov_b32 v6, v1
	;; [unrolled: 1-line block ×15, first 2 shown]
	s_wait_loadcnt 0x1
	v_dual_mov_b32 v33, v1 :: v_dual_lshlrev_b32 v2, 16, v2
	s_wait_loadcnt 0x0
	v_lshlrev_b32_e32 v37, 16, v37
.LBB199_76:                             ;   in Loop: Header=BB199_3 Depth=1
	s_wait_alu 0xfffe
	s_or_b32 exec_lo, exec_lo, s3
	v_dual_mov_b32 v170, 0 :: v_dual_mov_b32 v171, 0
	s_and_saveexec_b32 s3, s2
	s_cbranch_execz .LBB199_78
; %bb.77:                               ;   in Loop: Header=BB199_3 Depth=1
	v_add_co_u32 v171, vcc_lo, v165, v34
	s_wait_alu 0xfffd
	v_add_co_ci_u32_e64 v172, null, v166, v35, vcc_lo
	v_add_co_u32 v173, vcc_lo, v167, v34
	s_wait_alu 0xfffd
	v_add_co_ci_u32_e64 v174, null, v168, v35, vcc_lo
	global_load_u16 v3, v[171:172], off
	global_load_u16 v171, v[173:174], off
	s_wait_loadcnt 0x1
	v_lshlrev_b32_e32 v3, 16, v3
	s_wait_loadcnt 0x0
	v_lshlrev_b32_e32 v171, 16, v171
.LBB199_78:                             ;   in Loop: Header=BB199_3 Depth=1
	s_wait_alu 0xfffe
	s_or_b32 exec_lo, exec_lo, s3
	s_and_saveexec_b32 s3, s2
	s_cbranch_execz .LBB199_80
; %bb.79:                               ;   in Loop: Header=BB199_3 Depth=1
	v_add_co_u32 v172, vcc_lo, v161, v34
	s_wait_alu 0xfffd
	v_add_co_ci_u32_e64 v173, null, v162, v35, vcc_lo
	v_add_co_u32 v174, vcc_lo, v163, v34
	s_wait_alu 0xfffd
	v_add_co_ci_u32_e64 v175, null, v164, v35, vcc_lo
	global_load_u16 v4, v[172:173], off
	global_load_u16 v170, v[174:175], off
	s_wait_loadcnt 0x1
	v_lshlrev_b32_e32 v4, 16, v4
	s_wait_loadcnt 0x0
	v_lshlrev_b32_e32 v170, 16, v170
.LBB199_80:                             ;   in Loop: Header=BB199_3 Depth=1
	s_wait_alu 0xfffe
	s_or_b32 exec_lo, exec_lo, s3
	v_dual_mov_b32 v172, 0 :: v_dual_mov_b32 v173, 0
	s_and_saveexec_b32 s3, s2
	s_cbranch_execz .LBB199_82
; %bb.81:                               ;   in Loop: Header=BB199_3 Depth=1
	v_add_co_u32 v173, vcc_lo, v157, v34
	s_wait_alu 0xfffd
	v_add_co_ci_u32_e64 v174, null, v158, v35, vcc_lo
	v_add_co_u32 v175, vcc_lo, v159, v34
	s_wait_alu 0xfffd
	v_add_co_ci_u32_e64 v176, null, v160, v35, vcc_lo
	global_load_u16 v5, v[173:174], off
	global_load_u16 v173, v[175:176], off
	s_wait_loadcnt 0x1
	v_lshlrev_b32_e32 v5, 16, v5
	s_wait_loadcnt 0x0
	v_lshlrev_b32_e32 v173, 16, v173
.LBB199_82:                             ;   in Loop: Header=BB199_3 Depth=1
	s_wait_alu 0xfffe
	s_or_b32 exec_lo, exec_lo, s3
	s_and_saveexec_b32 s3, s2
	s_cbranch_execz .LBB199_84
; %bb.83:                               ;   in Loop: Header=BB199_3 Depth=1
	v_add_co_u32 v174, vcc_lo, v153, v34
	s_wait_alu 0xfffd
	v_add_co_ci_u32_e64 v175, null, v154, v35, vcc_lo
	v_add_co_u32 v176, vcc_lo, v155, v34
	s_wait_alu 0xfffd
	v_add_co_ci_u32_e64 v177, null, v156, v35, vcc_lo
	global_load_u16 v6, v[174:175], off
	global_load_u16 v172, v[176:177], off
	s_wait_loadcnt 0x1
	v_lshlrev_b32_e32 v6, 16, v6
	s_wait_loadcnt 0x0
	v_lshlrev_b32_e32 v172, 16, v172
.LBB199_84:                             ;   in Loop: Header=BB199_3 Depth=1
	;; [unrolled: 37-line block ×5, first 2 shown]
	s_wait_alu 0xfffe
	s_or_b32 exec_lo, exec_lo, s3
	v_dual_mov_b32 v180, 0 :: v_dual_mov_b32 v181, 0
	s_and_saveexec_b32 s3, s2
	s_cbranch_execz .LBB199_98
; %bb.97:                               ;   in Loop: Header=BB199_3 Depth=1
	v_add_co_u32 v181, vcc_lo, v125, v34
	s_wait_alu 0xfffd
	v_add_co_ci_u32_e64 v182, null, v126, v35, vcc_lo
	v_add_co_u32 v183, vcc_lo, v127, v34
	s_wait_alu 0xfffd
	v_add_co_ci_u32_e64 v184, null, v128, v35, vcc_lo
	global_load_u16 v13, v[181:182], off
	global_load_u16 v181, v[183:184], off
	s_wait_loadcnt 0x1
	v_lshlrev_b32_e32 v13, 16, v13
	s_wait_loadcnt 0x0
	v_lshlrev_b32_e32 v181, 16, v181
.LBB199_98:                             ;   in Loop: Header=BB199_3 Depth=1
	s_wait_alu 0xfffe
	s_or_b32 exec_lo, exec_lo, s3
	s_and_saveexec_b32 s3, s2
	s_cbranch_execz .LBB199_100
; %bb.99:                               ;   in Loop: Header=BB199_3 Depth=1
	v_add_co_u32 v182, vcc_lo, v121, v34
	s_wait_alu 0xfffd
	v_add_co_ci_u32_e64 v183, null, v122, v35, vcc_lo
	v_add_co_u32 v184, vcc_lo, v123, v34
	s_wait_alu 0xfffd
	v_add_co_ci_u32_e64 v185, null, v124, v35, vcc_lo
	global_load_u16 v14, v[182:183], off
	global_load_u16 v180, v[184:185], off
	s_wait_loadcnt 0x1
	v_lshlrev_b32_e32 v14, 16, v14
	s_wait_loadcnt 0x0
	v_lshlrev_b32_e32 v180, 16, v180
.LBB199_100:                            ;   in Loop: Header=BB199_3 Depth=1
	s_wait_alu 0xfffe
	s_or_b32 exec_lo, exec_lo, s3
	v_dual_mov_b32 v182, 0 :: v_dual_mov_b32 v183, 0
	s_and_saveexec_b32 s3, s2
	s_cbranch_execz .LBB199_102
; %bb.101:                              ;   in Loop: Header=BB199_3 Depth=1
	v_add_co_u32 v183, vcc_lo, v117, v34
	s_wait_alu 0xfffd
	v_add_co_ci_u32_e64 v184, null, v118, v35, vcc_lo
	v_add_co_u32 v185, vcc_lo, v119, v34
	s_wait_alu 0xfffd
	v_add_co_ci_u32_e64 v186, null, v120, v35, vcc_lo
	global_load_u16 v15, v[183:184], off
	global_load_u16 v183, v[185:186], off
	s_wait_loadcnt 0x1
	v_lshlrev_b32_e32 v15, 16, v15
	s_wait_loadcnt 0x0
	v_lshlrev_b32_e32 v183, 16, v183
.LBB199_102:                            ;   in Loop: Header=BB199_3 Depth=1
	s_wait_alu 0xfffe
	s_or_b32 exec_lo, exec_lo, s3
	s_and_saveexec_b32 s3, s2
	s_cbranch_execz .LBB199_104
; %bb.103:                              ;   in Loop: Header=BB199_3 Depth=1
	v_add_co_u32 v184, vcc_lo, v113, v34
	s_wait_alu 0xfffd
	v_add_co_ci_u32_e64 v185, null, v114, v35, vcc_lo
	v_add_co_u32 v186, vcc_lo, v115, v34
	s_wait_alu 0xfffd
	v_add_co_ci_u32_e64 v187, null, v116, v35, vcc_lo
	global_load_u16 v16, v[184:185], off
	global_load_u16 v182, v[186:187], off
	s_wait_loadcnt 0x1
	v_lshlrev_b32_e32 v16, 16, v16
	s_wait_loadcnt 0x0
	v_lshlrev_b32_e32 v182, 16, v182
.LBB199_104:                            ;   in Loop: Header=BB199_3 Depth=1
	s_wait_alu 0xfffe
	s_or_b32 exec_lo, exec_lo, s3
	v_dual_mov_b32 v184, 0 :: v_dual_mov_b32 v185, 0
	s_and_saveexec_b32 s3, s2
	s_cbranch_execz .LBB199_106
; %bb.105:                              ;   in Loop: Header=BB199_3 Depth=1
	v_add_co_u32 v185, vcc_lo, v109, v34
	s_wait_alu 0xfffd
	v_add_co_ci_u32_e64 v186, null, v110, v35, vcc_lo
	v_add_co_u32 v187, vcc_lo, v111, v34
	s_wait_alu 0xfffd
	v_add_co_ci_u32_e64 v188, null, v112, v35, vcc_lo
	global_load_u16 v17, v[185:186], off
	global_load_u16 v185, v[187:188], off
	s_wait_loadcnt 0x1
	v_lshlrev_b32_e32 v17, 16, v17
	s_wait_loadcnt 0x0
	v_lshlrev_b32_e32 v185, 16, v185
.LBB199_106:                            ;   in Loop: Header=BB199_3 Depth=1
	s_wait_alu 0xfffe
	s_or_b32 exec_lo, exec_lo, s3
	s_and_saveexec_b32 s3, s2
	s_cbranch_execz .LBB199_108
; %bb.107:                              ;   in Loop: Header=BB199_3 Depth=1
	v_add_co_u32 v186, vcc_lo, v105, v34
	s_wait_alu 0xfffd
	v_add_co_ci_u32_e64 v187, null, v106, v35, vcc_lo
	v_add_co_u32 v188, vcc_lo, v107, v34
	s_wait_alu 0xfffd
	v_add_co_ci_u32_e64 v189, null, v108, v35, vcc_lo
	global_load_u16 v18, v[186:187], off
	global_load_u16 v184, v[188:189], off
	s_wait_loadcnt 0x1
	v_lshlrev_b32_e32 v18, 16, v18
	s_wait_loadcnt 0x0
	v_lshlrev_b32_e32 v184, 16, v184
.LBB199_108:                            ;   in Loop: Header=BB199_3 Depth=1
	;; [unrolled: 37-line block ×8, first 2 shown]
	s_wait_alu 0xfffe
	s_or_b32 exec_lo, exec_lo, s3
	v_dual_mov_b32 v199, 0 :: v_dual_mov_b32 v200, 0
	s_and_saveexec_b32 s3, s2
	s_cbranch_execnz .LBB199_139
; %bb.133:                              ;   in Loop: Header=BB199_3 Depth=1
	s_wait_alu 0xfffe
	s_or_b32 exec_lo, exec_lo, s3
	s_and_saveexec_b32 s3, s2
	s_cbranch_execnz .LBB199_140
.LBB199_134:                            ;   in Loop: Header=BB199_3 Depth=1
	s_wait_alu 0xfffe
	s_or_b32 exec_lo, exec_lo, s3
	v_mov_b32_e32 v196, 0
	s_and_saveexec_b32 s3, s2
	s_cbranch_execz .LBB199_136
.LBB199_135:                            ;   in Loop: Header=BB199_3 Depth=1
	v_add_co_u32 v201, vcc_lo, v46, v34
	s_wait_alu 0xfffd
	v_add_co_ci_u32_e64 v202, null, v47, v35, vcc_lo
	v_add_co_u32 v203, vcc_lo, v48, v34
	s_wait_alu 0xfffd
	v_add_co_ci_u32_e64 v204, null, v49, v35, vcc_lo
	global_load_u16 v33, v[201:202], off
	global_load_u16 v196, v[203:204], off
	s_wait_loadcnt 0x1
	v_lshlrev_b32_e32 v33, 16, v33
	s_wait_loadcnt 0x0
	v_lshlrev_b32_e32 v196, 16, v196
.LBB199_136:                            ;   in Loop: Header=BB199_3 Depth=1
	s_wait_alu 0xfffe
	s_or_b32 exec_lo, exec_lo, s3
	s_wait_loadcnt 0x0
	ds_bpermute_b32 v201, v1, v36
	ds_bpermute_b32 v202, v1, v36 offset:4
	ds_bpermute_b32 v203, v1, v36 offset:8
	v_dual_mul_f32 v2, v37, v2 :: v_dual_mul_f32 v3, v171, v3
	ds_bpermute_b32 v37, v1, v36 offset:12
	ds_bpermute_b32 v171, v1, v36 offset:16
	s_wait_dscnt 0x4
	v_fmac_f32_e32 v169, v2, v201
	v_mul_f32_e32 v2, v170, v4
	ds_bpermute_b32 v4, v1, v36 offset:20
	s_wait_dscnt 0x4
	v_fmac_f32_e32 v169, v3, v202
	v_mul_f32_e32 v3, v173, v5
	ds_bpermute_b32 v5, v1, v36 offset:24
	s_wait_dscnt 0x4
	v_dual_fmac_f32 v169, v2, v203 :: v_dual_mul_f32 v2, v172, v6
	ds_bpermute_b32 v6, v1, v36 offset:28
	s_wait_dscnt 0x4
	v_fmac_f32_e32 v169, v3, v37
	v_mul_f32_e32 v3, v175, v7
	ds_bpermute_b32 v7, v1, v36 offset:32
	s_wait_dscnt 0x4
	v_fmac_f32_e32 v169, v2, v171
	v_mul_f32_e32 v2, v174, v8
	ds_bpermute_b32 v8, v1, v36 offset:36
	s_wait_dscnt 0x4
	v_fmac_f32_e32 v169, v3, v4
	v_mul_f32_e32 v3, v177, v9
	ds_bpermute_b32 v4, v1, v36 offset:40
	s_wait_dscnt 0x4
	v_dual_fmac_f32 v169, v2, v5 :: v_dual_mul_f32 v2, v176, v10
	ds_bpermute_b32 v5, v1, v36 offset:44
	s_wait_dscnt 0x4
	v_fmac_f32_e32 v169, v3, v6
	v_mul_f32_e32 v3, v179, v11
	;; [unrolled: 15-line block ×5, first 2 shown]
	ds_bpermute_b32 v8, v1, v36 offset:96
	s_wait_dscnt 0x4
	v_fmac_f32_e32 v169, v2, v4
	v_mul_f32_e32 v2, v190, v24
	ds_bpermute_b32 v4, v1, v36 offset:100
	s_wait_dscnt 0x4
	v_fmac_f32_e32 v169, v3, v5
	v_mul_f32_e32 v3, v193, v25
	;; [unrolled: 4-line block ×6, first 2 shown]
	ds_bpermute_b32 v4, v1, v36 offset:120
	s_wait_dscnt 0x4
	v_dual_fmac_f32 v169, v2, v5 :: v_dual_mul_f32 v2, v197, v30
	s_wait_dscnt 0x3
	s_delay_alu instid0(VALU_DEP_1) | instskip(SKIP_2) | instid1(VALU_DEP_2)
	v_fmac_f32_e32 v169, v3, v6
	v_mul_f32_e32 v3, v200, v31
	s_wait_dscnt 0x2
	v_fmac_f32_e32 v169, v2, v7
	ds_bpermute_b32 v2, v1, v36 offset:124
	s_wait_dscnt 0x2
	v_fmac_f32_e32 v169, v3, v8
	v_mul_f32_e32 v3, v199, v32
	s_wait_dscnt 0x1
	s_delay_alu instid0(VALU_DEP_1) | instskip(NEXT) | instid1(VALU_DEP_1)
	v_fmac_f32_e32 v169, v3, v4
	v_mov_b32_e32 v202, v169
.LBB199_137:                            ;   in Loop: Header=BB199_3 Depth=1
	v_add_co_u32 v42, vcc_lo, v42, s22
	s_wait_alu 0xfffd
	v_add_co_ci_u32_e64 v43, null, s23, v43, vcc_lo
	v_add_co_u32 v44, vcc_lo, v44, s22
	s_wait_alu 0xfffd
	v_add_co_ci_u32_e64 v45, null, s23, v45, vcc_lo
	;; [unrolled: 3-line block ×62, first 2 shown]
	v_add_co_u32 v165, vcc_lo, v165, s22
	v_mul_f32_e32 v3, v196, v33
	s_add_nc_u64 s[26:27], s[26:27], s[20:21]
	s_wait_alu 0xfffd
	v_add_co_ci_u32_e64 v166, null, s23, v166, vcc_lo
	v_add_co_u32 v167, vcc_lo, v167, s22
	s_wait_alu 0xfffe
	v_cmp_lt_i64_e64 s3, s[26:27], s[4:5]
	s_wait_alu 0xfffd
	v_add_co_ci_u32_e64 v168, null, s23, v168, vcc_lo
	v_add_co_u32 v39, vcc_lo, v39, s20
	s_wait_dscnt 0x0
	v_fmac_f32_e32 v202, v3, v2
	s_wait_alu 0xfffd
	v_add_co_ci_u32_e64 v41, null, 0, v41, vcc_lo
	s_and_b32 vcc_lo, exec_lo, s3
	s_add_nc_u64 s[24:25], s[24:25], s[20:21]
	s_wait_alu 0xfffe
	s_cbranch_vccz .LBB199_142
; %bb.138:                              ;   in Loop: Header=BB199_3 Depth=1
	v_mov_b32_e32 v169, v202
	s_branch .LBB199_3
.LBB199_139:                            ;   in Loop: Header=BB199_3 Depth=1
	v_add_co_u32 v200, vcc_lo, v54, v34
	s_wait_alu 0xfffd
	v_add_co_ci_u32_e64 v201, null, v55, v35, vcc_lo
	v_add_co_u32 v202, vcc_lo, v56, v34
	s_wait_alu 0xfffd
	v_add_co_ci_u32_e64 v203, null, v57, v35, vcc_lo
	global_load_u16 v31, v[200:201], off
	global_load_u16 v196, v[202:203], off
	s_wait_loadcnt 0x1
	v_lshlrev_b32_e32 v31, 16, v31
	s_wait_loadcnt 0x0
	v_lshlrev_b32_e32 v200, 16, v196
	s_wait_alu 0xfffe
	s_or_b32 exec_lo, exec_lo, s3
	s_and_saveexec_b32 s3, s2
	s_cbranch_execz .LBB199_134
.LBB199_140:                            ;   in Loop: Header=BB199_3 Depth=1
	v_add_co_u32 v201, vcc_lo, v50, v34
	s_wait_alu 0xfffd
	v_add_co_ci_u32_e64 v202, null, v51, v35, vcc_lo
	v_add_co_u32 v203, vcc_lo, v52, v34
	s_wait_alu 0xfffd
	v_add_co_ci_u32_e64 v204, null, v53, v35, vcc_lo
	global_load_u16 v32, v[201:202], off
	global_load_u16 v196, v[203:204], off
	s_wait_loadcnt 0x1
	v_lshlrev_b32_e32 v32, 16, v32
	s_wait_loadcnt 0x0
	v_lshlrev_b32_e32 v199, 16, v196
	s_wait_alu 0xfffe
	s_or_b32 exec_lo, exec_lo, s3
	v_mov_b32_e32 v196, 0
	s_and_saveexec_b32 s3, s2
	s_cbranch_execnz .LBB199_135
	s_branch .LBB199_136
.LBB199_141:
                                        ; implicit-def: $vgpr202
	s_load_b64 s[2:3], s[0:1], 0x30
	s_branch .LBB199_143
.LBB199_142:
	s_load_b64 s[2:3], s[0:1], 0x30
	s_cbranch_execnz .LBB199_220
.LBB199_143:
	v_mov_b32_e32 v202, 0
	s_and_not1_b32 vcc_lo, exec_lo, s29
	s_wait_alu 0xfffe
	s_cbranch_vccnz .LBB199_220
; %bb.144:
	v_bfe_u32 v202, v208, 10, 10
	s_lshl_b64 s[16:17], s[14:15], 1
	s_mov_b64 s[20:21], 31
	s_mov_b64 s[22:23], s[14:15]
	scratch_store_b32 off, v208, off offset:308 ; 4-byte Folded Spill
	v_lshlrev_b32_e32 v1, 6, v202
	v_lshlrev_b32_e32 v220, 5, v202
	scratch_store_b32 off, v202, off offset:300 ; 4-byte Folded Spill
	v_mov_b32_e32 v204, 0
	v_add_co_u32 v3, s16, v1, s16
	s_wait_alu 0xf1ff
	v_add_co_ci_u32_e64 v4, null, 0, s17, s16
	v_add_co_u32 v0, s18, v220, s14
	s_delay_alu instid0(VALU_DEP_3) | instskip(SKIP_1) | instid1(VALU_DEP_3)
	v_add_co_u32 v7, vcc_lo, v3, 2
	s_wait_alu 0xfffd
	v_add_co_ci_u32_e64 v8, null, 0, v4, vcc_lo
	v_add_co_ci_u32_e64 v9, null, 0, 0, s18
	s_delay_alu instid0(VALU_DEP_3) | instskip(SKIP_1) | instid1(VALU_DEP_4)
	v_mad_co_u64_u32 v[13:14], null, s6, v7, s[8:9]
	v_mul_lo_u32 v10, s7, v7
	v_mul_lo_u32 v8, s6, v8
	;; [unrolled: 1-line block ×4, first 2 shown]
	v_mad_co_u64_u32 v[1:2], null, s6, v0, 0
	v_add_co_u32 v11, vcc_lo, v3, 4
	s_wait_alu 0xfffd
	v_add_co_ci_u32_e64 v12, null, 0, v4, vcc_lo
	v_add3_u32 v14, v10, v14, v8
	v_mad_co_u64_u32 v[42:43], null, s6, v7, s[10:11]
	v_add3_u32 v2, v2, v6, v5
	v_add_co_u32 v5, vcc_lo, v3, 6
	scratch_store_b64 off, v[13:14], off    ; 8-byte Folded Spill
	s_wait_alu 0xfffd
	v_add_co_ci_u32_e64 v6, null, 0, v4, vcc_lo
	v_add_co_u32 v14, vcc_lo, v3, 8
	s_wait_alu 0xfffd
	v_add_co_ci_u32_e64 v16, null, 0, v4, vcc_lo
	v_add_co_u32 v17, vcc_lo, v3, 10
	s_delay_alu instid0(VALU_DEP_3) | instskip(NEXT) | instid1(VALU_DEP_3)
	v_mad_co_u64_u32 v[40:41], null, s6, v14, s[8:9]
	v_mul_lo_u32 v16, s6, v16
	v_mul_lo_u32 v7, s7, v14
	v_mad_co_u64_u32 v[50:51], null, s6, v14, s[10:11]
	v_mad_co_u64_u32 v[38:39], null, s6, v5, s[8:9]
	v_mul_lo_u32 v15, s7, v5
	s_wait_alu 0xfffd
	v_add_co_ci_u32_e64 v18, null, 0, v4, vcc_lo
	v_mad_co_u64_u32 v[48:49], null, s6, v5, s[10:11]
	v_add_co_u32 v5, vcc_lo, v3, 12
	v_mul_lo_u32 v6, s6, v6
	v_add3_u32 v43, v10, v43, v8
	s_wait_alu 0xfffd
	v_add_co_ci_u32_e64 v8, null, 0, v4, vcc_lo
	v_mad_co_u64_u32 v[52:53], null, s6, v5, s[8:9]
	v_add3_u32 v41, v7, v41, v16
	v_add3_u32 v51, v7, v51, v16
	v_mul_lo_u32 v7, s7, v5
	v_mad_co_u64_u32 v[56:57], null, s6, v5, s[10:11]
	v_add_co_u32 v5, vcc_lo, v3, 14
	v_add3_u32 v39, v15, v39, v6
	v_add3_u32 v49, v15, v49, v6
	v_mul_lo_u32 v6, s6, v8
	s_wait_alu 0xfffd
	v_add_co_ci_u32_e64 v8, null, 0, v4, vcc_lo
	v_mad_co_u64_u32 v[58:59], null, s6, v5, s[8:9]
	v_mul_lo_u32 v10, s7, v5
	v_mad_co_u64_u32 v[60:61], null, s6, v5, s[10:11]
	v_add_co_u32 v5, vcc_lo, v3, 16
	v_mad_co_u64_u32 v[20:21], null, s6, v11, s[8:9]
	v_mul_lo_u32 v13, s7, v11
	v_mad_co_u64_u32 v[46:47], null, s6, v11, s[10:11]
	s_wait_alu 0xfffd
	v_add_co_ci_u32_e64 v11, null, 0, v4, vcc_lo
	v_add3_u32 v53, v7, v53, v6
	v_add3_u32 v57, v7, v57, v6
	v_mul_lo_u32 v7, s7, v5
	s_delay_alu instid0(VALU_DEP_4)
	v_mul_lo_u32 v6, s6, v11
	v_mad_co_u64_u32 v[62:63], null, s6, v5, s[8:9]
	v_mad_co_u64_u32 v[64:65], null, s6, v5, s[10:11]
	v_add_co_u32 v5, vcc_lo, v3, 18
	v_mul_lo_u32 v8, s6, v8
	v_mul_lo_u32 v12, s6, v12
	v_add3_u32 v63, v7, v63, v6
	s_delay_alu instid0(VALU_DEP_4)
	v_mad_co_u64_u32 v[66:67], null, s6, v5, s[8:9]
	v_add3_u32 v65, v7, v65, v6
	s_wait_alu 0xfffd
	v_add_co_ci_u32_e64 v6, null, 0, v4, vcc_lo
	v_mul_lo_u32 v7, s7, v5
	v_mad_co_u64_u32 v[68:69], null, s6, v5, s[10:11]
	s_delay_alu instid0(VALU_DEP_3) | instskip(SKIP_4) | instid1(VALU_DEP_4)
	v_mul_lo_u32 v6, s6, v6
	v_add_co_u32 v5, vcc_lo, v3, 20
	v_add3_u32 v59, v10, v59, v8
	v_add3_u32 v61, v10, v61, v8
	;; [unrolled: 1-line block ×3, first 2 shown]
	v_mad_co_u64_u32 v[70:71], null, s6, v5, s[8:9]
	v_add3_u32 v67, v7, v67, v6
	v_add3_u32 v69, v7, v69, v6
	s_wait_alu 0xfffd
	v_add_co_ci_u32_e64 v6, null, 0, v4, vcc_lo
	v_mul_lo_u32 v7, s7, v5
	v_mad_co_u64_u32 v[72:73], null, s6, v5, s[10:11]
	s_delay_alu instid0(VALU_DEP_3) | instskip(SKIP_3) | instid1(VALU_DEP_3)
	v_mul_lo_u32 v6, s6, v6
	v_add_co_u32 v5, vcc_lo, v3, 22
	v_add3_u32 v47, v13, v47, v12
	v_mad_co_u64_u32 v[44:45], null, s6, v17, s[8:9]
	v_mad_co_u64_u32 v[74:75], null, s6, v5, s[8:9]
	v_add3_u32 v71, v7, v71, v6
	v_add3_u32 v73, v7, v73, v6
	s_wait_alu 0xfffd
	v_add_co_ci_u32_e64 v6, null, 0, v4, vcc_lo
	v_mul_lo_u32 v7, s7, v5
	v_mad_co_u64_u32 v[76:77], null, s6, v5, s[10:11]
	s_delay_alu instid0(VALU_DEP_3) | instskip(SKIP_3) | instid1(VALU_DEP_3)
	v_mul_lo_u32 v6, s6, v6
	v_add_co_u32 v5, vcc_lo, v3, 24
	v_mul_lo_u32 v19, s7, v17
	v_mad_co_u64_u32 v[54:55], null, s6, v17, s[10:11]
	v_mad_co_u64_u32 v[78:79], null, s6, v5, s[8:9]
	v_add3_u32 v75, v7, v75, v6
	v_add3_u32 v77, v7, v77, v6
	s_wait_alu 0xfffd
	v_add_co_ci_u32_e64 v6, null, 0, v4, vcc_lo
	v_mul_lo_u32 v7, s7, v5
	v_mad_co_u64_u32 v[80:81], null, s6, v5, s[10:11]
	s_delay_alu instid0(VALU_DEP_3)
	v_mul_lo_u32 v6, s6, v6
	v_add_co_u32 v5, vcc_lo, v3, 26
	v_mul_lo_u32 v18, s6, v18
	scratch_store_b64 off, v[20:21], off offset:8 ; 8-byte Folded Spill
	s_add_nc_u64 s[16:17], s[0:1], 64
	v_mad_co_u64_u32 v[82:83], null, s6, v5, s[8:9]
	v_add3_u32 v79, v7, v79, v6
	v_add3_u32 v81, v7, v81, v6
	s_wait_alu 0xfffd
	v_add_co_ci_u32_e64 v6, null, 0, v4, vcc_lo
	v_mul_lo_u32 v7, s7, v5
	v_mad_co_u64_u32 v[84:85], null, s6, v5, s[10:11]
	s_delay_alu instid0(VALU_DEP_3) | instskip(SKIP_3) | instid1(VALU_DEP_3)
	v_mul_lo_u32 v6, s6, v6
	v_add_co_u32 v5, vcc_lo, v3, 28
	v_add3_u32 v45, v19, v45, v18
	v_add3_u32 v55, v19, v55, v18
	v_mad_co_u64_u32 v[86:87], null, s6, v5, s[8:9]
	v_add3_u32 v83, v7, v83, v6
	v_add3_u32 v85, v7, v85, v6
	s_wait_alu 0xfffd
	v_add_co_ci_u32_e64 v6, null, 0, v4, vcc_lo
	v_mul_lo_u32 v7, s7, v5
	v_mad_co_u64_u32 v[88:89], null, s6, v5, s[10:11]
	s_delay_alu instid0(VALU_DEP_3) | instskip(SKIP_1) | instid1(VALU_DEP_1)
	v_mul_lo_u32 v6, s6, v6
	v_add_co_u32 v5, vcc_lo, v3, 30
	v_mad_co_u64_u32 v[90:91], null, s6, v5, s[8:9]
	s_delay_alu instid0(VALU_DEP_3)
	v_add3_u32 v87, v7, v87, v6
	v_add3_u32 v89, v7, v89, v6
	s_wait_alu 0xfffd
	v_add_co_ci_u32_e64 v6, null, 0, v4, vcc_lo
	v_mul_lo_u32 v7, s7, v5
	v_mad_co_u64_u32 v[92:93], null, s6, v5, s[10:11]
	s_delay_alu instid0(VALU_DEP_3) | instskip(SKIP_1) | instid1(VALU_DEP_1)
	v_mul_lo_u32 v6, s6, v6
	v_add_co_u32 v5, vcc_lo, v3, 32
	v_mad_co_u64_u32 v[94:95], null, s6, v5, s[8:9]
	s_delay_alu instid0(VALU_DEP_3)
	;; [unrolled: 11-line block ×16, first 2 shown]
	v_add3_u32 v147, v7, v147, v6
	v_add3_u32 v149, v7, v149, v6
	s_wait_alu 0xfffd
	v_add_co_ci_u32_e64 v6, null, 0, v4, vcc_lo
	v_add_co_u32 v3, vcc_lo, v3, 62
	s_wait_alu 0xfffd
	v_add_co_ci_u32_e64 v4, null, 0, v4, vcc_lo
	v_mul_lo_u32 v7, s7, v5
	v_mad_co_u64_u32 v[152:153], null, s6, v5, s[10:11]
	s_delay_alu instid0(VALU_DEP_3)
	v_mul_lo_u32 v4, s6, v4
	v_mul_lo_u32 v5, s7, v3
	v_mad_co_u64_u32 v[154:155], null, s6, v3, s[8:9]
	v_mad_co_u64_u32 v[156:157], null, s6, v3, s[10:11]
	v_mul_lo_u32 v6, s6, v6
	v_add_co_u32 v3, vcc_lo, v0, 31
	s_delay_alu instid0(VALU_DEP_4) | instskip(NEXT) | instid1(VALU_DEP_4)
	v_add3_u32 v155, v5, v155, v4
	v_add3_u32 v157, v5, v157, v4
	s_wait_alu 0xfffd
	v_add_co_ci_u32_e64 v4, null, 0, v9, vcc_lo
	v_add3_u32 v151, v7, v151, v6
	v_add3_u32 v153, v7, v153, v6
	v_mul_lo_u32 v6, s7, v3
	s_delay_alu instid0(VALU_DEP_4) | instskip(SKIP_1) | instid1(VALU_DEP_1)
	v_mul_lo_u32 v5, s6, v4
	v_mad_co_u64_u32 v[3:4], null, s6, v3, 0
	v_add3_u32 v4, v4, v5, v6
	v_add_co_u32 v5, vcc_lo, v0, 30
	s_wait_alu 0xfffd
	v_add_co_ci_u32_e64 v6, null, 0, v9, vcc_lo
	s_delay_alu instid0(VALU_DEP_2) | instskip(NEXT) | instid1(VALU_DEP_2)
	v_mul_lo_u32 v8, s7, v5
	v_mul_lo_u32 v7, s6, v6
	v_mad_co_u64_u32 v[5:6], null, s6, v5, 0
	s_delay_alu instid0(VALU_DEP_1) | instskip(SKIP_3) | instid1(VALU_DEP_2)
	v_add3_u32 v6, v6, v7, v8
	v_add_co_u32 v7, vcc_lo, v0, 29
	s_wait_alu 0xfffd
	v_add_co_ci_u32_e64 v8, null, 0, v9, vcc_lo
	v_mul_lo_u32 v11, s7, v7
	s_delay_alu instid0(VALU_DEP_2) | instskip(SKIP_1) | instid1(VALU_DEP_1)
	v_mul_lo_u32 v10, s6, v8
	v_mad_co_u64_u32 v[7:8], null, s6, v7, 0
	v_add3_u32 v8, v8, v10, v11
	v_add_co_u32 v10, vcc_lo, v0, 28
	s_wait_alu 0xfffd
	v_add_co_ci_u32_e64 v11, null, 0, v9, vcc_lo
	s_delay_alu instid0(VALU_DEP_2) | instskip(NEXT) | instid1(VALU_DEP_2)
	v_mul_lo_u32 v13, s7, v10
	v_mul_lo_u32 v12, s6, v11
	v_mad_co_u64_u32 v[10:11], null, s6, v10, 0
	s_delay_alu instid0(VALU_DEP_1) | instskip(SKIP_3) | instid1(VALU_DEP_2)
	v_add3_u32 v11, v11, v12, v13
	v_add_co_u32 v12, vcc_lo, v0, 27
	s_wait_alu 0xfffd
	v_add_co_ci_u32_e64 v13, null, 0, v9, vcc_lo
	v_mul_lo_u32 v15, s7, v12
	s_delay_alu instid0(VALU_DEP_2) | instskip(SKIP_1) | instid1(VALU_DEP_1)
	;; [unrolled: 17-line block ×8, first 2 shown]
	v_mul_lo_u32 v162, s6, v161
	v_mad_co_u64_u32 v[160:161], null, s6, v160, 0
	v_add3_u32 v161, v161, v162, v163
	v_add_co_u32 v162, vcc_lo, v0, 14
	s_wait_alu 0xfffd
	v_add_co_ci_u32_e64 v163, null, 0, v9, vcc_lo
	s_delay_alu instid0(VALU_DEP_2) | instskip(NEXT) | instid1(VALU_DEP_2)
	v_mul_lo_u32 v165, s7, v162
	v_mul_lo_u32 v164, s6, v163
	v_mad_co_u64_u32 v[162:163], null, s6, v162, 0
	s_delay_alu instid0(VALU_DEP_1) | instskip(SKIP_3) | instid1(VALU_DEP_2)
	v_add3_u32 v163, v163, v164, v165
	v_add_co_u32 v164, vcc_lo, v0, 13
	s_wait_alu 0xfffd
	v_add_co_ci_u32_e64 v165, null, 0, v9, vcc_lo
	v_mul_lo_u32 v166, s7, v164
	v_mad_co_u64_u32 v[168:169], null, s6, v164, 0
	s_delay_alu instid0(VALU_DEP_3) | instskip(SKIP_1) | instid1(VALU_DEP_1)
	v_mul_lo_u32 v165, s6, v165
	v_add_co_u32 v164, vcc_lo, v0, 12
	v_mad_co_u64_u32 v[170:171], null, s6, v164, 0
	s_delay_alu instid0(VALU_DEP_3) | instskip(SKIP_4) | instid1(VALU_DEP_3)
	v_add3_u32 v169, v169, v165, v166
	s_wait_alu 0xfffd
	v_add_co_ci_u32_e64 v165, null, 0, v9, vcc_lo
	v_mul_lo_u32 v166, s7, v164
	v_add_co_u32 v164, vcc_lo, v0, 11
	v_mul_lo_u32 v165, s6, v165
	s_delay_alu instid0(VALU_DEP_2) | instskip(NEXT) | instid1(VALU_DEP_2)
	v_mad_co_u64_u32 v[172:173], null, s6, v164, 0
	v_add3_u32 v171, v171, v165, v166
	s_wait_alu 0xfffd
	v_add_co_ci_u32_e64 v165, null, 0, v9, vcc_lo
	v_mul_lo_u32 v166, s7, v164
	v_add_co_u32 v164, vcc_lo, v0, 10
	s_delay_alu instid0(VALU_DEP_3) | instskip(NEXT) | instid1(VALU_DEP_2)
	v_mul_lo_u32 v165, s6, v165
	v_mad_co_u64_u32 v[174:175], null, s6, v164, 0
	s_delay_alu instid0(VALU_DEP_2) | instskip(SKIP_4) | instid1(VALU_DEP_3)
	v_add3_u32 v173, v173, v165, v166
	s_wait_alu 0xfffd
	v_add_co_ci_u32_e64 v165, null, 0, v9, vcc_lo
	v_mul_lo_u32 v166, s7, v164
	v_add_co_u32 v164, vcc_lo, v0, 9
	v_mul_lo_u32 v165, s6, v165
	s_delay_alu instid0(VALU_DEP_2) | instskip(NEXT) | instid1(VALU_DEP_2)
	v_mad_co_u64_u32 v[176:177], null, s6, v164, 0
	v_add3_u32 v175, v175, v165, v166
	s_wait_alu 0xfffd
	v_add_co_ci_u32_e64 v165, null, 0, v9, vcc_lo
	v_mul_lo_u32 v166, s7, v164
	v_add_co_u32 v164, vcc_lo, v0, 8
	s_delay_alu instid0(VALU_DEP_3) | instskip(NEXT) | instid1(VALU_DEP_2)
	v_mul_lo_u32 v165, s6, v165
	v_mad_co_u64_u32 v[178:179], null, s6, v164, 0
	s_delay_alu instid0(VALU_DEP_2) | instskip(SKIP_4) | instid1(VALU_DEP_3)
	v_add3_u32 v177, v177, v165, v166
	s_wait_alu 0xfffd
	v_add_co_ci_u32_e64 v165, null, 0, v9, vcc_lo
	v_mul_lo_u32 v166, s7, v164
	v_add_co_u32 v164, vcc_lo, v0, 7
	v_mul_lo_u32 v165, s6, v165
	s_delay_alu instid0(VALU_DEP_2) | instskip(NEXT) | instid1(VALU_DEP_2)
	v_mad_co_u64_u32 v[180:181], null, s6, v164, 0
	v_add3_u32 v179, v179, v165, v166
	s_wait_alu 0xfffd
	v_add_co_ci_u32_e64 v165, null, 0, v9, vcc_lo
	v_mul_lo_u32 v166, s7, v164
	v_add_co_u32 v164, vcc_lo, v0, 6
	s_delay_alu instid0(VALU_DEP_3) | instskip(NEXT) | instid1(VALU_DEP_2)
	v_mul_lo_u32 v165, s6, v165
	v_mad_co_u64_u32 v[182:183], null, s6, v164, 0
	s_delay_alu instid0(VALU_DEP_2) | instskip(SKIP_4) | instid1(VALU_DEP_3)
	v_add3_u32 v181, v181, v165, v166
	s_wait_alu 0xfffd
	v_add_co_ci_u32_e64 v165, null, 0, v9, vcc_lo
	v_mul_lo_u32 v166, s7, v164
	v_add_co_u32 v164, vcc_lo, v0, 5
	v_mul_lo_u32 v165, s6, v165
	s_delay_alu instid0(VALU_DEP_2) | instskip(NEXT) | instid1(VALU_DEP_2)
	v_mad_co_u64_u32 v[184:185], null, s6, v164, 0
	v_add3_u32 v183, v183, v165, v166
	s_wait_alu 0xfffd
	v_add_co_ci_u32_e64 v165, null, 0, v9, vcc_lo
	v_mul_lo_u32 v166, s7, v164
	v_add_co_u32 v164, vcc_lo, v0, 4
	s_delay_alu instid0(VALU_DEP_3) | instskip(NEXT) | instid1(VALU_DEP_2)
	v_mul_lo_u32 v165, s6, v165
	v_mad_co_u64_u32 v[186:187], null, s6, v164, 0
	s_delay_alu instid0(VALU_DEP_2) | instskip(SKIP_4) | instid1(VALU_DEP_3)
	v_add3_u32 v185, v185, v165, v166
	s_wait_alu 0xfffd
	v_add_co_ci_u32_e64 v165, null, 0, v9, vcc_lo
	v_mul_lo_u32 v166, s7, v164
	v_add_co_u32 v164, vcc_lo, v0, 3
	v_mul_lo_u32 v165, s6, v165
	s_delay_alu instid0(VALU_DEP_2) | instskip(NEXT) | instid1(VALU_DEP_2)
	v_mad_co_u64_u32 v[189:190], null, s6, v164, 0
	v_add3_u32 v187, v187, v165, v166
	s_wait_alu 0xfffd
	v_add_co_ci_u32_e64 v165, null, 0, v9, vcc_lo
	v_add_co_u32 v0, vcc_lo, v0, 2
	s_wait_alu 0xfffd
	v_add_co_ci_u32_e64 v9, null, 0, v9, vcc_lo
	v_mul_lo_u32 v166, s7, v164
	s_delay_alu instid0(VALU_DEP_3) | instskip(SKIP_1) | instid1(VALU_DEP_4)
	v_mul_lo_u32 v164, s7, v0
	v_mad_co_u64_u32 v[193:194], null, s6, v0, 0
	v_mul_lo_u32 v9, s6, v9
	v_mul_lo_u32 v165, s6, v165
	v_add_co_u32 v197, vcc_lo, v1, s6
	v_lshlrev_b64_e32 v[0:1], 1, v[1:2]
	s_wait_alu 0xfffd
	v_add_co_ci_u32_e64 v198, null, s7, v2, vcc_lo
	v_add3_u32 v194, v194, v9, v164
	v_add3_u32 v190, v190, v165, v166
	s_delay_alu instid0(VALU_DEP_4)
	v_add_co_u32 v164, vcc_lo, s8, v0
	s_wait_alu 0xfffd
	v_add_co_ci_u32_e64 v165, null, s9, v1, vcc_lo
	v_add_co_u32 v166, vcc_lo, s10, v0
	s_wait_alu 0xfffd
	v_add_co_ci_u32_e64 v167, null, s11, v1, vcc_lo
	v_lshlrev_b64_e32 v[0:1], 1, v[3:4]
	s_delay_alu instid0(VALU_DEP_1) | instskip(SKIP_1) | instid1(VALU_DEP_2)
	v_add_co_u32 v222, vcc_lo, s8, v0
	s_wait_alu 0xfffd
	v_add_co_ci_u32_e64 v223, null, s9, v1, vcc_lo
	v_add_co_u32 v224, vcc_lo, s10, v0
	s_wait_alu 0xfffd
	v_add_co_ci_u32_e64 v225, null, s11, v1, vcc_lo
	v_lshlrev_b64_e32 v[0:1], 1, v[5:6]
	s_delay_alu instid0(VALU_DEP_1) | instskip(SKIP_1) | instid1(VALU_DEP_2)
	v_add_co_u32 v226, vcc_lo, s8, v0
	s_wait_alu 0xfffd
	v_add_co_ci_u32_e64 v227, null, s9, v1, vcc_lo
	v_add_co_u32 v228, vcc_lo, s10, v0
	s_wait_alu 0xfffd
	v_add_co_ci_u32_e64 v229, null, s11, v1, vcc_lo
	v_lshlrev_b64_e32 v[0:1], 1, v[7:8]
	s_delay_alu instid0(VALU_DEP_1) | instskip(SKIP_1) | instid1(VALU_DEP_2)
	v_add_co_u32 v230, vcc_lo, s8, v0
	s_wait_alu 0xfffd
	v_add_co_ci_u32_e64 v231, null, s9, v1, vcc_lo
	v_add_co_u32 v232, vcc_lo, s10, v0
	s_wait_alu 0xfffd
	v_add_co_ci_u32_e64 v233, null, s11, v1, vcc_lo
	v_lshlrev_b64_e32 v[0:1], 1, v[10:11]
	s_delay_alu instid0(VALU_DEP_1) | instskip(SKIP_1) | instid1(VALU_DEP_2)
	v_add_co_u32 v234, vcc_lo, s8, v0
	s_wait_alu 0xfffd
	v_add_co_ci_u32_e64 v235, null, s9, v1, vcc_lo
	v_add_co_u32 v236, vcc_lo, s10, v0
	s_wait_alu 0xfffd
	v_add_co_ci_u32_e64 v237, null, s11, v1, vcc_lo
	v_lshlrev_b64_e32 v[0:1], 1, v[12:13]
	s_delay_alu instid0(VALU_DEP_1) | instskip(SKIP_1) | instid1(VALU_DEP_2)
	v_add_co_u32 v238, vcc_lo, s8, v0
	s_wait_alu 0xfffd
	v_add_co_ci_u32_e64 v239, null, s9, v1, vcc_lo
	v_add_co_u32 v240, vcc_lo, s10, v0
	s_wait_alu 0xfffd
	v_add_co_ci_u32_e64 v241, null, s11, v1, vcc_lo
	v_lshlrev_b64_e32 v[0:1], 1, v[14:15]
	s_delay_alu instid0(VALU_DEP_1) | instskip(SKIP_1) | instid1(VALU_DEP_2)
	v_add_co_u32 v242, vcc_lo, s8, v0
	s_wait_alu 0xfffd
	v_add_co_ci_u32_e64 v243, null, s9, v1, vcc_lo
	v_add_co_u32 v244, vcc_lo, s10, v0
	s_wait_alu 0xfffd
	v_add_co_ci_u32_e64 v245, null, s11, v1, vcc_lo
	v_lshlrev_b64_e32 v[0:1], 1, v[16:17]
	s_delay_alu instid0(VALU_DEP_1) | instskip(SKIP_1) | instid1(VALU_DEP_2)
	v_add_co_u32 v246, vcc_lo, s8, v0
	s_wait_alu 0xfffd
	v_add_co_ci_u32_e64 v247, null, s9, v1, vcc_lo
	v_add_co_u32 v248, vcc_lo, s10, v0
	s_wait_alu 0xfffd
	v_add_co_ci_u32_e64 v249, null, s11, v1, vcc_lo
	v_lshlrev_b64_e32 v[0:1], 1, v[18:19]
	s_delay_alu instid0(VALU_DEP_1) | instskip(SKIP_1) | instid1(VALU_DEP_2)
	v_add_co_u32 v250, vcc_lo, s8, v0
	s_wait_alu 0xfffd
	v_add_co_ci_u32_e64 v251, null, s9, v1, vcc_lo
	v_add_co_u32 v252, vcc_lo, s10, v0
	s_wait_alu 0xfffd
	v_add_co_ci_u32_e64 v253, null, s11, v1, vcc_lo
	v_lshlrev_b64_e32 v[0:1], 1, v[20:21]
	s_delay_alu instid0(VALU_DEP_1) | instskip(SKIP_1) | instid1(VALU_DEP_2)
	v_add_co_u32 v254, vcc_lo, s8, v0
	s_wait_alu 0xfffd
	v_add_co_ci_u32_e64 v255, null, s9, v1, vcc_lo
	v_add_co_u32 v2, vcc_lo, s10, v0
	s_wait_alu 0xfffd
	v_add_co_ci_u32_e64 v3, null, s11, v1, vcc_lo
	v_lshlrev_b64_e32 v[0:1], 1, v[22:23]
	s_delay_alu instid0(VALU_DEP_1) | instskip(SKIP_1) | instid1(VALU_DEP_2)
	v_add_co_u32 v4, vcc_lo, s8, v0
	s_wait_alu 0xfffd
	v_add_co_ci_u32_e64 v5, null, s9, v1, vcc_lo
	v_add_co_u32 v6, vcc_lo, s10, v0
	s_wait_alu 0xfffd
	v_add_co_ci_u32_e64 v7, null, s11, v1, vcc_lo
	v_lshlrev_b64_e32 v[0:1], 1, v[24:25]
	s_delay_alu instid0(VALU_DEP_1) | instskip(SKIP_1) | instid1(VALU_DEP_2)
	v_add_co_u32 v8, vcc_lo, s8, v0
	s_wait_alu 0xfffd
	v_add_co_ci_u32_e64 v9, null, s9, v1, vcc_lo
	v_add_co_u32 v10, vcc_lo, s10, v0
	s_wait_alu 0xfffd
	v_add_co_ci_u32_e64 v11, null, s11, v1, vcc_lo
	v_lshlrev_b64_e32 v[0:1], 1, v[26:27]
	s_delay_alu instid0(VALU_DEP_1) | instskip(SKIP_1) | instid1(VALU_DEP_2)
	v_add_co_u32 v12, vcc_lo, s8, v0
	s_wait_alu 0xfffd
	v_add_co_ci_u32_e64 v13, null, s9, v1, vcc_lo
	v_add_co_u32 v14, vcc_lo, s10, v0
	s_wait_alu 0xfffd
	v_add_co_ci_u32_e64 v15, null, s11, v1, vcc_lo
	v_lshlrev_b64_e32 v[0:1], 1, v[28:29]
	s_delay_alu instid0(VALU_DEP_1) | instskip(SKIP_1) | instid1(VALU_DEP_2)
	v_add_co_u32 v16, vcc_lo, s8, v0
	s_wait_alu 0xfffd
	v_add_co_ci_u32_e64 v17, null, s9, v1, vcc_lo
	v_add_co_u32 v18, vcc_lo, s10, v0
	s_wait_alu 0xfffd
	v_add_co_ci_u32_e64 v19, null, s11, v1, vcc_lo
	v_lshlrev_b64_e32 v[0:1], 1, v[30:31]
	s_delay_alu instid0(VALU_DEP_1) | instskip(SKIP_1) | instid1(VALU_DEP_2)
	v_add_co_u32 v20, vcc_lo, s8, v0
	s_wait_alu 0xfffd
	v_add_co_ci_u32_e64 v21, null, s9, v1, vcc_lo
	v_add_co_u32 v22, vcc_lo, s10, v0
	s_wait_alu 0xfffd
	v_add_co_ci_u32_e64 v23, null, s11, v1, vcc_lo
	v_lshlrev_b64_e32 v[0:1], 1, v[32:33]
	s_delay_alu instid0(VALU_DEP_1) | instskip(SKIP_1) | instid1(VALU_DEP_2)
	v_add_co_u32 v24, vcc_lo, s8, v0
	s_wait_alu 0xfffd
	v_add_co_ci_u32_e64 v188, null, s9, v1, vcc_lo
	v_add_co_u32 v25, vcc_lo, s10, v0
	s_wait_alu 0xfffd
	v_add_co_ci_u32_e64 v26, null, s11, v1, vcc_lo
	v_lshlrev_b64_e32 v[0:1], 1, v[158:159]
	s_delay_alu instid0(VALU_DEP_1) | instskip(SKIP_1) | instid1(VALU_DEP_2)
	v_add_co_u32 v191, vcc_lo, s8, v0
	s_wait_alu 0xfffd
	v_add_co_ci_u32_e64 v192, null, s9, v1, vcc_lo
	v_add_co_u32 v27, vcc_lo, s10, v0
	s_wait_alu 0xfffd
	v_add_co_ci_u32_e64 v28, null, s11, v1, vcc_lo
	v_lshlrev_b64_e32 v[0:1], 1, v[160:161]
	s_delay_alu instid0(VALU_DEP_1) | instskip(SKIP_1) | instid1(VALU_DEP_2)
	v_add_co_u32 v195, vcc_lo, s8, v0
	s_wait_alu 0xfffd
	v_add_co_ci_u32_e64 v196, null, s9, v1, vcc_lo
	v_add_co_u32 v29, vcc_lo, s10, v0
	s_wait_alu 0xfffd
	v_add_co_ci_u32_e64 v30, null, s11, v1, vcc_lo
	v_lshlrev_b64_e32 v[0:1], 1, v[162:163]
	v_dual_mov_b32 v162, v2 :: v_dual_mov_b32 v163, v4
	s_delay_alu instid0(VALU_DEP_2) | instskip(SKIP_1) | instid1(VALU_DEP_3)
	v_add_co_u32 v199, vcc_lo, s8, v0
	s_wait_alu 0xfffd
	v_add_co_ci_u32_e64 v200, null, s9, v1, vcc_lo
	v_add_co_u32 v221, vcc_lo, s10, v0
	s_wait_alu 0xfffd
	v_add_co_ci_u32_e64 v0, null, s11, v1, vcc_lo
	scratch_store_b32 off, v0, off offset:16 ; 4-byte Folded Spill
	v_lshlrev_b64_e32 v[0:1], 1, v[168:169]
	v_dual_mov_b32 v169, v6 :: v_dual_mov_b32 v168, v5
	s_delay_alu instid0(VALU_DEP_2)
	v_add_co_u32 v2, vcc_lo, s8, v0
	scratch_store_b32 off, v2, off offset:20 ; 4-byte Folded Spill
	s_wait_alu 0xfffd
	v_add_co_ci_u32_e64 v2, null, s9, v1, vcc_lo
	v_add_co_u32 v0, vcc_lo, s10, v0
	s_clause 0x1
	scratch_store_b32 off, v2, off offset:24
	scratch_store_b32 off, v0, off offset:28
	s_wait_alu 0xfffd
	v_add_co_ci_u32_e64 v0, null, s11, v1, vcc_lo
	scratch_store_b32 off, v0, off offset:32 ; 4-byte Folded Spill
	v_lshlrev_b64_e32 v[0:1], 1, v[170:171]
	v_dual_mov_b32 v171, v8 :: v_dual_mov_b32 v170, v7
	s_delay_alu instid0(VALU_DEP_2)
	v_add_co_u32 v2, vcc_lo, s8, v0
	scratch_store_b32 off, v2, off offset:36 ; 4-byte Folded Spill
	s_wait_alu 0xfffd
	v_add_co_ci_u32_e64 v2, null, s9, v1, vcc_lo
	v_add_co_u32 v0, vcc_lo, s10, v0
	s_clause 0x1
	scratch_store_b32 off, v2, off offset:40
	scratch_store_b32 off, v0, off offset:44
	s_wait_alu 0xfffd
	v_add_co_ci_u32_e64 v0, null, s11, v1, vcc_lo
	scratch_store_b32 off, v0, off offset:48 ; 4-byte Folded Spill
	v_lshlrev_b64_e32 v[0:1], 1, v[172:173]
	v_dual_mov_b32 v173, v10 :: v_dual_mov_b32 v172, v9
	s_delay_alu instid0(VALU_DEP_2)
	v_add_co_u32 v2, vcc_lo, s8, v0
	scratch_store_b32 off, v2, off offset:52 ; 4-byte Folded Spill
	s_wait_alu 0xfffd
	v_add_co_ci_u32_e64 v2, null, s9, v1, vcc_lo
	v_add_co_u32 v0, vcc_lo, s10, v0
	s_clause 0x1
	scratch_store_b32 off, v2, off offset:56
	scratch_store_b32 off, v0, off offset:60
	s_wait_alu 0xfffd
	v_add_co_ci_u32_e64 v0, null, s11, v1, vcc_lo
	scratch_store_b32 off, v0, off offset:64 ; 4-byte Folded Spill
	v_lshlrev_b64_e32 v[0:1], 1, v[174:175]
	v_dual_mov_b32 v175, v12 :: v_dual_mov_b32 v174, v11
	s_delay_alu instid0(VALU_DEP_2)
	v_add_co_u32 v2, vcc_lo, s8, v0
	scratch_store_b32 off, v2, off offset:68 ; 4-byte Folded Spill
	s_wait_alu 0xfffd
	v_add_co_ci_u32_e64 v2, null, s9, v1, vcc_lo
	v_add_co_u32 v0, vcc_lo, s10, v0
	s_wait_alu 0xfffd
	v_add_co_ci_u32_e64 v1, null, s11, v1, vcc_lo
	s_clause 0x1
	scratch_store_b32 off, v2, off offset:72
	scratch_store_b32 off, v0, off offset:76
	v_mov_b32_e32 v0, v3
	scratch_store_b32 off, v1, off offset:80 ; 4-byte Folded Spill
	v_lshlrev_b64_e32 v[1:2], 1, v[176:177]
	v_dual_mov_b32 v177, v14 :: v_dual_mov_b32 v176, v13
	s_delay_alu instid0(VALU_DEP_2)
	v_add_co_u32 v3, vcc_lo, s8, v1
	scratch_store_b32 off, v3, off offset:84 ; 4-byte Folded Spill
	s_wait_alu 0xfffd
	v_add_co_ci_u32_e64 v3, null, s9, v2, vcc_lo
	v_add_co_u32 v1, vcc_lo, s10, v1
	s_clause 0x1
	scratch_store_b32 off, v3, off offset:88
	scratch_store_b32 off, v1, off offset:92
	s_wait_alu 0xfffd
	v_add_co_ci_u32_e64 v1, null, s11, v2, vcc_lo
	scratch_store_b32 off, v1, off offset:96 ; 4-byte Folded Spill
	v_lshlrev_b64_e32 v[1:2], 1, v[178:179]
	v_dual_mov_b32 v179, v16 :: v_dual_mov_b32 v178, v15
	s_delay_alu instid0(VALU_DEP_2)
	v_add_co_u32 v3, vcc_lo, s8, v1
	scratch_store_b32 off, v3, off offset:100 ; 4-byte Folded Spill
	s_wait_alu 0xfffd
	v_add_co_ci_u32_e64 v3, null, s9, v2, vcc_lo
	v_add_co_u32 v1, vcc_lo, s10, v1
	s_clause 0x1
	scratch_store_b32 off, v3, off offset:104
	scratch_store_b32 off, v1, off offset:108
	s_wait_alu 0xfffd
	v_add_co_ci_u32_e64 v1, null, s11, v2, vcc_lo
	;; [unrolled: 14-line block ×8, first 2 shown]
	scratch_store_b32 off, v1, off offset:208 ; 4-byte Folded Spill
	v_lshlrev_b64_e32 v[1:2], 1, v[197:198]
	v_dual_mov_b32 v198, v30 :: v_dual_mov_b32 v197, v29
	s_delay_alu instid0(VALU_DEP_2)
	v_add_co_u32 v3, vcc_lo, s8, v1
	s_load_b32 s8, s[0:1], 0x44
	scratch_store_b32 off, v3, off offset:212 ; 4-byte Folded Spill
	v_add_co_ci_u32_e64 v3, null, s9, v2, vcc_lo
	v_add_co_u32 v1, vcc_lo, s10, v1
	s_mov_b32 s9, 0
	s_clause 0x1
	scratch_store_b32 off, v3, off offset:216
	scratch_store_b32 off, v1, off offset:220
	s_wait_alu 0xfffd
	v_add_co_ci_u32_e64 v1, null, s11, v2, vcc_lo
	s_wait_alu 0xfffe
	s_mov_b32 s11, s9
	scratch_store_b32 off, v1, off offset:224 ; 4-byte Folded Spill
	v_and_b32_e32 v1, 0x3ff, v208
	s_wait_kmcnt 0x0
	s_lshl_b32 s10, s8, 5
	s_wait_alu 0xfffe
	s_mul_u64 s[18:19], s[6:7], s[10:11]
	scratch_store_b32 off, v1, off offset:304 ; 4-byte Folded Spill
	v_dual_mov_b32 v1, 0 :: v_dual_add_nc_u32 v2, s28, v1
	s_wait_alu 0xfffe
	s_lshl_b64 s[18:19], s[18:19], 1
	s_delay_alu instid0(VALU_DEP_1) | instskip(SKIP_1) | instid1(VALU_DEP_2)
	v_mov_b32_e32 v3, v1
	v_mov_b32_e32 v201, v1
	v_lshlrev_b64_e32 v[158:159], 1, v[2:3]
.LBB199_145:                            ; =>This Inner Loop Header: Depth=1
	s_add_nc_u64 s[24:25], s[14:15], s[20:21]
	v_add_co_u32 v160, vcc_lo, s14, v220
	s_wait_alu 0xfffe
	v_cmp_ge_i64_e64 s8, s[24:25], s[4:5]
	s_wait_alu 0xfffd
	v_add_co_ci_u32_e64 v161, null, 0, v201, vcc_lo
                                        ; implicit-def: $vgpr202
	s_and_b32 vcc_lo, exec_lo, s8
	s_mov_b32 s8, -1
	s_wait_alu 0xfffe
	s_cbranch_vccz .LBB199_213
; %bb.146:                              ;   in Loop: Header=BB199_145 Depth=1
	s_load_b32 s8, s[16:17], 0xc
	s_clause 0x1
	scratch_load_b32 v2, off, off offset:300
	scratch_load_b32 v3, off, off offset:304
	v_dual_mov_b32 v4, 0 :: v_dual_mov_b32 v203, 0
	scratch_store_b32 off, v4, off offset:228 ; 4-byte Folded Spill
	s_wait_kmcnt 0x0
	s_and_b32 s8, s8, 0xffff
	s_wait_loadcnt 0x0
	s_wait_alu 0xfffe
	v_mad_u32_u24 v2, v2, s8, v3
	s_mov_b32 s8, exec_lo
	s_delay_alu instid0(VALU_DEP_1) | instskip(NEXT) | instid1(VALU_DEP_1)
	v_and_b32_e32 v2, 31, v2
	v_add_co_u32 v2, vcc_lo, v160, v2
	s_wait_alu 0xfffd
	v_add_co_ci_u32_e64 v3, null, 0, v161, vcc_lo
	s_delay_alu instid0(VALU_DEP_1)
	v_cmpx_gt_i64_e64 s[4:5], v[2:3]
	s_cbranch_execz .LBB199_148
; %bb.147:                              ;   in Loop: Header=BB199_145 Depth=1
	v_lshlrev_b64_e32 v[2:3], 2, v[2:3]
	s_delay_alu instid0(VALU_DEP_1) | instskip(SKIP_1) | instid1(VALU_DEP_2)
	v_add_co_u32 v2, vcc_lo, s12, v2
	s_wait_alu 0xfffd
	v_add_co_ci_u32_e64 v3, null, s13, v3, vcc_lo
	global_load_b32 v203, v[2:3], off
.LBB199_148:                            ;   in Loop: Header=BB199_145 Depth=1
	s_wait_alu 0xfffe
	s_or_b32 exec_lo, exec_lo, s8
	v_mov_b32_e32 v32, v1
	v_dual_mov_b32 v2, v1 :: v_dual_mov_b32 v3, v1
	v_dual_mov_b32 v4, v1 :: v_dual_mov_b32 v5, v1
	;; [unrolled: 1-line block ×15, first 2 shown]
	v_mov_b32_e32 v33, v32
	s_delay_alu instid0(VALU_DEP_2) | instskip(NEXT) | instid1(VALU_DEP_3)
	v_mov_b32_e32 v32, v31
	v_mov_b32_e32 v31, v30
	;; [unrolled: 1-line block ×31, first 2 shown]
	s_mov_b32 s8, exec_lo
	v_cmpx_gt_i64_e64 s[4:5], v[160:161]
	s_cbranch_execz .LBB199_150
; %bb.149:                              ;   in Loop: Header=BB199_145 Depth=1
	v_add_co_u32 v2, vcc_lo, v164, v158
	s_wait_alu 0xfffd
	v_add_co_ci_u32_e64 v3, null, v165, v159, vcc_lo
	v_dual_mov_b32 v6, v1 :: v_dual_mov_b32 v7, v1
	v_dual_mov_b32 v8, v1 :: v_dual_mov_b32 v9, v1
	global_load_u16 v4, v[2:3], off
	v_add_co_u32 v2, vcc_lo, v166, v158
	s_wait_alu 0xfffd
	v_add_co_ci_u32_e64 v3, null, v167, v159, vcc_lo
	v_dual_mov_b32 v10, v1 :: v_dual_mov_b32 v11, v1
	v_dual_mov_b32 v12, v1 :: v_dual_mov_b32 v13, v1
	global_load_u16 v202, v[2:3], off
	v_dual_mov_b32 v14, v1 :: v_dual_mov_b32 v15, v1
	v_dual_mov_b32 v16, v1 :: v_dual_mov_b32 v17, v1
	;; [unrolled: 1-line block ×10, first 2 shown]
	v_mov_b32_e32 v3, v1
	s_wait_loadcnt 0x1
	v_dual_mov_b32 v5, v1 :: v_dual_lshlrev_b32 v2, 16, v4
	v_mov_b32_e32 v4, v1
	s_wait_loadcnt 0x0
	v_lshlrev_b32_e32 v202, 16, v202
	scratch_store_b32 off, v202, off offset:228 ; 4-byte Folded Spill
.LBB199_150:                            ;   in Loop: Header=BB199_145 Depth=1
	s_wait_alu 0xfffe
	s_or_b32 exec_lo, exec_lo, s8
	v_mov_b32_e32 v202, 0
	v_add_co_u32 v205, vcc_lo, v160, 1
	s_wait_alu 0xfffd
	v_add_co_ci_u32_e64 v206, null, 0, v161, vcc_lo
	scratch_store_b32 off, v202, off offset:232 ; 4-byte Folded Spill
	v_mov_b32_e32 v202, 0
	s_mov_b32 s8, exec_lo
	scratch_store_b32 off, v202, off offset:236 ; 4-byte Folded Spill
	v_cmpx_gt_i64_e64 s[4:5], v[205:206]
	s_cbranch_execz .LBB199_152
; %bb.151:                              ;   in Loop: Header=BB199_145 Depth=1
	scratch_load_b32 v3, off, off offset:220 ; 4-byte Folded Reload
	s_wait_loadcnt 0x0
	v_add_co_u32 v205, vcc_lo, v3, v158
	scratch_load_b32 v3, off, off offset:224 ; 4-byte Folded Reload
	s_wait_loadcnt 0x0
	s_wait_alu 0xfffd
	v_add_co_ci_u32_e64 v206, null, v3, v159, vcc_lo
	scratch_load_b32 v3, off, off offset:212 ; 4-byte Folded Reload
	s_wait_loadcnt 0x0
	v_add_co_u32 v207, vcc_lo, v3, v158
	scratch_load_b32 v3, off, off offset:216 ; 4-byte Folded Reload
	s_wait_loadcnt 0x0
	s_wait_alu 0xfffd
	v_add_co_ci_u32_e64 v208, null, v3, v159, vcc_lo
	global_load_u16 v3, v[205:206], off
	global_load_u16 v202, v[207:208], off
	s_wait_loadcnt 0x1
	v_lshlrev_b32_e32 v3, 16, v3
	scratch_store_b32 off, v3, off offset:236 ; 4-byte Folded Spill
	s_wait_loadcnt 0x0
	v_lshlrev_b32_e32 v3, 16, v202
.LBB199_152:                            ;   in Loop: Header=BB199_145 Depth=1
	s_wait_alu 0xfffe
	s_or_b32 exec_lo, exec_lo, s8
	v_add_co_u32 v205, vcc_lo, v160, 2
	s_wait_alu 0xfffd
	v_add_co_ci_u32_e64 v206, null, 0, v161, vcc_lo
	s_mov_b32 s8, exec_lo
	v_cmpx_gt_i64_e64 s[4:5], v[205:206]
	s_cbranch_execz .LBB199_154
; %bb.153:                              ;   in Loop: Header=BB199_145 Depth=1
	scratch_load_b32 v4, off, off offset:204 ; 4-byte Folded Reload
	s_wait_loadcnt 0x0
	v_add_co_u32 v205, vcc_lo, v4, v158
	scratch_load_b32 v4, off, off offset:208 ; 4-byte Folded Reload
	s_wait_loadcnt 0x0
	s_wait_alu 0xfffd
	v_add_co_ci_u32_e64 v206, null, v4, v159, vcc_lo
	scratch_load_b32 v4, off, off offset:196 ; 4-byte Folded Reload
	s_wait_loadcnt 0x0
	v_add_co_u32 v207, vcc_lo, v4, v158
	scratch_load_b32 v4, off, off offset:200 ; 4-byte Folded Reload
	s_wait_loadcnt 0x0
	s_wait_alu 0xfffd
	v_add_co_ci_u32_e64 v208, null, v4, v159, vcc_lo
	global_load_u16 v4, v[205:206], off
	global_load_u16 v202, v[207:208], off
	s_wait_loadcnt 0x1
	v_lshlrev_b32_e32 v4, 16, v4
	scratch_store_b32 off, v4, off offset:232 ; 4-byte Folded Spill
	s_wait_loadcnt 0x0
	v_lshlrev_b32_e32 v4, 16, v202
.LBB199_154:                            ;   in Loop: Header=BB199_145 Depth=1
	s_wait_alu 0xfffe
	s_or_b32 exec_lo, exec_lo, s8
	v_mov_b32_e32 v202, 0
	v_add_co_u32 v205, vcc_lo, v160, 3
	s_wait_alu 0xfffd
	v_add_co_ci_u32_e64 v206, null, 0, v161, vcc_lo
	scratch_store_b32 off, v202, off offset:240 ; 4-byte Folded Spill
	v_mov_b32_e32 v202, 0
	s_mov_b32 s8, exec_lo
	scratch_store_b32 off, v202, off offset:244 ; 4-byte Folded Spill
	v_cmpx_gt_i64_e64 s[4:5], v[205:206]
	s_cbranch_execz .LBB199_156
; %bb.155:                              ;   in Loop: Header=BB199_145 Depth=1
	scratch_load_b32 v5, off, off offset:188 ; 4-byte Folded Reload
	s_wait_loadcnt 0x0
	v_add_co_u32 v205, vcc_lo, v5, v158
	scratch_load_b32 v5, off, off offset:192 ; 4-byte Folded Reload
	s_wait_loadcnt 0x0
	s_wait_alu 0xfffd
	v_add_co_ci_u32_e64 v206, null, v5, v159, vcc_lo
	scratch_load_b32 v5, off, off offset:180 ; 4-byte Folded Reload
	s_wait_loadcnt 0x0
	v_add_co_u32 v207, vcc_lo, v5, v158
	scratch_load_b32 v5, off, off offset:184 ; 4-byte Folded Reload
	s_wait_loadcnt 0x0
	s_wait_alu 0xfffd
	v_add_co_ci_u32_e64 v208, null, v5, v159, vcc_lo
	global_load_u16 v5, v[205:206], off
	global_load_u16 v202, v[207:208], off
	s_wait_loadcnt 0x1
	v_lshlrev_b32_e32 v5, 16, v5
	scratch_store_b32 off, v5, off offset:244 ; 4-byte Folded Spill
	s_wait_loadcnt 0x0
	v_lshlrev_b32_e32 v5, 16, v202
.LBB199_156:                            ;   in Loop: Header=BB199_145 Depth=1
	s_wait_alu 0xfffe
	s_or_b32 exec_lo, exec_lo, s8
	v_add_co_u32 v205, vcc_lo, v160, 4
	s_wait_alu 0xfffd
	v_add_co_ci_u32_e64 v206, null, 0, v161, vcc_lo
	s_mov_b32 s8, exec_lo
	v_cmpx_gt_i64_e64 s[4:5], v[205:206]
	s_cbranch_execz .LBB199_158
; %bb.157:                              ;   in Loop: Header=BB199_145 Depth=1
	scratch_load_b32 v6, off, off offset:172 ; 4-byte Folded Reload
	s_wait_loadcnt 0x0
	v_add_co_u32 v205, vcc_lo, v6, v158
	scratch_load_b32 v6, off, off offset:176 ; 4-byte Folded Reload
	s_wait_loadcnt 0x0
	s_wait_alu 0xfffd
	v_add_co_ci_u32_e64 v206, null, v6, v159, vcc_lo
	scratch_load_b32 v6, off, off offset:164 ; 4-byte Folded Reload
	s_wait_loadcnt 0x0
	v_add_co_u32 v207, vcc_lo, v6, v158
	scratch_load_b32 v6, off, off offset:168 ; 4-byte Folded Reload
	s_wait_loadcnt 0x0
	s_wait_alu 0xfffd
	v_add_co_ci_u32_e64 v208, null, v6, v159, vcc_lo
	global_load_u16 v6, v[205:206], off
	global_load_u16 v202, v[207:208], off
	s_wait_loadcnt 0x1
	v_lshlrev_b32_e32 v6, 16, v6
	scratch_store_b32 off, v6, off offset:240 ; 4-byte Folded Spill
	s_wait_loadcnt 0x0
	v_lshlrev_b32_e32 v6, 16, v202
.LBB199_158:                            ;   in Loop: Header=BB199_145 Depth=1
	s_wait_alu 0xfffe
	s_or_b32 exec_lo, exec_lo, s8
	v_mov_b32_e32 v202, 0
	v_add_co_u32 v205, vcc_lo, v160, 5
	s_wait_alu 0xfffd
	v_add_co_ci_u32_e64 v206, null, 0, v161, vcc_lo
	scratch_store_b32 off, v202, off offset:248 ; 4-byte Folded Spill
	v_mov_b32_e32 v202, 0
	s_mov_b32 s8, exec_lo
	scratch_store_b32 off, v202, off offset:252 ; 4-byte Folded Spill
	v_cmpx_gt_i64_e64 s[4:5], v[205:206]
	s_cbranch_execz .LBB199_160
; %bb.159:                              ;   in Loop: Header=BB199_145 Depth=1
	scratch_load_b32 v7, off, off offset:156 ; 4-byte Folded Reload
	s_wait_loadcnt 0x0
	v_add_co_u32 v205, vcc_lo, v7, v158
	scratch_load_b32 v7, off, off offset:160 ; 4-byte Folded Reload
	s_wait_loadcnt 0x0
	s_wait_alu 0xfffd
	v_add_co_ci_u32_e64 v206, null, v7, v159, vcc_lo
	scratch_load_b32 v7, off, off offset:148 ; 4-byte Folded Reload
	s_wait_loadcnt 0x0
	v_add_co_u32 v207, vcc_lo, v7, v158
	scratch_load_b32 v7, off, off offset:152 ; 4-byte Folded Reload
	s_wait_loadcnt 0x0
	s_wait_alu 0xfffd
	v_add_co_ci_u32_e64 v208, null, v7, v159, vcc_lo
	global_load_u16 v7, v[205:206], off
	global_load_u16 v202, v[207:208], off
	s_wait_loadcnt 0x1
	v_lshlrev_b32_e32 v7, 16, v7
	scratch_store_b32 off, v7, off offset:252 ; 4-byte Folded Spill
	s_wait_loadcnt 0x0
	v_lshlrev_b32_e32 v7, 16, v202
.LBB199_160:                            ;   in Loop: Header=BB199_145 Depth=1
	s_wait_alu 0xfffe
	s_or_b32 exec_lo, exec_lo, s8
	v_add_co_u32 v205, vcc_lo, v160, 6
	s_wait_alu 0xfffd
	v_add_co_ci_u32_e64 v206, null, 0, v161, vcc_lo
	s_mov_b32 s8, exec_lo
	v_cmpx_gt_i64_e64 s[4:5], v[205:206]
	s_cbranch_execz .LBB199_162
; %bb.161:                              ;   in Loop: Header=BB199_145 Depth=1
	scratch_load_b32 v8, off, off offset:140 ; 4-byte Folded Reload
	s_wait_loadcnt 0x0
	v_add_co_u32 v205, vcc_lo, v8, v158
	scratch_load_b32 v8, off, off offset:144 ; 4-byte Folded Reload
	s_wait_loadcnt 0x0
	s_wait_alu 0xfffd
	v_add_co_ci_u32_e64 v206, null, v8, v159, vcc_lo
	scratch_load_b32 v8, off, off offset:132 ; 4-byte Folded Reload
	s_wait_loadcnt 0x0
	v_add_co_u32 v207, vcc_lo, v8, v158
	scratch_load_b32 v8, off, off offset:136 ; 4-byte Folded Reload
	s_wait_loadcnt 0x0
	s_wait_alu 0xfffd
	v_add_co_ci_u32_e64 v208, null, v8, v159, vcc_lo
	global_load_u16 v8, v[205:206], off
	global_load_u16 v202, v[207:208], off
	s_wait_loadcnt 0x1
	v_lshlrev_b32_e32 v8, 16, v8
	scratch_store_b32 off, v8, off offset:248 ; 4-byte Folded Spill
	s_wait_loadcnt 0x0
	v_lshlrev_b32_e32 v8, 16, v202
.LBB199_162:                            ;   in Loop: Header=BB199_145 Depth=1
	s_wait_alu 0xfffe
	s_or_b32 exec_lo, exec_lo, s8
	v_mov_b32_e32 v202, 0
	v_add_co_u32 v205, vcc_lo, v160, 7
	s_wait_alu 0xfffd
	v_add_co_ci_u32_e64 v206, null, 0, v161, vcc_lo
	scratch_store_b32 off, v202, off offset:256 ; 4-byte Folded Spill
	v_mov_b32_e32 v202, 0
	s_mov_b32 s8, exec_lo
	scratch_store_b32 off, v202, off offset:260 ; 4-byte Folded Spill
	v_cmpx_gt_i64_e64 s[4:5], v[205:206]
	s_cbranch_execz .LBB199_164
; %bb.163:                              ;   in Loop: Header=BB199_145 Depth=1
	scratch_load_b32 v9, off, off offset:124 ; 4-byte Folded Reload
	s_wait_loadcnt 0x0
	v_add_co_u32 v205, vcc_lo, v9, v158
	scratch_load_b32 v9, off, off offset:128 ; 4-byte Folded Reload
	s_wait_loadcnt 0x0
	s_wait_alu 0xfffd
	v_add_co_ci_u32_e64 v206, null, v9, v159, vcc_lo
	scratch_load_b32 v9, off, off offset:116 ; 4-byte Folded Reload
	s_wait_loadcnt 0x0
	v_add_co_u32 v207, vcc_lo, v9, v158
	scratch_load_b32 v9, off, off offset:120 ; 4-byte Folded Reload
	s_wait_loadcnt 0x0
	s_wait_alu 0xfffd
	v_add_co_ci_u32_e64 v208, null, v9, v159, vcc_lo
	global_load_u16 v9, v[205:206], off
	global_load_u16 v202, v[207:208], off
	s_wait_loadcnt 0x1
	v_lshlrev_b32_e32 v9, 16, v9
	scratch_store_b32 off, v9, off offset:260 ; 4-byte Folded Spill
	s_wait_loadcnt 0x0
	v_lshlrev_b32_e32 v9, 16, v202
.LBB199_164:                            ;   in Loop: Header=BB199_145 Depth=1
	s_wait_alu 0xfffe
	s_or_b32 exec_lo, exec_lo, s8
	v_add_co_u32 v205, vcc_lo, v160, 8
	s_wait_alu 0xfffd
	v_add_co_ci_u32_e64 v206, null, 0, v161, vcc_lo
	s_mov_b32 s8, exec_lo
	v_cmpx_gt_i64_e64 s[4:5], v[205:206]
	s_cbranch_execz .LBB199_166
; %bb.165:                              ;   in Loop: Header=BB199_145 Depth=1
	scratch_load_b32 v10, off, off offset:108 ; 4-byte Folded Reload
	s_wait_loadcnt 0x0
	v_add_co_u32 v205, vcc_lo, v10, v158
	scratch_load_b32 v10, off, off offset:112 ; 4-byte Folded Reload
	s_wait_loadcnt 0x0
	s_wait_alu 0xfffd
	v_add_co_ci_u32_e64 v206, null, v10, v159, vcc_lo
	scratch_load_b32 v10, off, off offset:100 ; 4-byte Folded Reload
	s_wait_loadcnt 0x0
	v_add_co_u32 v207, vcc_lo, v10, v158
	scratch_load_b32 v10, off, off offset:104 ; 4-byte Folded Reload
	s_wait_loadcnt 0x0
	s_wait_alu 0xfffd
	v_add_co_ci_u32_e64 v208, null, v10, v159, vcc_lo
	global_load_u16 v10, v[205:206], off
	global_load_u16 v202, v[207:208], off
	s_wait_loadcnt 0x1
	v_lshlrev_b32_e32 v10, 16, v10
	scratch_store_b32 off, v10, off offset:256 ; 4-byte Folded Spill
	s_wait_loadcnt 0x0
	v_lshlrev_b32_e32 v10, 16, v202
.LBB199_166:                            ;   in Loop: Header=BB199_145 Depth=1
	s_wait_alu 0xfffe
	s_or_b32 exec_lo, exec_lo, s8
	v_mov_b32_e32 v202, 0
	v_add_co_u32 v205, vcc_lo, v160, 9
	s_wait_alu 0xfffd
	v_add_co_ci_u32_e64 v206, null, 0, v161, vcc_lo
	scratch_store_b32 off, v202, off offset:264 ; 4-byte Folded Spill
	v_mov_b32_e32 v202, 0
	s_mov_b32 s8, exec_lo
	scratch_store_b32 off, v202, off offset:268 ; 4-byte Folded Spill
	v_cmpx_gt_i64_e64 s[4:5], v[205:206]
	s_cbranch_execz .LBB199_168
; %bb.167:                              ;   in Loop: Header=BB199_145 Depth=1
	scratch_load_b32 v11, off, off offset:92 ; 4-byte Folded Reload
	s_wait_loadcnt 0x0
	v_add_co_u32 v205, vcc_lo, v11, v158
	scratch_load_b32 v11, off, off offset:96 ; 4-byte Folded Reload
	s_wait_loadcnt 0x0
	s_wait_alu 0xfffd
	v_add_co_ci_u32_e64 v206, null, v11, v159, vcc_lo
	scratch_load_b32 v11, off, off offset:84 ; 4-byte Folded Reload
	s_wait_loadcnt 0x0
	v_add_co_u32 v207, vcc_lo, v11, v158
	scratch_load_b32 v11, off, off offset:88 ; 4-byte Folded Reload
	s_wait_loadcnt 0x0
	s_wait_alu 0xfffd
	v_add_co_ci_u32_e64 v208, null, v11, v159, vcc_lo
	global_load_u16 v11, v[205:206], off
	global_load_u16 v202, v[207:208], off
	s_wait_loadcnt 0x1
	v_lshlrev_b32_e32 v11, 16, v11
	scratch_store_b32 off, v11, off offset:268 ; 4-byte Folded Spill
	s_wait_loadcnt 0x0
	v_lshlrev_b32_e32 v11, 16, v202
.LBB199_168:                            ;   in Loop: Header=BB199_145 Depth=1
	s_wait_alu 0xfffe
	s_or_b32 exec_lo, exec_lo, s8
	v_add_co_u32 v205, vcc_lo, v160, 10
	s_wait_alu 0xfffd
	v_add_co_ci_u32_e64 v206, null, 0, v161, vcc_lo
	s_mov_b32 s8, exec_lo
	v_cmpx_gt_i64_e64 s[4:5], v[205:206]
	s_cbranch_execz .LBB199_170
; %bb.169:                              ;   in Loop: Header=BB199_145 Depth=1
	scratch_load_b32 v12, off, off offset:76 ; 4-byte Folded Reload
	s_wait_loadcnt 0x0
	v_add_co_u32 v205, vcc_lo, v12, v158
	scratch_load_b32 v12, off, off offset:80 ; 4-byte Folded Reload
	s_wait_loadcnt 0x0
	s_wait_alu 0xfffd
	v_add_co_ci_u32_e64 v206, null, v12, v159, vcc_lo
	scratch_load_b32 v12, off, off offset:68 ; 4-byte Folded Reload
	s_wait_loadcnt 0x0
	v_add_co_u32 v207, vcc_lo, v12, v158
	scratch_load_b32 v12, off, off offset:72 ; 4-byte Folded Reload
	s_wait_loadcnt 0x0
	s_wait_alu 0xfffd
	v_add_co_ci_u32_e64 v208, null, v12, v159, vcc_lo
	global_load_u16 v12, v[205:206], off
	global_load_u16 v202, v[207:208], off
	s_wait_loadcnt 0x1
	v_lshlrev_b32_e32 v12, 16, v12
	scratch_store_b32 off, v12, off offset:264 ; 4-byte Folded Spill
	s_wait_loadcnt 0x0
	v_lshlrev_b32_e32 v12, 16, v202
.LBB199_170:                            ;   in Loop: Header=BB199_145 Depth=1
	s_wait_alu 0xfffe
	s_or_b32 exec_lo, exec_lo, s8
	v_mov_b32_e32 v202, 0
	v_add_co_u32 v205, vcc_lo, v160, 11
	s_wait_alu 0xfffd
	v_add_co_ci_u32_e64 v206, null, 0, v161, vcc_lo
	scratch_store_b32 off, v202, off offset:272 ; 4-byte Folded Spill
	v_mov_b32_e32 v202, 0
	s_mov_b32 s8, exec_lo
	scratch_store_b32 off, v202, off offset:276 ; 4-byte Folded Spill
	v_cmpx_gt_i64_e64 s[4:5], v[205:206]
	s_cbranch_execz .LBB199_172
; %bb.171:                              ;   in Loop: Header=BB199_145 Depth=1
	scratch_load_b32 v13, off, off offset:60 ; 4-byte Folded Reload
	s_wait_loadcnt 0x0
	v_add_co_u32 v205, vcc_lo, v13, v158
	scratch_load_b32 v13, off, off offset:64 ; 4-byte Folded Reload
	s_wait_loadcnt 0x0
	s_wait_alu 0xfffd
	v_add_co_ci_u32_e64 v206, null, v13, v159, vcc_lo
	scratch_load_b32 v13, off, off offset:52 ; 4-byte Folded Reload
	s_wait_loadcnt 0x0
	v_add_co_u32 v207, vcc_lo, v13, v158
	scratch_load_b32 v13, off, off offset:56 ; 4-byte Folded Reload
	s_wait_loadcnt 0x0
	s_wait_alu 0xfffd
	v_add_co_ci_u32_e64 v208, null, v13, v159, vcc_lo
	global_load_u16 v13, v[205:206], off
	global_load_u16 v202, v[207:208], off
	s_wait_loadcnt 0x1
	v_lshlrev_b32_e32 v13, 16, v13
	scratch_store_b32 off, v13, off offset:276 ; 4-byte Folded Spill
	s_wait_loadcnt 0x0
	v_lshlrev_b32_e32 v13, 16, v202
.LBB199_172:                            ;   in Loop: Header=BB199_145 Depth=1
	s_wait_alu 0xfffe
	s_or_b32 exec_lo, exec_lo, s8
	v_add_co_u32 v205, vcc_lo, v160, 12
	s_wait_alu 0xfffd
	v_add_co_ci_u32_e64 v206, null, 0, v161, vcc_lo
	s_mov_b32 s8, exec_lo
	v_cmpx_gt_i64_e64 s[4:5], v[205:206]
	s_cbranch_execz .LBB199_174
; %bb.173:                              ;   in Loop: Header=BB199_145 Depth=1
	scratch_load_b32 v14, off, off offset:44 ; 4-byte Folded Reload
	s_wait_loadcnt 0x0
	v_add_co_u32 v205, vcc_lo, v14, v158
	scratch_load_b32 v14, off, off offset:48 ; 4-byte Folded Reload
	s_wait_loadcnt 0x0
	s_wait_alu 0xfffd
	v_add_co_ci_u32_e64 v206, null, v14, v159, vcc_lo
	scratch_load_b32 v14, off, off offset:36 ; 4-byte Folded Reload
	s_wait_loadcnt 0x0
	v_add_co_u32 v207, vcc_lo, v14, v158
	scratch_load_b32 v14, off, off offset:40 ; 4-byte Folded Reload
	s_wait_loadcnt 0x0
	s_wait_alu 0xfffd
	v_add_co_ci_u32_e64 v208, null, v14, v159, vcc_lo
	global_load_u16 v14, v[205:206], off
	global_load_u16 v202, v[207:208], off
	s_wait_loadcnt 0x1
	v_lshlrev_b32_e32 v14, 16, v14
	scratch_store_b32 off, v14, off offset:272 ; 4-byte Folded Spill
	s_wait_loadcnt 0x0
	v_lshlrev_b32_e32 v14, 16, v202
.LBB199_174:                            ;   in Loop: Header=BB199_145 Depth=1
	s_wait_alu 0xfffe
	s_or_b32 exec_lo, exec_lo, s8
	v_mov_b32_e32 v202, 0
	v_add_co_u32 v205, vcc_lo, v160, 13
	s_wait_alu 0xfffd
	v_add_co_ci_u32_e64 v206, null, 0, v161, vcc_lo
	scratch_store_b32 off, v202, off offset:280 ; 4-byte Folded Spill
	v_mov_b32_e32 v202, 0
	s_mov_b32 s8, exec_lo
	scratch_store_b32 off, v202, off offset:284 ; 4-byte Folded Spill
	v_cmpx_gt_i64_e64 s[4:5], v[205:206]
	s_cbranch_execz .LBB199_176
; %bb.175:                              ;   in Loop: Header=BB199_145 Depth=1
	scratch_load_b32 v15, off, off offset:28 ; 4-byte Folded Reload
	s_wait_loadcnt 0x0
	v_add_co_u32 v205, vcc_lo, v15, v158
	scratch_load_b32 v15, off, off offset:32 ; 4-byte Folded Reload
	s_wait_loadcnt 0x0
	s_wait_alu 0xfffd
	v_add_co_ci_u32_e64 v206, null, v15, v159, vcc_lo
	scratch_load_b32 v15, off, off offset:20 ; 4-byte Folded Reload
	s_wait_loadcnt 0x0
	v_add_co_u32 v207, vcc_lo, v15, v158
	scratch_load_b32 v15, off, off offset:24 ; 4-byte Folded Reload
	s_wait_loadcnt 0x0
	s_wait_alu 0xfffd
	v_add_co_ci_u32_e64 v208, null, v15, v159, vcc_lo
	global_load_u16 v15, v[205:206], off
	global_load_u16 v202, v[207:208], off
	s_wait_loadcnt 0x1
	v_lshlrev_b32_e32 v15, 16, v15
	scratch_store_b32 off, v15, off offset:284 ; 4-byte Folded Spill
	s_wait_loadcnt 0x0
	v_lshlrev_b32_e32 v15, 16, v202
.LBB199_176:                            ;   in Loop: Header=BB199_145 Depth=1
	s_wait_alu 0xfffe
	s_or_b32 exec_lo, exec_lo, s8
	v_add_co_u32 v205, vcc_lo, v160, 14
	s_wait_alu 0xfffd
	v_add_co_ci_u32_e64 v206, null, 0, v161, vcc_lo
	s_mov_b32 s8, exec_lo
	v_cmpx_gt_i64_e64 s[4:5], v[205:206]
	s_cbranch_execz .LBB199_178
; %bb.177:                              ;   in Loop: Header=BB199_145 Depth=1
	scratch_load_b32 v16, off, off offset:16 ; 4-byte Folded Reload
	v_add_co_u32 v205, vcc_lo, v221, v158
	s_wait_loadcnt 0x0
	s_wait_alu 0xfffd
	v_add_co_ci_u32_e64 v206, null, v16, v159, vcc_lo
	v_add_co_u32 v207, vcc_lo, v199, v158
	s_wait_alu 0xfffd
	v_add_co_ci_u32_e64 v208, null, v200, v159, vcc_lo
	global_load_u16 v16, v[205:206], off
	global_load_u16 v202, v[207:208], off
	s_wait_loadcnt 0x1
	v_lshlrev_b32_e32 v16, 16, v16
	scratch_store_b32 off, v16, off offset:280 ; 4-byte Folded Spill
	s_wait_loadcnt 0x0
	v_lshlrev_b32_e32 v16, 16, v202
.LBB199_178:                            ;   in Loop: Header=BB199_145 Depth=1
	s_wait_alu 0xfffe
	s_or_b32 exec_lo, exec_lo, s8
	v_mov_b32_e32 v202, 0
	v_add_co_u32 v205, vcc_lo, v160, 15
	s_wait_alu 0xfffd
	v_add_co_ci_u32_e64 v206, null, 0, v161, vcc_lo
	scratch_store_b32 off, v202, off offset:288 ; 4-byte Folded Spill
	v_mov_b32_e32 v202, 0
	s_mov_b32 s8, exec_lo
	scratch_store_b32 off, v202, off offset:292 ; 4-byte Folded Spill
	v_cmpx_gt_i64_e64 s[4:5], v[205:206]
	s_cbranch_execz .LBB199_180
; %bb.179:                              ;   in Loop: Header=BB199_145 Depth=1
	v_add_co_u32 v205, vcc_lo, v197, v158
	s_wait_alu 0xfffd
	v_add_co_ci_u32_e64 v206, null, v198, v159, vcc_lo
	v_add_co_u32 v207, vcc_lo, v195, v158
	s_wait_alu 0xfffd
	v_add_co_ci_u32_e64 v208, null, v196, v159, vcc_lo
	global_load_u16 v17, v[205:206], off
	global_load_u16 v202, v[207:208], off
	s_wait_loadcnt 0x1
	v_lshlrev_b32_e32 v17, 16, v17
	scratch_store_b32 off, v17, off offset:292 ; 4-byte Folded Spill
	s_wait_loadcnt 0x0
	v_lshlrev_b32_e32 v17, 16, v202
.LBB199_180:                            ;   in Loop: Header=BB199_145 Depth=1
	s_wait_alu 0xfffe
	s_or_b32 exec_lo, exec_lo, s8
	v_add_co_u32 v205, vcc_lo, v160, 16
	s_wait_alu 0xfffd
	v_add_co_ci_u32_e64 v206, null, 0, v161, vcc_lo
	s_mov_b32 s8, exec_lo
	v_cmpx_gt_i64_e64 s[4:5], v[205:206]
	s_cbranch_execz .LBB199_182
; %bb.181:                              ;   in Loop: Header=BB199_145 Depth=1
	v_add_co_u32 v205, vcc_lo, v193, v158
	s_wait_alu 0xfffd
	v_add_co_ci_u32_e64 v206, null, v194, v159, vcc_lo
	v_add_co_u32 v207, vcc_lo, v191, v158
	s_wait_alu 0xfffd
	v_add_co_ci_u32_e64 v208, null, v192, v159, vcc_lo
	global_load_u16 v18, v[205:206], off
	global_load_u16 v202, v[207:208], off
	s_wait_loadcnt 0x1
	v_lshlrev_b32_e32 v18, 16, v18
	scratch_store_b32 off, v18, off offset:288 ; 4-byte Folded Spill
	s_wait_loadcnt 0x0
	v_lshlrev_b32_e32 v18, 16, v202
.LBB199_182:                            ;   in Loop: Header=BB199_145 Depth=1
	s_wait_alu 0xfffe
	s_or_b32 exec_lo, exec_lo, s8
	v_add_co_u32 v205, vcc_lo, v160, 17
	s_wait_alu 0xfffd
	v_add_co_ci_u32_e64 v206, null, 0, v161, vcc_lo
	v_mov_b32_e32 v202, 0
	s_delay_alu instid0(VALU_DEP_2)
	v_cmp_gt_i64_e32 vcc_lo, s[4:5], v[205:206]
	v_mov_b32_e32 v205, 0
	s_and_saveexec_b32 s8, vcc_lo
	s_cbranch_execz .LBB199_184
; %bb.183:                              ;   in Loop: Header=BB199_145 Depth=1
	v_add_co_u32 v205, vcc_lo, v189, v158
	s_wait_alu 0xfffd
	v_add_co_ci_u32_e64 v206, null, v190, v159, vcc_lo
	v_add_co_u32 v207, vcc_lo, v187, v158
	s_wait_alu 0xfffd
	v_add_co_ci_u32_e64 v208, null, v188, v159, vcc_lo
	global_load_u16 v19, v[205:206], off
	v_mov_b32_e32 v205, 0
	global_load_u16 v206, v[207:208], off
	s_wait_loadcnt 0x1
	v_lshlrev_b32_e32 v202, 16, v19
	s_wait_loadcnt 0x0
	v_lshlrev_b32_e32 v19, 16, v206
.LBB199_184:                            ;   in Loop: Header=BB199_145 Depth=1
	s_wait_alu 0xfffe
	s_or_b32 exec_lo, exec_lo, s8
	v_add_co_u32 v206, vcc_lo, v160, 18
	s_wait_alu 0xfffd
	v_add_co_ci_u32_e64 v207, null, 0, v161, vcc_lo
	s_mov_b32 s8, exec_lo
	v_cmpx_gt_i64_e64 s[4:5], v[206:207]
	s_cbranch_execz .LBB199_186
; %bb.185:                              ;   in Loop: Header=BB199_145 Depth=1
	v_add_co_u32 v206, vcc_lo, v185, v158
	s_wait_alu 0xfffd
	v_add_co_ci_u32_e64 v207, null, v186, v159, vcc_lo
	v_add_co_u32 v208, vcc_lo, v183, v158
	s_wait_alu 0xfffd
	v_add_co_ci_u32_e64 v209, null, v184, v159, vcc_lo
	global_load_u16 v20, v[206:207], off
	global_load_u16 v206, v[208:209], off
	s_wait_loadcnt 0x1
	v_lshlrev_b32_e32 v205, 16, v20
	s_wait_loadcnt 0x0
	v_lshlrev_b32_e32 v20, 16, v206
.LBB199_186:                            ;   in Loop: Header=BB199_145 Depth=1
	s_wait_alu 0xfffe
	s_or_b32 exec_lo, exec_lo, s8
	v_add_co_u32 v206, vcc_lo, v160, 19
	s_wait_alu 0xfffd
	v_add_co_ci_u32_e64 v207, null, 0, v161, vcc_lo
	s_delay_alu instid0(VALU_DEP_1)
	v_cmp_gt_i64_e32 vcc_lo, s[4:5], v[206:207]
	v_dual_mov_b32 v206, 0 :: v_dual_mov_b32 v207, 0
	scratch_store_b32 off, v207, off offset:296 ; 4-byte Folded Spill
	s_and_saveexec_b32 s8, vcc_lo
	s_cbranch_execz .LBB199_188
; %bb.187:                              ;   in Loop: Header=BB199_145 Depth=1
	v_add_co_u32 v207, vcc_lo, v181, v158
	s_wait_alu 0xfffd
	v_add_co_ci_u32_e64 v208, null, v182, v159, vcc_lo
	v_add_co_u32 v209, vcc_lo, v179, v158
	s_wait_alu 0xfffd
	v_add_co_ci_u32_e64 v210, null, v180, v159, vcc_lo
	global_load_u16 v21, v[207:208], off
	global_load_u16 v208, v[209:210], off
	s_wait_loadcnt 0x1
	v_lshlrev_b32_e32 v21, 16, v21
	scratch_store_b32 off, v21, off offset:296 ; 4-byte Folded Spill
	s_wait_loadcnt 0x0
	v_lshlrev_b32_e32 v21, 16, v208
.LBB199_188:                            ;   in Loop: Header=BB199_145 Depth=1
	s_wait_alu 0xfffe
	s_or_b32 exec_lo, exec_lo, s8
	v_add_co_u32 v208, vcc_lo, v160, 20
	s_wait_alu 0xfffd
	v_add_co_ci_u32_e64 v209, null, 0, v161, vcc_lo
	s_mov_b32 s8, exec_lo
	v_cmpx_gt_i64_e64 s[4:5], v[208:209]
	s_cbranch_execz .LBB199_190
; %bb.189:                              ;   in Loop: Header=BB199_145 Depth=1
	v_add_co_u32 v208, vcc_lo, v177, v158
	s_wait_alu 0xfffd
	v_add_co_ci_u32_e64 v209, null, v178, v159, vcc_lo
	v_add_co_u32 v210, vcc_lo, v175, v158
	s_wait_alu 0xfffd
	v_add_co_ci_u32_e64 v211, null, v176, v159, vcc_lo
	global_load_u16 v22, v[208:209], off
	global_load_u16 v208, v[210:211], off
	s_wait_loadcnt 0x1
	v_lshlrev_b32_e32 v206, 16, v22
	s_wait_loadcnt 0x0
	v_lshlrev_b32_e32 v22, 16, v208
.LBB199_190:                            ;   in Loop: Header=BB199_145 Depth=1
	s_wait_alu 0xfffe
	s_or_b32 exec_lo, exec_lo, s8
	v_add_co_u32 v208, vcc_lo, v160, 21
	s_wait_alu 0xfffd
	v_add_co_ci_u32_e64 v209, null, 0, v161, vcc_lo
	s_delay_alu instid0(VALU_DEP_1)
	v_cmp_gt_i64_e32 vcc_lo, s[4:5], v[208:209]
	v_dual_mov_b32 v208, 0 :: v_dual_mov_b32 v209, 0
	s_and_saveexec_b32 s8, vcc_lo
	s_cbranch_execz .LBB199_192
; %bb.191:                              ;   in Loop: Header=BB199_145 Depth=1
	v_add_co_u32 v209, vcc_lo, v173, v158
	s_wait_alu 0xfffd
	v_add_co_ci_u32_e64 v210, null, v174, v159, vcc_lo
	v_add_co_u32 v211, vcc_lo, v171, v158
	s_wait_alu 0xfffd
	v_add_co_ci_u32_e64 v212, null, v172, v159, vcc_lo
	global_load_u16 v23, v[209:210], off
	global_load_u16 v210, v[211:212], off
	s_wait_loadcnt 0x1
	v_lshlrev_b32_e32 v209, 16, v23
	s_wait_loadcnt 0x0
	v_lshlrev_b32_e32 v23, 16, v210
.LBB199_192:                            ;   in Loop: Header=BB199_145 Depth=1
	s_wait_alu 0xfffe
	s_or_b32 exec_lo, exec_lo, s8
	v_add_co_u32 v210, vcc_lo, v160, 22
	s_wait_alu 0xfffd
	v_add_co_ci_u32_e64 v211, null, 0, v161, vcc_lo
	s_mov_b32 s8, exec_lo
	v_cmpx_gt_i64_e64 s[4:5], v[210:211]
	s_cbranch_execz .LBB199_194
; %bb.193:                              ;   in Loop: Header=BB199_145 Depth=1
	v_add_co_u32 v210, vcc_lo, v169, v158
	s_wait_alu 0xfffd
	v_add_co_ci_u32_e64 v211, null, v170, v159, vcc_lo
	v_add_co_u32 v212, vcc_lo, v163, v158
	s_wait_alu 0xfffd
	v_add_co_ci_u32_e64 v213, null, v168, v159, vcc_lo
	global_load_u16 v24, v[210:211], off
	global_load_u16 v210, v[212:213], off
	s_wait_loadcnt 0x1
	v_lshlrev_b32_e32 v208, 16, v24
	s_wait_loadcnt 0x0
	v_lshlrev_b32_e32 v24, 16, v210
.LBB199_194:                            ;   in Loop: Header=BB199_145 Depth=1
	s_wait_alu 0xfffe
	s_or_b32 exec_lo, exec_lo, s8
	v_add_co_u32 v210, vcc_lo, v160, 23
	s_wait_alu 0xfffd
	v_add_co_ci_u32_e64 v211, null, 0, v161, vcc_lo
	s_delay_alu instid0(VALU_DEP_1)
	v_cmp_gt_i64_e32 vcc_lo, s[4:5], v[210:211]
	v_dual_mov_b32 v210, 0 :: v_dual_mov_b32 v211, 0
	s_and_saveexec_b32 s8, vcc_lo
	s_cbranch_execz .LBB199_196
; %bb.195:                              ;   in Loop: Header=BB199_145 Depth=1
	v_add_co_u32 v211, vcc_lo, v162, v158
	s_wait_alu 0xfffd
	v_add_co_ci_u32_e64 v212, null, v0, v159, vcc_lo
	v_add_co_u32 v213, vcc_lo, v254, v158
	s_wait_alu 0xfffd
	v_add_co_ci_u32_e64 v214, null, v255, v159, vcc_lo
	global_load_u16 v25, v[211:212], off
	global_load_u16 v212, v[213:214], off
	s_wait_loadcnt 0x1
	v_lshlrev_b32_e32 v211, 16, v25
	s_wait_loadcnt 0x0
	v_lshlrev_b32_e32 v25, 16, v212
.LBB199_196:                            ;   in Loop: Header=BB199_145 Depth=1
	s_wait_alu 0xfffe
	s_or_b32 exec_lo, exec_lo, s8
	v_add_co_u32 v212, vcc_lo, v160, 24
	s_wait_alu 0xfffd
	v_add_co_ci_u32_e64 v213, null, 0, v161, vcc_lo
	s_mov_b32 s8, exec_lo
	v_cmpx_gt_i64_e64 s[4:5], v[212:213]
	s_cbranch_execz .LBB199_198
; %bb.197:                              ;   in Loop: Header=BB199_145 Depth=1
	v_add_co_u32 v212, vcc_lo, v252, v158
	s_wait_alu 0xfffd
	v_add_co_ci_u32_e64 v213, null, v253, v159, vcc_lo
	v_add_co_u32 v214, vcc_lo, v250, v158
	s_wait_alu 0xfffd
	v_add_co_ci_u32_e64 v215, null, v251, v159, vcc_lo
	global_load_u16 v26, v[212:213], off
	global_load_u16 v212, v[214:215], off
	s_wait_loadcnt 0x1
	v_lshlrev_b32_e32 v210, 16, v26
	s_wait_loadcnt 0x0
	v_lshlrev_b32_e32 v26, 16, v212
.LBB199_198:                            ;   in Loop: Header=BB199_145 Depth=1
	s_wait_alu 0xfffe
	s_or_b32 exec_lo, exec_lo, s8
	v_add_co_u32 v212, vcc_lo, v160, 25
	s_wait_alu 0xfffd
	v_add_co_ci_u32_e64 v213, null, 0, v161, vcc_lo
	v_mov_b32_e32 v37, 0
	s_delay_alu instid0(VALU_DEP_2)
	v_cmp_gt_i64_e32 vcc_lo, s[4:5], v[212:213]
	v_mov_b32_e32 v212, 0
	s_and_saveexec_b32 s8, vcc_lo
	s_cbranch_execz .LBB199_200
; %bb.199:                              ;   in Loop: Header=BB199_145 Depth=1
	v_add_co_u32 v213, vcc_lo, v248, v158
	s_wait_alu 0xfffd
	v_add_co_ci_u32_e64 v214, null, v249, v159, vcc_lo
	v_add_co_u32 v215, vcc_lo, v246, v158
	s_wait_alu 0xfffd
	v_add_co_ci_u32_e64 v216, null, v247, v159, vcc_lo
	global_load_u16 v27, v[213:214], off
	global_load_u16 v214, v[215:216], off
	s_wait_loadcnt 0x1
	v_lshlrev_b32_e32 v37, 16, v27
	s_wait_loadcnt 0x0
	v_lshlrev_b32_e32 v27, 16, v214
.LBB199_200:                            ;   in Loop: Header=BB199_145 Depth=1
	s_wait_alu 0xfffe
	s_or_b32 exec_lo, exec_lo, s8
	v_add_co_u32 v214, vcc_lo, v160, 26
	s_wait_alu 0xfffd
	v_add_co_ci_u32_e64 v215, null, 0, v161, vcc_lo
	s_mov_b32 s8, exec_lo
	v_cmpx_gt_i64_e64 s[4:5], v[214:215]
	s_cbranch_execz .LBB199_202
; %bb.201:                              ;   in Loop: Header=BB199_145 Depth=1
	v_add_co_u32 v214, vcc_lo, v244, v158
	s_wait_alu 0xfffd
	v_add_co_ci_u32_e64 v215, null, v245, v159, vcc_lo
	v_add_co_u32 v216, vcc_lo, v242, v158
	s_wait_alu 0xfffd
	v_add_co_ci_u32_e64 v217, null, v243, v159, vcc_lo
	global_load_u16 v28, v[214:215], off
	global_load_u16 v214, v[216:217], off
	s_wait_loadcnt 0x1
	v_lshlrev_b32_e32 v212, 16, v28
	s_wait_loadcnt 0x0
	v_lshlrev_b32_e32 v28, 16, v214
.LBB199_202:                            ;   in Loop: Header=BB199_145 Depth=1
	s_wait_alu 0xfffe
	s_or_b32 exec_lo, exec_lo, s8
	v_add_co_u32 v214, vcc_lo, v160, 27
	s_wait_alu 0xfffd
	v_add_co_ci_u32_e64 v215, null, 0, v161, vcc_lo
	v_dual_mov_b32 v105, 0 :: v_dual_mov_b32 v36, 0
	s_mov_b32 s8, exec_lo
	s_delay_alu instid0(VALU_DEP_2)
	v_cmpx_gt_i64_e64 s[4:5], v[214:215]
	s_cbranch_execz .LBB199_204
; %bb.203:                              ;   in Loop: Header=BB199_145 Depth=1
	v_add_co_u32 v215, vcc_lo, v240, v158
	s_wait_alu 0xfffd
	v_add_co_ci_u32_e64 v216, null, v241, v159, vcc_lo
	v_add_co_u32 v217, vcc_lo, v238, v158
	s_wait_alu 0xfffd
	v_add_co_ci_u32_e64 v218, null, v239, v159, vcc_lo
	global_load_u16 v29, v[215:216], off
	global_load_u16 v216, v[217:218], off
	s_wait_loadcnt 0x1
	v_lshlrev_b32_e32 v36, 16, v29
	s_wait_loadcnt 0x0
	v_lshlrev_b32_e32 v29, 16, v216
.LBB199_204:                            ;   in Loop: Header=BB199_145 Depth=1
	s_wait_alu 0xfffe
	s_or_b32 exec_lo, exec_lo, s8
	v_add_co_u32 v216, vcc_lo, v160, 28
	s_wait_alu 0xfffd
	v_add_co_ci_u32_e64 v217, null, 0, v161, vcc_lo
	s_mov_b32 s8, exec_lo
	v_cmpx_gt_i64_e64 s[4:5], v[216:217]
	s_cbranch_execz .LBB199_206
; %bb.205:                              ;   in Loop: Header=BB199_145 Depth=1
	v_add_co_u32 v216, vcc_lo, v236, v158
	s_wait_alu 0xfffd
	v_add_co_ci_u32_e64 v217, null, v237, v159, vcc_lo
	v_add_co_u32 v218, vcc_lo, v234, v158
	s_wait_alu 0xfffd
	v_add_co_ci_u32_e64 v219, null, v235, v159, vcc_lo
	global_load_u16 v30, v[216:217], off
	global_load_u16 v216, v[218:219], off
	s_wait_loadcnt 0x1
	v_lshlrev_b32_e32 v105, 16, v30
	s_wait_loadcnt 0x0
	v_lshlrev_b32_e32 v30, 16, v216
.LBB199_206:                            ;   in Loop: Header=BB199_145 Depth=1
	s_wait_alu 0xfffe
	s_or_b32 exec_lo, exec_lo, s8
	v_add_co_u32 v216, vcc_lo, v160, 29
	s_wait_alu 0xfffd
	v_add_co_ci_u32_e64 v217, null, 0, v161, vcc_lo
	v_mov_b32_e32 v207, v202
	s_delay_alu instid0(VALU_DEP_2)
	v_cmp_gt_i64_e32 vcc_lo, s[4:5], v[216:217]
	v_dual_mov_b32 v216, 0 :: v_dual_mov_b32 v217, 0
	s_and_saveexec_b32 s8, vcc_lo
	s_cbranch_execz .LBB199_208
; %bb.207:                              ;   in Loop: Header=BB199_145 Depth=1
	v_add_co_u32 v217, vcc_lo, v232, v158
	s_wait_alu 0xfffd
	v_add_co_ci_u32_e64 v218, null, v233, v159, vcc_lo
	v_add_co_u32 v219, vcc_lo, v230, v158
	v_dual_mov_b32 v202, v221 :: v_dual_mov_b32 v221, v223
	v_dual_mov_b32 v223, v222 :: v_dual_mov_b32 v222, v220
	s_wait_alu 0xfffd
	v_add_co_ci_u32_e64 v220, null, v231, v159, vcc_lo
	global_load_u16 v31, v[217:218], off
	global_load_u16 v218, v[219:220], off
	v_mov_b32_e32 v220, v222
	v_dual_mov_b32 v222, v223 :: v_dual_mov_b32 v223, v221
	v_mov_b32_e32 v221, v202
	s_wait_loadcnt 0x1
	v_lshlrev_b32_e32 v217, 16, v31
	s_wait_loadcnt 0x0
	v_lshlrev_b32_e32 v31, 16, v218
.LBB199_208:                            ;   in Loop: Header=BB199_145 Depth=1
	s_wait_alu 0xfffe
	s_or_b32 exec_lo, exec_lo, s8
	v_add_co_u32 v218, vcc_lo, v160, 30
	s_wait_alu 0xfffd
	v_add_co_ci_u32_e64 v219, null, 0, v161, vcc_lo
	s_mov_b32 s8, exec_lo
	v_cmpx_gt_i64_e64 s[4:5], v[218:219]
	s_cbranch_execz .LBB199_210
; %bb.209:                              ;   in Loop: Header=BB199_145 Depth=1
	v_add_co_u32 v218, vcc_lo, v228, v158
	s_wait_alu 0xfffd
	v_add_co_ci_u32_e64 v219, null, v229, v159, vcc_lo
	v_mov_b32_e32 v202, v221
	v_mov_b32_e32 v216, v220
	v_add_co_u32 v220, vcc_lo, v226, v158
	s_wait_alu 0xfffd
	v_add_co_ci_u32_e64 v221, null, v227, v159, vcc_lo
	global_load_u16 v32, v[218:219], off
	global_load_u16 v218, v[220:221], off
	v_dual_mov_b32 v221, v202 :: v_dual_mov_b32 v220, v216
	s_wait_loadcnt 0x1
	v_lshlrev_b32_e32 v216, 16, v32
	s_wait_loadcnt 0x0
	v_lshlrev_b32_e32 v32, 16, v218
.LBB199_210:                            ;   in Loop: Header=BB199_145 Depth=1
	s_wait_alu 0xfffe
	s_or_b32 exec_lo, exec_lo, s8
	v_add_co_u32 v218, vcc_lo, v160, 31
	s_wait_alu 0xfffd
	v_add_co_ci_u32_e64 v219, null, 0, v161, vcc_lo
	s_delay_alu instid0(VALU_DEP_1)
	v_cmp_gt_i64_e32 vcc_lo, s[4:5], v[218:219]
	v_mov_b32_e32 v218, 0
	s_and_saveexec_b32 s8, vcc_lo
	s_cbranch_execz .LBB199_212
; %bb.211:                              ;   in Loop: Header=BB199_145 Depth=1
	v_dual_mov_b32 v202, v167 :: v_dual_mov_b32 v167, v166
	v_dual_mov_b32 v166, v165 :: v_dual_mov_b32 v165, v164
	v_mov_b32_e32 v164, v200
	v_dual_mov_b32 v200, v199 :: v_dual_mov_b32 v199, v198
	v_dual_mov_b32 v198, v197 :: v_dual_mov_b32 v197, v196
	;; [unrolled: 1-line block ×17, first 2 shown]
	v_mov_b32_e32 v0, v162
	v_dual_mov_b32 v162, v255 :: v_dual_mov_b32 v255, v254
	v_dual_mov_b32 v254, v253 :: v_dual_mov_b32 v253, v252
	;; [unrolled: 1-line block ×15, first 2 shown]
	v_add_co_u32 v218, vcc_lo, v224, v158
	v_mov_b32_e32 v214, v156
	v_dual_mov_b32 v156, v155 :: v_dual_mov_b32 v227, v226
	v_dual_mov_b32 v226, v225 :: v_dual_mov_b32 v155, v154
	v_mov_b32_e32 v154, v153
	s_wait_alu 0xfffd
	v_add_co_ci_u32_e64 v219, null, v225, v159, vcc_lo
	v_dual_mov_b32 v225, v224 :: v_dual_mov_b32 v224, v220
	v_dual_mov_b32 v153, v152 :: v_dual_mov_b32 v152, v151
	v_dual_mov_b32 v151, v150 :: v_dual_mov_b32 v150, v149
	v_dual_mov_b32 v149, v148 :: v_dual_mov_b32 v148, v147
	v_dual_mov_b32 v147, v146 :: v_dual_mov_b32 v146, v145
	v_dual_mov_b32 v145, v144 :: v_dual_mov_b32 v144, v143
	v_dual_mov_b32 v143, v142 :: v_dual_mov_b32 v142, v141
	v_dual_mov_b32 v141, v140 :: v_dual_mov_b32 v140, v139
	v_dual_mov_b32 v139, v138 :: v_dual_mov_b32 v138, v137
	v_dual_mov_b32 v137, v136 :: v_dual_mov_b32 v136, v135
	v_dual_mov_b32 v135, v134 :: v_dual_mov_b32 v134, v133
	v_dual_mov_b32 v133, v132 :: v_dual_mov_b32 v132, v131
	v_dual_mov_b32 v131, v130 :: v_dual_mov_b32 v130, v129
	v_dual_mov_b32 v129, v128 :: v_dual_mov_b32 v128, v127
	v_dual_mov_b32 v127, v126 :: v_dual_mov_b32 v126, v125
	v_dual_mov_b32 v125, v124 :: v_dual_mov_b32 v124, v123
	v_dual_mov_b32 v123, v122 :: v_dual_mov_b32 v122, v121
	v_dual_mov_b32 v121, v120 :: v_dual_mov_b32 v120, v119
	v_dual_mov_b32 v119, v118 :: v_dual_mov_b32 v118, v117
	v_dual_mov_b32 v117, v116 :: v_dual_mov_b32 v116, v115
	v_dual_mov_b32 v115, v114 :: v_dual_mov_b32 v114, v113
	v_dual_mov_b32 v113, v112 :: v_dual_mov_b32 v112, v111
	v_dual_mov_b32 v104, v103 :: v_dual_mov_b32 v111, v110
	v_dual_mov_b32 v110, v109 :: v_dual_mov_b32 v103, v102
	v_dual_mov_b32 v102, v101 :: v_dual_mov_b32 v109, v108
	v_dual_mov_b32 v108, v107 :: v_dual_mov_b32 v101, v100
	v_dual_mov_b32 v100, v99 :: v_dual_mov_b32 v107, v106
	v_dual_mov_b32 v106, v212 :: v_dual_mov_b32 v99, v98
	v_dual_mov_b32 v213, v35 :: v_dual_mov_b32 v98, v97
	v_dual_mov_b32 v212, v34 :: v_dual_mov_b32 v97, v96
	v_mov_b32_e32 v96, v95
	v_dual_mov_b32 v95, v94 :: v_dual_mov_b32 v94, v93
	v_dual_mov_b32 v93, v92 :: v_dual_mov_b32 v92, v91
	;; [unrolled: 1-line block ×25, first 2 shown]
	v_add_co_u32 v220, vcc_lo, v222, v158
	v_dual_mov_b32 v34, v211 :: v_dual_mov_b32 v211, v210
	v_dual_mov_b32 v45, v44 :: v_dual_mov_b32 v44, v43
	;; [unrolled: 1-line block ×7, first 2 shown]
	s_wait_alu 0xfffd
	v_add_co_ci_u32_e64 v221, null, v223, v159, vcc_lo
	global_load_u16 v33, v[218:219], off
	global_load_u16 v219, v[220:221], off
	v_mov_b32_e32 v39, v38
	v_mov_b32_e32 v221, v205
	v_dual_mov_b32 v205, v206 :: v_dual_mov_b32 v206, v201
	s_delay_alu instid0(VALU_DEP_3)
	v_dual_mov_b32 v201, v208 :: v_dual_mov_b32 v38, v39
	v_dual_mov_b32 v208, v209 :: v_dual_mov_b32 v39, v40
	;; [unrolled: 1-line block ×4, first 2 shown]
	v_mov_b32_e32 v42, v43
	v_dual_mov_b32 v43, v44 :: v_dual_mov_b32 v44, v45
	v_dual_mov_b32 v45, v46 :: v_dual_mov_b32 v46, v47
	;; [unrolled: 1-line block ×27, first 2 shown]
	v_mov_b32_e32 v211, v34
	v_dual_mov_b32 v97, v98 :: v_dual_mov_b32 v98, v99
	v_dual_mov_b32 v34, v212 :: v_dual_mov_b32 v99, v100
	v_dual_mov_b32 v100, v101 :: v_dual_mov_b32 v35, v213
	v_mov_b32_e32 v212, v106
	v_dual_mov_b32 v106, v107 :: v_dual_mov_b32 v101, v102
	v_dual_mov_b32 v102, v103 :: v_dual_mov_b32 v107, v108
	v_mov_b32_e32 v108, v109
	v_dual_mov_b32 v109, v110 :: v_dual_mov_b32 v110, v111
	v_dual_mov_b32 v111, v112 :: v_dual_mov_b32 v112, v113
	;; [unrolled: 1-line block ×22, first 2 shown]
	v_mov_b32_e32 v220, v224
	v_dual_mov_b32 v224, v225 :: v_dual_mov_b32 v225, v226
	v_dual_mov_b32 v153, v154 :: v_dual_mov_b32 v154, v155
	;; [unrolled: 1-line block ×4, first 2 shown]
	v_mov_b32_e32 v103, v104
	v_dual_mov_b32 v157, v215 :: v_dual_mov_b32 v228, v229
	v_dual_mov_b32 v229, v230 :: v_dual_mov_b32 v230, v231
	;; [unrolled: 1-line block ×32, first 2 shown]
	v_mov_b32_e32 v200, v164
	v_dual_mov_b32 v164, v165 :: v_dual_mov_b32 v165, v166
	v_dual_mov_b32 v166, v167 :: v_dual_mov_b32 v167, v202
	s_wait_loadcnt 0x1
	v_lshlrev_b32_e32 v218, 16, v33
	s_wait_loadcnt 0x0
	v_lshlrev_b32_e32 v33, 16, v219
.LBB199_212:                            ;   in Loop: Header=BB199_145 Depth=1
	s_wait_alu 0xfffe
	s_or_b32 exec_lo, exec_lo, s8
	scratch_load_b32 v202, off, off offset:228 th:TH_LOAD_LU ; 4-byte Folded Reload
	v_mul_f32_e32 v22, v206, v22
	v_mul_f32_e32 v26, v210, v26
	s_mov_b32 s8, 0
	v_dual_mul_f32 v19, v207, v19 :: v_dual_mul_f32 v20, v205, v20
	v_dual_mul_f32 v23, v209, v23 :: v_dual_mul_f32 v24, v208, v24
	;; [unrolled: 1-line block ×3, first 2 shown]
	v_mul_f32_e32 v27, v37, v27
	v_dual_mul_f32 v30, v105, v30 :: v_dual_mul_f32 v29, v36, v29
	v_dual_mul_f32 v32, v216, v32 :: v_dual_mul_f32 v31, v217, v31
	s_wait_loadcnt 0x0
	v_mul_f32_e32 v2, v202, v2
	scratch_load_b32 v202, off, off offset:236 th:TH_LOAD_LU ; 4-byte Folded Reload
	s_wait_loadcnt 0x0
	v_mul_f32_e32 v3, v202, v3
	scratch_load_b32 v202, off, off offset:232 th:TH_LOAD_LU ; 4-byte Folded Reload
	s_wait_loadcnt 0x0
	v_mul_f32_e32 v4, v202, v4
	scratch_load_b32 v202, off, off offset:244 th:TH_LOAD_LU ; 4-byte Folded Reload
	s_wait_loadcnt 0x0
	v_mul_f32_e32 v5, v202, v5
	scratch_load_b32 v202, off, off offset:240 th:TH_LOAD_LU ; 4-byte Folded Reload
	s_wait_loadcnt 0x0
	v_mul_f32_e32 v6, v202, v6
	scratch_load_b32 v202, off, off offset:252 th:TH_LOAD_LU ; 4-byte Folded Reload
	s_wait_loadcnt 0x0
	v_mul_f32_e32 v7, v202, v7
	scratch_load_b32 v202, off, off offset:248 th:TH_LOAD_LU ; 4-byte Folded Reload
	s_wait_loadcnt 0x0
	v_mul_f32_e32 v8, v202, v8
	scratch_load_b32 v202, off, off offset:260 th:TH_LOAD_LU ; 4-byte Folded Reload
	s_wait_loadcnt 0x0
	v_mul_f32_e32 v9, v202, v9
	scratch_load_b32 v202, off, off offset:256 th:TH_LOAD_LU ; 4-byte Folded Reload
	s_wait_loadcnt 0x0
	v_mul_f32_e32 v10, v202, v10
	scratch_load_b32 v202, off, off offset:268 th:TH_LOAD_LU ; 4-byte Folded Reload
	s_wait_loadcnt 0x0
	v_mul_f32_e32 v11, v202, v11
	scratch_load_b32 v202, off, off offset:264 th:TH_LOAD_LU ; 4-byte Folded Reload
	s_wait_loadcnt 0x0
	v_mul_f32_e32 v12, v202, v12
	scratch_load_b32 v202, off, off offset:276 th:TH_LOAD_LU ; 4-byte Folded Reload
	s_wait_loadcnt 0x0
	v_mul_f32_e32 v13, v202, v13
	scratch_load_b32 v202, off, off offset:272 th:TH_LOAD_LU ; 4-byte Folded Reload
	s_wait_loadcnt 0x0
	v_mul_f32_e32 v14, v202, v14
	scratch_load_b32 v202, off, off offset:284 th:TH_LOAD_LU ; 4-byte Folded Reload
	s_wait_loadcnt 0x0
	v_mul_f32_e32 v15, v202, v15
	scratch_load_b32 v202, off, off offset:280 th:TH_LOAD_LU ; 4-byte Folded Reload
	s_wait_loadcnt 0x0
	v_mul_f32_e32 v16, v202, v16
	scratch_load_b32 v202, off, off offset:292 th:TH_LOAD_LU ; 4-byte Folded Reload
	s_wait_loadcnt 0x0
	v_mul_f32_e32 v17, v202, v17
	scratch_load_b32 v202, off, off offset:288 th:TH_LOAD_LU ; 4-byte Folded Reload
	s_wait_loadcnt 0x0
	v_mul_f32_e32 v18, v202, v18
	scratch_load_b32 v202, off, off offset:296 th:TH_LOAD_LU ; 4-byte Folded Reload
	s_wait_loadcnt 0x0
	v_mul_f32_e32 v21, v202, v21
	ds_bpermute_b32 v202, v1, v203
	s_wait_dscnt 0x0
	v_fma_f32 v202, v2, v202, v204
	ds_bpermute_b32 v2, v1, v203 offset:4
	s_wait_dscnt 0x0
	v_fmac_f32_e32 v202, v3, v2
	ds_bpermute_b32 v2, v1, v203 offset:8
	ds_bpermute_b32 v3, v1, v203 offset:104
	s_wait_dscnt 0x1
	v_fmac_f32_e32 v202, v4, v2
	ds_bpermute_b32 v2, v1, v203 offset:12
	;; [unrolled: 4-line block ×4, first 2 shown]
	s_wait_dscnt 0x0
	v_fmac_f32_e32 v202, v7, v2
	ds_bpermute_b32 v2, v1, v203 offset:24
	s_wait_dscnt 0x0
	v_dual_mul_f32 v33, v218, v33 :: v_dual_fmac_f32 v202, v8, v2
	ds_bpermute_b32 v2, v1, v203 offset:28
	s_wait_dscnt 0x0
	v_fmac_f32_e32 v202, v9, v2
	ds_bpermute_b32 v2, v1, v203 offset:32
	s_wait_dscnt 0x0
	v_fmac_f32_e32 v202, v10, v2
	;; [unrolled: 3-line block ×19, first 2 shown]
	ds_bpermute_b32 v2, v1, v203 offset:108
	v_fmac_f32_e32 v202, v28, v3
	ds_bpermute_b32 v3, v1, v203 offset:116
	s_wait_dscnt 0x1
	v_fmac_f32_e32 v202, v29, v2
	ds_bpermute_b32 v2, v1, v203 offset:124
	v_fmac_f32_e32 v202, v30, v4
	s_wait_dscnt 0x1
	s_delay_alu instid0(VALU_DEP_1) | instskip(NEXT) | instid1(VALU_DEP_1)
	v_fmac_f32_e32 v202, v31, v3
	v_fmac_f32_e32 v202, v32, v5
	s_wait_dscnt 0x0
	s_delay_alu instid0(VALU_DEP_1)
	v_fmac_f32_e32 v202, v33, v2
.LBB199_213:                            ;   in Loop: Header=BB199_145 Depth=1
	s_wait_alu 0xfffe
	s_and_b32 vcc_lo, exec_lo, s8
	s_wait_alu 0xfffe
	s_cbranch_vccz .LBB199_217
; %bb.214:                              ;   in Loop: Header=BB199_145 Depth=1
	s_load_b32 s8, s[16:17], 0x0
	v_mov_b32_e32 v4, 0
	s_wait_kmcnt 0x0
	s_cmp_lt_u32 ttmp9, s8
	s_cselect_b32 s8, 12, 18
	s_wait_alu 0xfffe
	s_add_nc_u64 s[24:25], s[16:17], s[8:9]
	s_load_u16 s8, s[24:25], 0x0
	s_clause 0x1
	scratch_load_b32 v2, off, off offset:300
	scratch_load_b32 v3, off, off offset:304
	s_wait_loadcnt 0x0
	s_wait_kmcnt 0x0
	v_mad_u32_u24 v2, v2, s8, v3
	s_mov_b32 s8, exec_lo
	s_delay_alu instid0(VALU_DEP_1) | instskip(NEXT) | instid1(VALU_DEP_1)
	v_and_b32_e32 v2, 31, v2
	v_add_co_u32 v2, vcc_lo, v160, v2
	s_wait_alu 0xfffd
	v_add_co_ci_u32_e64 v3, null, 0, v161, vcc_lo
	s_delay_alu instid0(VALU_DEP_1)
	v_cmpx_gt_i64_e64 s[4:5], v[2:3]
	s_cbranch_execz .LBB199_216
; %bb.215:                              ;   in Loop: Header=BB199_145 Depth=1
	v_lshlrev_b64_e32 v[2:3], 2, v[2:3]
	s_delay_alu instid0(VALU_DEP_1) | instskip(SKIP_1) | instid1(VALU_DEP_2)
	v_add_co_u32 v2, vcc_lo, s12, v2
	s_wait_alu 0xfffd
	v_add_co_ci_u32_e64 v3, null, s13, v3, vcc_lo
	global_load_b32 v4, v[2:3], off
.LBB199_216:                            ;   in Loop: Header=BB199_145 Depth=1
	s_wait_alu 0xfffe
	s_or_b32 exec_lo, exec_lo, s8
	v_add_co_u32 v2, vcc_lo, v164, v158
	s_wait_alu 0xfffd
	v_add_co_ci_u32_e64 v3, null, v165, v159, vcc_lo
	global_load_u16 v5, v[2:3], off
	v_add_co_u32 v2, vcc_lo, v166, v158
	s_wait_alu 0xfffd
	v_add_co_ci_u32_e64 v3, null, v167, v159, vcc_lo
	global_load_u16 v2, v[2:3], off
	s_wait_loadcnt 0x1
	v_lshlrev_b32_e32 v3, 16, v5
	s_wait_loadcnt 0x0
	v_lshlrev_b32_e32 v2, 16, v2
	s_delay_alu instid0(VALU_DEP_1)
	v_mul_f32_e32 v2, v3, v2
	ds_bpermute_b32 v3, v1, v4
	s_wait_dscnt 0x0
	v_fmac_f32_e32 v204, v2, v3
	scratch_load_b64 v[2:3], off, off       ; 8-byte Folded Reload
	s_wait_loadcnt 0x0
	v_add_co_u32 v2, vcc_lo, v2, v158
	s_wait_alu 0xfffd
	v_add_co_ci_u32_e64 v3, null, v3, v159, vcc_lo
	global_load_u16 v5, v[2:3], off
	v_add_co_u32 v2, vcc_lo, v42, v158
	s_wait_alu 0xfffd
	v_add_co_ci_u32_e64 v3, null, v43, v159, vcc_lo
	global_load_u16 v2, v[2:3], off
	s_wait_loadcnt 0x1
	v_lshlrev_b32_e32 v3, 16, v5
	s_wait_loadcnt 0x0
	v_lshlrev_b32_e32 v2, 16, v2
	s_delay_alu instid0(VALU_DEP_1)
	v_mul_f32_e32 v2, v3, v2
	ds_bpermute_b32 v3, v1, v4 offset:4
	s_wait_dscnt 0x0
	v_fmac_f32_e32 v204, v2, v3
	scratch_load_b64 v[2:3], off, off offset:8 ; 8-byte Folded Reload
	s_wait_loadcnt 0x0
	v_add_co_u32 v2, vcc_lo, v2, v158
	s_wait_alu 0xfffd
	v_add_co_ci_u32_e64 v3, null, v3, v159, vcc_lo
	global_load_u16 v5, v[2:3], off
	v_add_co_u32 v2, vcc_lo, v46, v158
	s_wait_alu 0xfffd
	v_add_co_ci_u32_e64 v3, null, v47, v159, vcc_lo
	global_load_u16 v2, v[2:3], off
	s_wait_loadcnt 0x1
	v_lshlrev_b32_e32 v3, 16, v5
	s_wait_loadcnt 0x0
	v_lshlrev_b32_e32 v2, 16, v2
	s_delay_alu instid0(VALU_DEP_1)
	v_mul_f32_e32 v2, v3, v2
	ds_bpermute_b32 v3, v1, v4 offset:8
	s_wait_dscnt 0x0
	v_fmac_f32_e32 v204, v2, v3
	v_add_co_u32 v2, vcc_lo, v38, v158
	s_wait_alu 0xfffd
	v_add_co_ci_u32_e64 v3, null, v39, v159, vcc_lo
	global_load_u16 v5, v[2:3], off
	v_add_co_u32 v2, vcc_lo, v48, v158
	s_wait_alu 0xfffd
	v_add_co_ci_u32_e64 v3, null, v49, v159, vcc_lo
	global_load_u16 v2, v[2:3], off
	s_wait_loadcnt 0x1
	v_lshlrev_b32_e32 v3, 16, v5
	s_wait_loadcnt 0x0
	v_lshlrev_b32_e32 v2, 16, v2
	s_delay_alu instid0(VALU_DEP_1)
	v_mul_f32_e32 v2, v3, v2
	ds_bpermute_b32 v3, v1, v4 offset:12
	s_wait_dscnt 0x0
	v_fmac_f32_e32 v204, v2, v3
	;; [unrolled: 17-line block ×29, first 2 shown]
	v_add_co_u32 v2, vcc_lo, v156, v158
	s_wait_alu 0xfffd
	v_add_co_ci_u32_e64 v3, null, v157, v159, vcc_lo
	global_load_u16 v5, v[2:3], off
	v_add_co_u32 v2, vcc_lo, v154, v158
	s_wait_alu 0xfffd
	v_add_co_ci_u32_e64 v3, null, v155, v159, vcc_lo
	global_load_u16 v2, v[2:3], off
	s_wait_loadcnt 0x1
	v_lshlrev_b32_e32 v3, 16, v5
	s_wait_loadcnt 0x0
	v_lshlrev_b32_e32 v2, 16, v2
	s_delay_alu instid0(VALU_DEP_1) | instskip(SKIP_3) | instid1(VALU_DEP_1)
	v_mul_f32_e32 v2, v2, v3
	ds_bpermute_b32 v3, v1, v4 offset:124
	s_wait_dscnt 0x0
	v_fmac_f32_e32 v204, v2, v3
	v_mov_b32_e32 v202, v204
.LBB199_217:                            ;   in Loop: Header=BB199_145 Depth=1
	scratch_load_b64 v[2:3], off, off th:TH_LOAD_LU ; 8-byte Folded Reload
	v_add_co_u32 v164, vcc_lo, v164, s18
	s_wait_alu 0xfffd
	v_add_co_ci_u32_e64 v165, null, s19, v165, vcc_lo
	v_add_co_u32 v166, vcc_lo, v166, s18
	s_wait_alu 0xfffd
	v_add_co_ci_u32_e64 v167, null, s19, v167, vcc_lo
	s_add_nc_u64 s[22:23], s[22:23], s[10:11]
	s_add_nc_u64 s[20:21], s[20:21], s[10:11]
	s_wait_alu 0xfffe
	v_cmp_ge_i64_e64 s8, s[22:23], s[4:5]
	s_wait_loadcnt 0x0
	v_add_co_u32 v2, vcc_lo, v2, s18
	s_wait_alu 0xfffd
	v_add_co_ci_u32_e64 v3, null, s19, v3, vcc_lo
	scratch_store_b64 off, v[2:3], off      ; 8-byte Folded Spill
	scratch_load_b64 v[2:3], off, off offset:8 th:TH_LOAD_LU ; 8-byte Folded Reload
	s_wait_loadcnt 0x0
	v_add_co_u32 v2, vcc_lo, v2, s18
	s_wait_alu 0xfffd
	v_add_co_ci_u32_e64 v3, null, s19, v3, vcc_lo
	v_add_co_u32 v38, vcc_lo, v38, s18
	s_wait_alu 0xfffd
	v_add_co_ci_u32_e64 v39, null, s19, v39, vcc_lo
	scratch_store_b64 off, v[2:3], off offset:8 ; 8-byte Folded Spill
	scratch_load_b32 v2, off, off offset:16 ; 4-byte Folded Reload
	v_add_co_u32 v40, vcc_lo, v40, s18
	s_wait_alu 0xfffd
	v_add_co_ci_u32_e64 v41, null, s19, v41, vcc_lo
	v_add_co_u32 v44, vcc_lo, v44, s18
	s_wait_alu 0xfffd
	v_add_co_ci_u32_e64 v45, null, s19, v45, vcc_lo
	v_add_co_u32 v52, vcc_lo, v52, s18
	s_wait_alu 0xfffd
	v_add_co_ci_u32_e64 v53, null, s19, v53, vcc_lo
	v_add_co_u32 v58, vcc_lo, v58, s18
	s_wait_alu 0xfffd
	v_add_co_ci_u32_e64 v59, null, s19, v59, vcc_lo
	v_add_co_u32 v62, vcc_lo, v62, s18
	s_wait_alu 0xfffd
	v_add_co_ci_u32_e64 v63, null, s19, v63, vcc_lo
	v_add_co_u32 v66, vcc_lo, v66, s18
	s_wait_alu 0xfffd
	v_add_co_ci_u32_e64 v67, null, s19, v67, vcc_lo
	v_add_co_u32 v70, vcc_lo, v70, s18
	s_wait_alu 0xfffd
	v_add_co_ci_u32_e64 v71, null, s19, v71, vcc_lo
	v_add_co_u32 v74, vcc_lo, v74, s18
	s_wait_alu 0xfffd
	v_add_co_ci_u32_e64 v75, null, s19, v75, vcc_lo
	v_add_co_u32 v78, vcc_lo, v78, s18
	s_wait_alu 0xfffd
	v_add_co_ci_u32_e64 v79, null, s19, v79, vcc_lo
	v_add_co_u32 v82, vcc_lo, v82, s18
	s_wait_alu 0xfffd
	v_add_co_ci_u32_e64 v83, null, s19, v83, vcc_lo
	v_add_co_u32 v86, vcc_lo, v86, s18
	s_wait_alu 0xfffd
	v_add_co_ci_u32_e64 v87, null, s19, v87, vcc_lo
	v_add_co_u32 v90, vcc_lo, v90, s18
	s_wait_alu 0xfffd
	v_add_co_ci_u32_e64 v91, null, s19, v91, vcc_lo
	v_add_co_u32 v94, vcc_lo, v94, s18
	s_wait_alu 0xfffd
	v_add_co_ci_u32_e64 v95, null, s19, v95, vcc_lo
	v_add_co_u32 v98, vcc_lo, v98, s18
	s_wait_alu 0xfffd
	v_add_co_ci_u32_e64 v99, null, s19, v99, vcc_lo
	v_add_co_u32 v102, vcc_lo, v102, s18
	s_wait_alu 0xfffd
	v_add_co_ci_u32_e64 v103, null, s19, v103, vcc_lo
	v_add_co_u32 v106, vcc_lo, v106, s18
	s_wait_alu 0xfffd
	v_add_co_ci_u32_e64 v107, null, s19, v107, vcc_lo
	v_add_co_u32 v110, vcc_lo, v110, s18
	s_wait_alu 0xfffd
	v_add_co_ci_u32_e64 v111, null, s19, v111, vcc_lo
	v_add_co_u32 v114, vcc_lo, v114, s18
	s_wait_alu 0xfffd
	v_add_co_ci_u32_e64 v115, null, s19, v115, vcc_lo
	v_add_co_u32 v118, vcc_lo, v118, s18
	s_wait_alu 0xfffd
	v_add_co_ci_u32_e64 v119, null, s19, v119, vcc_lo
	v_add_co_u32 v122, vcc_lo, v122, s18
	s_wait_alu 0xfffd
	v_add_co_ci_u32_e64 v123, null, s19, v123, vcc_lo
	v_add_co_u32 v126, vcc_lo, v126, s18
	s_wait_alu 0xfffd
	v_add_co_ci_u32_e64 v127, null, s19, v127, vcc_lo
	v_add_co_u32 v130, vcc_lo, v130, s18
	s_wait_alu 0xfffd
	v_add_co_ci_u32_e64 v131, null, s19, v131, vcc_lo
	v_add_co_u32 v134, vcc_lo, v134, s18
	s_wait_alu 0xfffd
	v_add_co_ci_u32_e64 v135, null, s19, v135, vcc_lo
	v_add_co_u32 v138, vcc_lo, v138, s18
	s_wait_alu 0xfffd
	v_add_co_ci_u32_e64 v139, null, s19, v139, vcc_lo
	v_add_co_u32 v142, vcc_lo, v142, s18
	s_wait_alu 0xfffd
	v_add_co_ci_u32_e64 v143, null, s19, v143, vcc_lo
	v_add_co_u32 v146, vcc_lo, v146, s18
	s_wait_alu 0xfffd
	v_add_co_ci_u32_e64 v147, null, s19, v147, vcc_lo
	v_add_co_u32 v150, vcc_lo, v150, s18
	s_wait_alu 0xfffd
	v_add_co_ci_u32_e64 v151, null, s19, v151, vcc_lo
	v_add_co_u32 v154, vcc_lo, v154, s18
	s_wait_alu 0xfffd
	v_add_co_ci_u32_e64 v155, null, s19, v155, vcc_lo
	v_add_co_u32 v42, vcc_lo, v42, s18
	s_wait_alu 0xfffd
	v_add_co_ci_u32_e64 v43, null, s19, v43, vcc_lo
	v_add_co_u32 v46, vcc_lo, v46, s18
	s_wait_alu 0xfffd
	v_add_co_ci_u32_e64 v47, null, s19, v47, vcc_lo
	v_add_co_u32 v48, vcc_lo, v48, s18
	s_wait_alu 0xfffd
	v_add_co_ci_u32_e64 v49, null, s19, v49, vcc_lo
	v_add_co_u32 v50, vcc_lo, v50, s18
	s_wait_alu 0xfffd
	v_add_co_ci_u32_e64 v51, null, s19, v51, vcc_lo
	v_add_co_u32 v54, vcc_lo, v54, s18
	s_wait_alu 0xfffd
	v_add_co_ci_u32_e64 v55, null, s19, v55, vcc_lo
	v_add_co_u32 v56, vcc_lo, v56, s18
	s_wait_alu 0xfffd
	v_add_co_ci_u32_e64 v57, null, s19, v57, vcc_lo
	v_add_co_u32 v60, vcc_lo, v60, s18
	s_wait_alu 0xfffd
	v_add_co_ci_u32_e64 v61, null, s19, v61, vcc_lo
	v_add_co_u32 v64, vcc_lo, v64, s18
	s_wait_alu 0xfffd
	v_add_co_ci_u32_e64 v65, null, s19, v65, vcc_lo
	v_add_co_u32 v68, vcc_lo, v68, s18
	s_wait_alu 0xfffd
	v_add_co_ci_u32_e64 v69, null, s19, v69, vcc_lo
	v_add_co_u32 v72, vcc_lo, v72, s18
	s_wait_alu 0xfffd
	v_add_co_ci_u32_e64 v73, null, s19, v73, vcc_lo
	v_add_co_u32 v76, vcc_lo, v76, s18
	s_wait_alu 0xfffd
	v_add_co_ci_u32_e64 v77, null, s19, v77, vcc_lo
	v_add_co_u32 v80, vcc_lo, v80, s18
	s_wait_alu 0xfffd
	v_add_co_ci_u32_e64 v81, null, s19, v81, vcc_lo
	v_add_co_u32 v84, vcc_lo, v84, s18
	s_wait_alu 0xfffd
	v_add_co_ci_u32_e64 v85, null, s19, v85, vcc_lo
	v_add_co_u32 v88, vcc_lo, v88, s18
	s_wait_alu 0xfffd
	v_add_co_ci_u32_e64 v89, null, s19, v89, vcc_lo
	v_add_co_u32 v92, vcc_lo, v92, s18
	s_wait_alu 0xfffd
	v_add_co_ci_u32_e64 v93, null, s19, v93, vcc_lo
	v_add_co_u32 v96, vcc_lo, v96, s18
	s_wait_alu 0xfffd
	v_add_co_ci_u32_e64 v97, null, s19, v97, vcc_lo
	v_add_co_u32 v100, vcc_lo, v100, s18
	s_wait_alu 0xfffd
	v_add_co_ci_u32_e64 v101, null, s19, v101, vcc_lo
	v_add_co_u32 v34, vcc_lo, v34, s18
	s_wait_alu 0xfffd
	v_add_co_ci_u32_e64 v35, null, s19, v35, vcc_lo
	v_add_co_u32 v108, vcc_lo, v108, s18
	s_wait_alu 0xfffd
	v_add_co_ci_u32_e64 v109, null, s19, v109, vcc_lo
	v_add_co_u32 v112, vcc_lo, v112, s18
	s_wait_alu 0xfffd
	v_add_co_ci_u32_e64 v113, null, s19, v113, vcc_lo
	v_add_co_u32 v116, vcc_lo, v116, s18
	s_wait_alu 0xfffd
	v_add_co_ci_u32_e64 v117, null, s19, v117, vcc_lo
	v_add_co_u32 v120, vcc_lo, v120, s18
	s_wait_alu 0xfffd
	v_add_co_ci_u32_e64 v121, null, s19, v121, vcc_lo
	v_add_co_u32 v124, vcc_lo, v124, s18
	s_wait_alu 0xfffd
	v_add_co_ci_u32_e64 v125, null, s19, v125, vcc_lo
	v_add_co_u32 v128, vcc_lo, v128, s18
	s_wait_alu 0xfffd
	v_add_co_ci_u32_e64 v129, null, s19, v129, vcc_lo
	v_add_co_u32 v132, vcc_lo, v132, s18
	s_wait_alu 0xfffd
	v_add_co_ci_u32_e64 v133, null, s19, v133, vcc_lo
	v_add_co_u32 v136, vcc_lo, v136, s18
	s_wait_alu 0xfffd
	v_add_co_ci_u32_e64 v137, null, s19, v137, vcc_lo
	v_add_co_u32 v140, vcc_lo, v140, s18
	s_wait_alu 0xfffd
	v_add_co_ci_u32_e64 v141, null, s19, v141, vcc_lo
	v_add_co_u32 v144, vcc_lo, v144, s18
	s_wait_alu 0xfffd
	v_add_co_ci_u32_e64 v145, null, s19, v145, vcc_lo
	v_add_co_u32 v148, vcc_lo, v148, s18
	s_wait_alu 0xfffd
	v_add_co_ci_u32_e64 v149, null, s19, v149, vcc_lo
	v_add_co_u32 v152, vcc_lo, v152, s18
	s_wait_alu 0xfffd
	v_add_co_ci_u32_e64 v153, null, s19, v153, vcc_lo
	v_add_co_u32 v156, vcc_lo, v156, s18
	s_wait_alu 0xfffd
	v_add_co_ci_u32_e64 v157, null, s19, v157, vcc_lo
	v_add_co_u32 v220, vcc_lo, v220, s10
	s_wait_alu 0xfffd
	v_add_co_ci_u32_e64 v201, null, 0, v201, vcc_lo
	v_add_co_u32 v222, vcc_lo, v222, s18
	s_wait_alu 0xfffd
	v_add_co_ci_u32_e64 v223, null, s19, v223, vcc_lo
	v_add_co_u32 v224, vcc_lo, v224, s18
	s_wait_alu 0xfffd
	v_add_co_ci_u32_e64 v225, null, s19, v225, vcc_lo
	v_add_co_u32 v226, vcc_lo, v226, s18
	s_wait_alu 0xfffd
	v_add_co_ci_u32_e64 v227, null, s19, v227, vcc_lo
	v_add_co_u32 v228, vcc_lo, v228, s18
	s_wait_alu 0xfffd
	v_add_co_ci_u32_e64 v229, null, s19, v229, vcc_lo
	v_add_co_u32 v230, vcc_lo, v230, s18
	s_wait_alu 0xfffd
	v_add_co_ci_u32_e64 v231, null, s19, v231, vcc_lo
	v_add_co_u32 v232, vcc_lo, v232, s18
	s_wait_alu 0xfffd
	v_add_co_ci_u32_e64 v233, null, s19, v233, vcc_lo
	v_add_co_u32 v234, vcc_lo, v234, s18
	s_wait_alu 0xfffd
	v_add_co_ci_u32_e64 v235, null, s19, v235, vcc_lo
	v_add_co_u32 v236, vcc_lo, v236, s18
	s_wait_alu 0xfffd
	v_add_co_ci_u32_e64 v237, null, s19, v237, vcc_lo
	v_add_co_u32 v238, vcc_lo, v238, s18
	s_wait_alu 0xfffd
	v_add_co_ci_u32_e64 v239, null, s19, v239, vcc_lo
	v_add_co_u32 v240, vcc_lo, v240, s18
	s_wait_alu 0xfffd
	v_add_co_ci_u32_e64 v241, null, s19, v241, vcc_lo
	v_add_co_u32 v242, vcc_lo, v242, s18
	s_wait_alu 0xfffd
	v_add_co_ci_u32_e64 v243, null, s19, v243, vcc_lo
	v_add_co_u32 v244, vcc_lo, v244, s18
	s_wait_alu 0xfffd
	v_add_co_ci_u32_e64 v245, null, s19, v245, vcc_lo
	v_add_co_u32 v246, vcc_lo, v246, s18
	s_wait_alu 0xfffd
	v_add_co_ci_u32_e64 v247, null, s19, v247, vcc_lo
	v_add_co_u32 v248, vcc_lo, v248, s18
	s_wait_alu 0xfffd
	v_add_co_ci_u32_e64 v249, null, s19, v249, vcc_lo
	v_add_co_u32 v250, vcc_lo, v250, s18
	s_wait_alu 0xfffd
	v_add_co_ci_u32_e64 v251, null, s19, v251, vcc_lo
	v_add_co_u32 v252, vcc_lo, v252, s18
	s_wait_alu 0xfffd
	v_add_co_ci_u32_e64 v253, null, s19, v253, vcc_lo
	v_add_co_u32 v254, vcc_lo, v254, s18
	s_wait_alu 0xfffd
	v_add_co_ci_u32_e64 v255, null, s19, v255, vcc_lo
	v_add_co_u32 v162, vcc_lo, v162, s18
	s_wait_alu 0xfffd
	v_add_co_ci_u32_e64 v0, null, s19, v0, vcc_lo
	v_add_co_u32 v163, vcc_lo, v163, s18
	s_wait_alu 0xfffd
	v_add_co_ci_u32_e64 v168, null, s19, v168, vcc_lo
	v_add_co_u32 v169, vcc_lo, v169, s18
	s_wait_alu 0xfffd
	v_add_co_ci_u32_e64 v170, null, s19, v170, vcc_lo
	v_add_co_u32 v171, vcc_lo, v171, s18
	s_wait_alu 0xfffd
	v_add_co_ci_u32_e64 v172, null, s19, v172, vcc_lo
	v_add_co_u32 v173, vcc_lo, v173, s18
	s_wait_alu 0xfffd
	v_add_co_ci_u32_e64 v174, null, s19, v174, vcc_lo
	v_add_co_u32 v175, vcc_lo, v175, s18
	s_wait_alu 0xfffd
	v_add_co_ci_u32_e64 v176, null, s19, v176, vcc_lo
	v_add_co_u32 v177, vcc_lo, v177, s18
	s_wait_alu 0xfffd
	v_add_co_ci_u32_e64 v178, null, s19, v178, vcc_lo
	v_add_co_u32 v179, vcc_lo, v179, s18
	s_wait_alu 0xfffd
	v_add_co_ci_u32_e64 v180, null, s19, v180, vcc_lo
	v_add_co_u32 v181, vcc_lo, v181, s18
	s_wait_alu 0xfffd
	v_add_co_ci_u32_e64 v182, null, s19, v182, vcc_lo
	v_add_co_u32 v183, vcc_lo, v183, s18
	s_wait_alu 0xfffd
	v_add_co_ci_u32_e64 v184, null, s19, v184, vcc_lo
	v_add_co_u32 v185, vcc_lo, v185, s18
	s_wait_alu 0xfffd
	v_add_co_ci_u32_e64 v186, null, s19, v186, vcc_lo
	v_add_co_u32 v187, vcc_lo, v187, s18
	s_wait_alu 0xfffd
	v_add_co_ci_u32_e64 v188, null, s19, v188, vcc_lo
	v_add_co_u32 v189, vcc_lo, v189, s18
	s_wait_alu 0xfffd
	v_add_co_ci_u32_e64 v190, null, s19, v190, vcc_lo
	v_add_co_u32 v191, vcc_lo, v191, s18
	s_wait_alu 0xfffd
	v_add_co_ci_u32_e64 v192, null, s19, v192, vcc_lo
	v_add_co_u32 v193, vcc_lo, v193, s18
	s_wait_alu 0xfffd
	v_add_co_ci_u32_e64 v194, null, s19, v194, vcc_lo
	v_add_co_u32 v195, vcc_lo, v195, s18
	s_wait_alu 0xfffd
	v_add_co_ci_u32_e64 v196, null, s19, v196, vcc_lo
	v_add_co_u32 v197, vcc_lo, v197, s18
	s_wait_alu 0xfffd
	v_add_co_ci_u32_e64 v198, null, s19, v198, vcc_lo
	v_add_co_u32 v199, vcc_lo, v199, s18
	s_wait_alu 0xfffd
	v_add_co_ci_u32_e64 v200, null, s19, v200, vcc_lo
	v_add_co_u32 v221, vcc_lo, v221, s18
	s_wait_loadcnt 0x0
	s_wait_alu 0xfffd
	v_add_co_ci_u32_e64 v2, null, s19, v2, vcc_lo
	scratch_store_b32 off, v2, off offset:16 ; 4-byte Folded Spill
	scratch_load_b32 v2, off, off offset:20 ; 4-byte Folded Reload
	s_wait_loadcnt 0x0
	v_add_co_u32 v2, vcc_lo, v2, s18
	scratch_store_b32 off, v2, off offset:20 ; 4-byte Folded Spill
	scratch_load_b32 v2, off, off offset:24 ; 4-byte Folded Reload
	s_wait_loadcnt 0x0
	s_wait_alu 0xfffd
	v_add_co_ci_u32_e64 v2, null, s19, v2, vcc_lo
	scratch_store_b32 off, v2, off offset:24 ; 4-byte Folded Spill
	scratch_load_b32 v2, off, off offset:28 ; 4-byte Folded Reload
	s_wait_loadcnt 0x0
	v_add_co_u32 v2, vcc_lo, v2, s18
	scratch_store_b32 off, v2, off offset:28 ; 4-byte Folded Spill
	scratch_load_b32 v2, off, off offset:32 ; 4-byte Folded Reload
	;; [unrolled: 9-line block ×26, first 2 shown]
	s_wait_loadcnt 0x0
	s_wait_alu 0xfffd
	v_add_co_ci_u32_e64 v2, null, s19, v2, vcc_lo
	s_and_b32 vcc_lo, exec_lo, s8
	scratch_store_b32 off, v2, off offset:224 ; 4-byte Folded Spill
	s_wait_alu 0xfffe
	s_cbranch_vccnz .LBB199_219
; %bb.218:                              ;   in Loop: Header=BB199_145 Depth=1
	v_mov_b32_e32 v204, v202
	s_branch .LBB199_145
.LBB199_219:
	scratch_load_b32 v208, off, off offset:308 ; 4-byte Folded Reload
.LBB199_220:
	s_mov_b32 s4, ttmp9
	s_mov_b32 s5, 0
	s_wait_alu 0xfffe
	s_lshl_b64 s[4:5], s[4:5], 5
	s_wait_kmcnt 0x0
	s_cmp_lg_u64 s[2:3], 0
	s_wait_loadcnt 0x0
	s_wait_alu 0xfffe
	v_and_or_b32 v1, 0x3ff, v208, s4
	v_mov_b32_e32 v2, s5
	s_cselect_b32 s4, -1, 0
	s_delay_alu instid0(VALU_DEP_1)
	v_cmp_gt_i64_e32 vcc_lo, s[6:7], v[1:2]
	s_wait_alu 0xfffe
	s_and_b32 s4, vcc_lo, s4
	s_wait_alu 0xfffe
	s_and_saveexec_b32 s5, s4
	s_cbranch_execz .LBB199_222
; %bb.221:
	s_load_u16 s0, s[0:1], 0x4e
	v_bfe_u32 v3, v208, 10, 10
	v_mov_b32_e32 v4, 0
	v_bfe_u32 v6, v202, 16, 1
	s_wait_kmcnt 0x0
	s_delay_alu instid0(VALU_DEP_2) | instskip(NEXT) | instid1(VALU_DEP_1)
	v_mad_co_u64_u32 v[3:4], null, s0, ttmp7, v[3:4]
	v_mul_lo_u32 v0, v4, s6
	s_delay_alu instid0(VALU_DEP_2) | instskip(SKIP_1) | instid1(VALU_DEP_1)
	v_mul_lo_u32 v5, v3, s7
	v_mad_co_u64_u32 v[3:4], null, v3, s6, 0
	v_add3_u32 v4, v4, v5, v0
	v_add3_u32 v5, v202, v6, 0x7fff
	v_lshlrev_b64_e32 v[0:1], 1, v[1:2]
	s_delay_alu instid0(VALU_DEP_3) | instskip(NEXT) | instid1(VALU_DEP_3)
	v_lshlrev_b64_e32 v[3:4], 1, v[3:4]
	v_lshrrev_b32_e32 v2, 16, v5
	s_delay_alu instid0(VALU_DEP_2) | instskip(SKIP_1) | instid1(VALU_DEP_3)
	v_add_co_u32 v3, vcc_lo, s2, v3
	s_wait_alu 0xfffd
	v_add_co_ci_u32_e64 v4, null, s3, v4, vcc_lo
	v_cmp_o_f32_e32 vcc_lo, v202, v202
	s_wait_alu 0xfffd
	v_cndmask_b32_e32 v2, 0x7fc0, v2, vcc_lo
	v_add_co_u32 v0, vcc_lo, v3, v0
	s_wait_alu 0xfffd
	v_add_co_ci_u32_e64 v1, null, v4, v1, vcc_lo
	global_store_b16 v[0:1], v2, off
.LBB199_222:
	s_nop 0
	s_sendmsg sendmsg(MSG_DEALLOC_VGPRS)
	s_endpgm
	.section	.rodata,"a",@progbits
	.p2align	6, 0x0
	.amdhsa_kernel _ZN2at6native12_GLOBAL__N_135GammaBetaBackwardCUDAKernelTemplateIN3c108BFloat16EfLj32ELj1ELj32ELb1ELb0ELb1EEEvllPKT_S7_PKT0_SA_PS5_SB_
		.amdhsa_group_segment_fixed_size 0
		.amdhsa_private_segment_fixed_size 316
		.amdhsa_kernarg_size 320
		.amdhsa_user_sgpr_count 2
		.amdhsa_user_sgpr_dispatch_ptr 0
		.amdhsa_user_sgpr_queue_ptr 0
		.amdhsa_user_sgpr_kernarg_segment_ptr 1
		.amdhsa_user_sgpr_dispatch_id 0
		.amdhsa_user_sgpr_private_segment_size 0
		.amdhsa_wavefront_size32 1
		.amdhsa_uses_dynamic_stack 0
		.amdhsa_enable_private_segment 1
		.amdhsa_system_sgpr_workgroup_id_x 1
		.amdhsa_system_sgpr_workgroup_id_y 1
		.amdhsa_system_sgpr_workgroup_id_z 0
		.amdhsa_system_sgpr_workgroup_info 0
		.amdhsa_system_vgpr_workitem_id 1
		.amdhsa_next_free_vgpr 256
		.amdhsa_next_free_sgpr 32
		.amdhsa_reserve_vcc 1
		.amdhsa_float_round_mode_32 0
		.amdhsa_float_round_mode_16_64 0
		.amdhsa_float_denorm_mode_32 3
		.amdhsa_float_denorm_mode_16_64 3
		.amdhsa_fp16_overflow 0
		.amdhsa_workgroup_processor_mode 1
		.amdhsa_memory_ordered 1
		.amdhsa_forward_progress 1
		.amdhsa_inst_pref_size 255
		.amdhsa_round_robin_scheduling 0
		.amdhsa_exception_fp_ieee_invalid_op 0
		.amdhsa_exception_fp_denorm_src 0
		.amdhsa_exception_fp_ieee_div_zero 0
		.amdhsa_exception_fp_ieee_overflow 0
		.amdhsa_exception_fp_ieee_underflow 0
		.amdhsa_exception_fp_ieee_inexact 0
		.amdhsa_exception_int_div_zero 0
	.end_amdhsa_kernel
	.section	.text._ZN2at6native12_GLOBAL__N_135GammaBetaBackwardCUDAKernelTemplateIN3c108BFloat16EfLj32ELj1ELj32ELb1ELb0ELb1EEEvllPKT_S7_PKT0_SA_PS5_SB_,"axG",@progbits,_ZN2at6native12_GLOBAL__N_135GammaBetaBackwardCUDAKernelTemplateIN3c108BFloat16EfLj32ELj1ELj32ELb1ELb0ELb1EEEvllPKT_S7_PKT0_SA_PS5_SB_,comdat
.Lfunc_end199:
	.size	_ZN2at6native12_GLOBAL__N_135GammaBetaBackwardCUDAKernelTemplateIN3c108BFloat16EfLj32ELj1ELj32ELb1ELb0ELb1EEEvllPKT_S7_PKT0_SA_PS5_SB_, .Lfunc_end199-_ZN2at6native12_GLOBAL__N_135GammaBetaBackwardCUDAKernelTemplateIN3c108BFloat16EfLj32ELj1ELj32ELb1ELb0ELb1EEEvllPKT_S7_PKT0_SA_PS5_SB_
                                        ; -- End function
	.set _ZN2at6native12_GLOBAL__N_135GammaBetaBackwardCUDAKernelTemplateIN3c108BFloat16EfLj32ELj1ELj32ELb1ELb0ELb1EEEvllPKT_S7_PKT0_SA_PS5_SB_.num_vgpr, 256
	.set _ZN2at6native12_GLOBAL__N_135GammaBetaBackwardCUDAKernelTemplateIN3c108BFloat16EfLj32ELj1ELj32ELb1ELb0ELb1EEEvllPKT_S7_PKT0_SA_PS5_SB_.num_agpr, 0
	.set _ZN2at6native12_GLOBAL__N_135GammaBetaBackwardCUDAKernelTemplateIN3c108BFloat16EfLj32ELj1ELj32ELb1ELb0ELb1EEEvllPKT_S7_PKT0_SA_PS5_SB_.numbered_sgpr, 32
	.set _ZN2at6native12_GLOBAL__N_135GammaBetaBackwardCUDAKernelTemplateIN3c108BFloat16EfLj32ELj1ELj32ELb1ELb0ELb1EEEvllPKT_S7_PKT0_SA_PS5_SB_.num_named_barrier, 0
	.set _ZN2at6native12_GLOBAL__N_135GammaBetaBackwardCUDAKernelTemplateIN3c108BFloat16EfLj32ELj1ELj32ELb1ELb0ELb1EEEvllPKT_S7_PKT0_SA_PS5_SB_.private_seg_size, 316
	.set _ZN2at6native12_GLOBAL__N_135GammaBetaBackwardCUDAKernelTemplateIN3c108BFloat16EfLj32ELj1ELj32ELb1ELb0ELb1EEEvllPKT_S7_PKT0_SA_PS5_SB_.uses_vcc, 1
	.set _ZN2at6native12_GLOBAL__N_135GammaBetaBackwardCUDAKernelTemplateIN3c108BFloat16EfLj32ELj1ELj32ELb1ELb0ELb1EEEvllPKT_S7_PKT0_SA_PS5_SB_.uses_flat_scratch, 1
	.set _ZN2at6native12_GLOBAL__N_135GammaBetaBackwardCUDAKernelTemplateIN3c108BFloat16EfLj32ELj1ELj32ELb1ELb0ELb1EEEvllPKT_S7_PKT0_SA_PS5_SB_.has_dyn_sized_stack, 0
	.set _ZN2at6native12_GLOBAL__N_135GammaBetaBackwardCUDAKernelTemplateIN3c108BFloat16EfLj32ELj1ELj32ELb1ELb0ELb1EEEvllPKT_S7_PKT0_SA_PS5_SB_.has_recursion, 0
	.set _ZN2at6native12_GLOBAL__N_135GammaBetaBackwardCUDAKernelTemplateIN3c108BFloat16EfLj32ELj1ELj32ELb1ELb0ELb1EEEvllPKT_S7_PKT0_SA_PS5_SB_.has_indirect_call, 0
	.section	.AMDGPU.csdata,"",@progbits
; Kernel info:
; codeLenInByte = 37736
; TotalNumSgprs: 34
; NumVgprs: 256
; ScratchSize: 316
; MemoryBound: 0
; FloatMode: 240
; IeeeMode: 1
; LDSByteSize: 0 bytes/workgroup (compile time only)
; SGPRBlocks: 0
; VGPRBlocks: 31
; NumSGPRsForWavesPerEU: 34
; NumVGPRsForWavesPerEU: 256
; Occupancy: 5
; WaveLimiterHint : 0
; COMPUTE_PGM_RSRC2:SCRATCH_EN: 1
; COMPUTE_PGM_RSRC2:USER_SGPR: 2
; COMPUTE_PGM_RSRC2:TRAP_HANDLER: 0
; COMPUTE_PGM_RSRC2:TGID_X_EN: 1
; COMPUTE_PGM_RSRC2:TGID_Y_EN: 1
; COMPUTE_PGM_RSRC2:TGID_Z_EN: 0
; COMPUTE_PGM_RSRC2:TIDIG_COMP_CNT: 1
	.section	.text._ZN2at6native12_GLOBAL__N_135GammaBetaBackwardCUDAKernelTemplateIN3c108BFloat16EfLj32ELj1ELj8ELb1ELb1ELb1EEEvllPKT_S7_PKT0_SA_PS5_SB_,"axG",@progbits,_ZN2at6native12_GLOBAL__N_135GammaBetaBackwardCUDAKernelTemplateIN3c108BFloat16EfLj32ELj1ELj8ELb1ELb1ELb1EEEvllPKT_S7_PKT0_SA_PS5_SB_,comdat
	.globl	_ZN2at6native12_GLOBAL__N_135GammaBetaBackwardCUDAKernelTemplateIN3c108BFloat16EfLj32ELj1ELj8ELb1ELb1ELb1EEEvllPKT_S7_PKT0_SA_PS5_SB_ ; -- Begin function _ZN2at6native12_GLOBAL__N_135GammaBetaBackwardCUDAKernelTemplateIN3c108BFloat16EfLj32ELj1ELj8ELb1ELb1ELb1EEEvllPKT_S7_PKT0_SA_PS5_SB_
	.p2align	8
	.type	_ZN2at6native12_GLOBAL__N_135GammaBetaBackwardCUDAKernelTemplateIN3c108BFloat16EfLj32ELj1ELj8ELb1ELb1ELb1EEEvllPKT_S7_PKT0_SA_PS5_SB_,@function
_ZN2at6native12_GLOBAL__N_135GammaBetaBackwardCUDAKernelTemplateIN3c108BFloat16EfLj32ELj1ELj8ELb1ELb1ELb1EEEvllPKT_S7_PKT0_SA_PS5_SB_: ; @_ZN2at6native12_GLOBAL__N_135GammaBetaBackwardCUDAKernelTemplateIN3c108BFloat16EfLj32ELj1ELj8ELb1ELb1ELb1EEEvllPKT_S7_PKT0_SA_PS5_SB_
; %bb.0:
	s_clause 0x1
	s_load_b128 s[4:7], s[0:1], 0x0
	s_load_b64 s[12:13], s[0:1], 0x30
	s_lshl_b32 s14, ttmp7, 3
	s_mov_b32 s15, 0
	v_mov_b32_e32 v8, 0
	v_bfe_u32 v1, v0, 10, 10
	v_and_b32_e32 v0, 0x3ff, v0
	s_wait_kmcnt 0x0
	v_cmp_le_i64_e64 s2, s[4:5], s[14:15]
	s_and_b32 vcc_lo, exec_lo, s2
	s_cbranch_vccnz .LBB200_7
; %bb.1:
	s_load_b32 s2, s[0:1], 0x4c
	v_dual_mov_b32 v9, 8 :: v_dual_lshlrev_b32 v2, 3, v1
	s_clause 0x2
	s_load_b32 s3, s[0:1], 0x44
	s_load_b128 s[8:11], s[0:1], 0x10
	s_load_b64 s[18:19], s[0:1], 0x28
	v_dual_mov_b32 v3, 0 :: v_dual_mov_b32 v10, 4
	v_add_co_u32 v4, s16, v2, s14
	s_delay_alu instid0(VALU_DEP_1) | instskip(SKIP_1) | instid1(VALU_DEP_3)
	v_add_co_ci_u32_e64 v5, null, 0, 0, s16
	v_lshl_or_b32 v2, ttmp9, 5, v0
	v_mul_lo_u32 v8, s7, v4
	v_mad_co_u64_u32 v[6:7], null, s6, v4, 0
	s_delay_alu instid0(VALU_DEP_4) | instskip(NEXT) | instid1(VALU_DEP_4)
	v_mul_lo_u32 v17, s6, v5
	v_lshlrev_b64_e32 v[15:16], 1, v[2:3]
	s_mov_b32 s17, s15
	v_dual_mov_b32 v11, 12 :: v_dual_mov_b32 v12, 16
	v_mov_b32_e32 v13, 20
	s_wait_kmcnt 0x0
	s_and_b32 s2, s2, 0xffff
	s_lshl_b32 s16, s3, 3
	v_mad_u32_u24 v14, v1, s2, v0
	v_add3_u32 v7, v7, v17, v8
	v_mov_b32_e32 v8, 0
	s_wait_alu 0xfffe
	s_mul_u64 s[20:21], s[6:7], s[16:17]
	s_lshl_b64 s[22:23], s[6:7], 1
	v_dual_mov_b32 v2, 28 :: v_dual_and_b32 v19, 31, v14
	v_lshlrev_b64_e32 v[6:7], 1, v[6:7]
	v_mov_b32_e32 v14, 24
	s_lshl_b64 s[20:21], s[20:21], 1
	s_delay_alu instid0(VALU_DEP_3) | instskip(NEXT) | instid1(VALU_DEP_1)
	v_add_co_u32 v4, vcc_lo, v4, v19
	v_add_co_ci_u32_e64 v5, null, 0, v5, vcc_lo
	s_delay_alu instid0(VALU_DEP_4) | instskip(SKIP_2) | instid1(VALU_DEP_3)
	v_add_co_u32 v15, vcc_lo, v6, v15
	s_wait_alu 0xfffd
	v_add_co_ci_u32_e64 v16, null, v7, v16, vcc_lo
	v_lshlrev_b64_e32 v[17:18], 2, v[4:5]
	v_cmp_gt_u32_e64 s2, 8, v19
	s_delay_alu instid0(VALU_DEP_2) | instskip(SKIP_1) | instid1(VALU_DEP_3)
	v_add_co_u32 v6, vcc_lo, s18, v17
	s_wait_alu 0xfffd
	v_add_co_ci_u32_e64 v7, null, s19, v18, vcc_lo
	s_lshl_b64 s[18:19], s[16:17], 2
	s_branch .LBB200_4
.LBB200_2:                              ;   in Loop: Header=BB200_4 Depth=1
	s_or_b32 exec_lo, exec_lo, s24
.LBB200_3:                              ;   in Loop: Header=BB200_4 Depth=1
	s_wait_alu 0xfffe
	s_or_b32 exec_lo, exec_lo, s3
	v_add_co_u32 v18, vcc_lo, s8, v15
	s_wait_alu 0xfffd
	v_add_co_ci_u32_e64 v19, null, s9, v16, vcc_lo
	v_add_co_u32 v20, vcc_lo, s10, v15
	s_wait_alu 0xfffd
	v_add_co_ci_u32_e64 v21, null, s11, v16, vcc_lo
	global_load_u16 v28, v[18:19], off
	global_load_u16 v29, v[20:21], off
	v_add_co_u32 v18, vcc_lo, v18, s22
	s_wait_alu 0xfffd
	v_add_co_ci_u32_e64 v19, null, s23, v19, vcc_lo
	v_add_co_u32 v20, vcc_lo, v20, s22
	s_wait_alu 0xfffd
	v_add_co_ci_u32_e64 v21, null, s23, v21, vcc_lo
	global_load_u16 v30, v[18:19], off
	v_add_co_u32 v18, vcc_lo, v18, s22
	s_wait_alu 0xfffd
	v_add_co_ci_u32_e64 v19, null, s23, v19, vcc_lo
	v_add_co_u32 v22, vcc_lo, v20, s22
	s_wait_alu 0xfffd
	v_add_co_ci_u32_e64 v23, null, s23, v21, vcc_lo
	;; [unrolled: 3-line block ×4, first 2 shown]
	global_load_u16 v31, v[20:21], off
	global_load_u16 v32, v[18:19], off
	;; [unrolled: 1-line block ×5, first 2 shown]
	v_add_co_u32 v18, vcc_lo, v26, s22
	s_wait_alu 0xfffd
	v_add_co_ci_u32_e64 v19, null, s23, v27, vcc_lo
	v_add_co_u32 v20, vcc_lo, v24, s22
	s_wait_alu 0xfffd
	v_add_co_ci_u32_e64 v21, null, s23, v25, vcc_lo
	global_load_u16 v36, v[18:19], off
	v_add_co_u32 v22, vcc_lo, v20, s22
	s_wait_alu 0xfffd
	v_add_co_ci_u32_e64 v23, null, s23, v21, vcc_lo
	v_add_co_u32 v18, vcc_lo, v18, s22
	s_wait_alu 0xfffd
	v_add_co_ci_u32_e64 v19, null, s23, v19, vcc_lo
	;; [unrolled: 3-line block ×4, first 2 shown]
	s_clause 0x1
	global_load_u16 v37, v[20:21], off
	global_load_u16 v22, v[22:23], off
	;; [unrolled: 1-line block ×5, first 2 shown]
	v_add_co_u32 v18, vcc_lo, v26, s22
	s_wait_alu 0xfffd
	v_add_co_ci_u32_e64 v19, null, s23, v27, vcc_lo
	v_add_co_u32 v20, vcc_lo, v24, s22
	s_wait_alu 0xfffd
	v_add_co_ci_u32_e64 v21, null, s23, v25, vcc_lo
	global_load_u16 v18, v[18:19], off
	global_load_u16 v19, v[20:21], off
	s_wait_loadcnt 0x10
	ds_bpermute_b32 v20, v3, v17
	ds_bpermute_b32 v21, v10, v17
	ds_bpermute_b32 v26, v9, v17
	v_add_co_u32 v6, vcc_lo, v6, s18
	s_add_nc_u64 s[14:15], s[14:15], s[16:17]
	s_wait_alu 0xfffd
	v_add_co_ci_u32_e64 v7, null, s19, v7, vcc_lo
	v_add_co_u32 v4, vcc_lo, v4, s16
	s_wait_alu 0xfffe
	v_cmp_lt_i64_e64 s3, s[14:15], s[4:5]
	s_wait_alu 0xfffd
	v_add_co_ci_u32_e64 v5, null, 0, v5, vcc_lo
	v_add_co_u32 v15, vcc_lo, v15, s20
	s_wait_alu 0xfffd
	v_add_co_ci_u32_e64 v16, null, s21, v16, vcc_lo
	s_and_b32 vcc_lo, exec_lo, s3
	s_wait_loadcnt 0xf
	v_lshlrev_b32_e32 v25, 16, v28
	s_wait_loadcnt 0xe
	v_lshlrev_b32_e32 v24, 16, v29
	ds_bpermute_b32 v28, v11, v17
	s_wait_loadcnt 0xd
	v_dual_mul_f32 v24, v25, v24 :: v_dual_lshlrev_b32 v25, 16, v30
	s_wait_loadcnt_dscnt 0xc03
	s_delay_alu instid0(VALU_DEP_1) | instskip(SKIP_3) | instid1(VALU_DEP_2)
	v_dual_fmac_f32 v8, v24, v20 :: v_dual_lshlrev_b32 v27, 16, v31
	s_wait_loadcnt 0xb
	v_lshlrev_b32_e32 v24, 16, v32
	s_wait_loadcnt 0xa
	v_dual_mul_f32 v20, v25, v27 :: v_dual_lshlrev_b32 v29, 16, v33
	ds_bpermute_b32 v25, v12, v17
	s_wait_loadcnt_dscnt 0x803
	v_dual_fmac_f32 v8, v20, v21 :: v_dual_lshlrev_b32 v27, 16, v35
	v_mul_f32_e32 v20, v24, v29
	ds_bpermute_b32 v24, v13, v17
	s_wait_loadcnt_dscnt 0x703
	v_dual_fmac_f32 v8, v20, v26 :: v_dual_lshlrev_b32 v29, 16, v36
	v_lshlrev_b32_e32 v21, 16, v34
	ds_bpermute_b32 v26, v14, v17
	ds_bpermute_b32 v17, v2, v17
	s_wait_loadcnt 0x6
	v_dual_mul_f32 v20, v21, v27 :: v_dual_lshlrev_b32 v21, 16, v37
	s_wait_loadcnt_dscnt 0x404
	s_delay_alu instid0(VALU_DEP_1) | instskip(NEXT) | instid1(VALU_DEP_2)
	v_dual_fmac_f32 v8, v20, v28 :: v_dual_lshlrev_b32 v23, 16, v23
	v_dual_mul_f32 v20, v21, v29 :: v_dual_lshlrev_b32 v21, 16, v22
	s_wait_loadcnt 0x2
	v_lshlrev_b32_e32 v22, 16, v39
	s_wait_dscnt 0x3
	s_delay_alu instid0(VALU_DEP_2) | instskip(SKIP_4) | instid1(VALU_DEP_2)
	v_dual_fmac_f32 v8, v20, v25 :: v_dual_lshlrev_b32 v27, 16, v38
	v_mul_f32_e32 v20, v21, v23
	s_wait_loadcnt 0x1
	v_lshlrev_b32_e32 v18, 16, v18
	s_wait_loadcnt_dscnt 0x2
	v_dual_fmac_f32 v8, v20, v24 :: v_dual_lshlrev_b32 v19, 16, v19
	v_mul_f32_e32 v20, v27, v22
	s_delay_alu instid0(VALU_DEP_2) | instskip(SKIP_1) | instid1(VALU_DEP_2)
	v_mul_f32_e32 v18, v19, v18
	s_wait_dscnt 0x1
	v_fmac_f32_e32 v8, v20, v26
	s_wait_dscnt 0x0
	s_delay_alu instid0(VALU_DEP_1)
	v_fmac_f32_e32 v8, v18, v17
	s_wait_alu 0xfffe
	s_cbranch_vccz .LBB200_7
.LBB200_4:                              ; =>This Inner Loop Header: Depth=1
	v_mov_b32_e32 v17, 0
	s_and_saveexec_b32 s3, s2
	s_cbranch_execz .LBB200_3
; %bb.5:                                ;   in Loop: Header=BB200_4 Depth=1
	v_mov_b32_e32 v17, 0
	s_mov_b32 s24, exec_lo
	v_cmpx_gt_i64_e64 s[4:5], v[4:5]
	s_cbranch_execz .LBB200_2
; %bb.6:                                ;   in Loop: Header=BB200_4 Depth=1
	global_load_b32 v17, v[6:7], off
	s_branch .LBB200_2
.LBB200_7:
	s_cmp_eq_u64 s[12:13], 0
	s_cbranch_scc1 .LBB200_9
; %bb.8:
	s_load_u16 s0, s[0:1], 0x4e
	v_mov_b32_e32 v2, 0
	s_mov_b32 s2, ttmp9
	s_mov_b32 s3, 0
	v_lshlrev_b32_e32 v0, 1, v0
	s_wait_kmcnt 0x0
	v_mad_co_u64_u32 v[1:2], null, s0, ttmp7, v[1:2]
	s_wait_alu 0xfffe
	s_lshl_b64 s[0:1], s[2:3], 6
	s_delay_alu instid0(VALU_DEP_1) | instskip(NEXT) | instid1(VALU_DEP_2)
	v_mul_lo_u32 v3, v2, s6
	v_mul_lo_u32 v4, v1, s7
	v_mad_co_u64_u32 v[1:2], null, v1, s6, 0
	s_delay_alu instid0(VALU_DEP_1) | instskip(SKIP_1) | instid1(VALU_DEP_2)
	v_add3_u32 v2, v2, v4, v3
	v_bfe_u32 v3, v8, 16, 1
	v_lshlrev_b64_e32 v[1:2], 1, v[1:2]
	s_delay_alu instid0(VALU_DEP_2) | instskip(NEXT) | instid1(VALU_DEP_1)
	v_add3_u32 v3, v8, v3, 0x7fff
	v_lshrrev_b32_e32 v3, 16, v3
	s_delay_alu instid0(VALU_DEP_3) | instskip(SKIP_1) | instid1(VALU_DEP_4)
	v_add_co_u32 v1, vcc_lo, s12, v1
	s_wait_alu 0xfffd
	v_add_co_ci_u32_e64 v2, null, s13, v2, vcc_lo
	s_wait_alu 0xfffe
	s_delay_alu instid0(VALU_DEP_2) | instskip(SKIP_1) | instid1(VALU_DEP_2)
	v_add_co_u32 v1, vcc_lo, v1, s0
	s_wait_alu 0xfffd
	v_add_co_ci_u32_e64 v2, null, s1, v2, vcc_lo
	v_cmp_o_f32_e32 vcc_lo, v8, v8
	s_wait_alu 0xfffd
	v_cndmask_b32_e32 v3, 0x7fc0, v3, vcc_lo
	v_add_co_u32 v0, vcc_lo, v1, v0
	s_wait_alu 0xfffd
	v_add_co_ci_u32_e64 v1, null, 0, v2, vcc_lo
	global_store_b16 v[0:1], v3, off
.LBB200_9:
	s_endpgm
	.section	.rodata,"a",@progbits
	.p2align	6, 0x0
	.amdhsa_kernel _ZN2at6native12_GLOBAL__N_135GammaBetaBackwardCUDAKernelTemplateIN3c108BFloat16EfLj32ELj1ELj8ELb1ELb1ELb1EEEvllPKT_S7_PKT0_SA_PS5_SB_
		.amdhsa_group_segment_fixed_size 0
		.amdhsa_private_segment_fixed_size 0
		.amdhsa_kernarg_size 320
		.amdhsa_user_sgpr_count 2
		.amdhsa_user_sgpr_dispatch_ptr 0
		.amdhsa_user_sgpr_queue_ptr 0
		.amdhsa_user_sgpr_kernarg_segment_ptr 1
		.amdhsa_user_sgpr_dispatch_id 0
		.amdhsa_user_sgpr_private_segment_size 0
		.amdhsa_wavefront_size32 1
		.amdhsa_uses_dynamic_stack 0
		.amdhsa_enable_private_segment 0
		.amdhsa_system_sgpr_workgroup_id_x 1
		.amdhsa_system_sgpr_workgroup_id_y 1
		.amdhsa_system_sgpr_workgroup_id_z 0
		.amdhsa_system_sgpr_workgroup_info 0
		.amdhsa_system_vgpr_workitem_id 1
		.amdhsa_next_free_vgpr 40
		.amdhsa_next_free_sgpr 25
		.amdhsa_reserve_vcc 1
		.amdhsa_float_round_mode_32 0
		.amdhsa_float_round_mode_16_64 0
		.amdhsa_float_denorm_mode_32 3
		.amdhsa_float_denorm_mode_16_64 3
		.amdhsa_fp16_overflow 0
		.amdhsa_workgroup_processor_mode 1
		.amdhsa_memory_ordered 1
		.amdhsa_forward_progress 1
		.amdhsa_inst_pref_size 12
		.amdhsa_round_robin_scheduling 0
		.amdhsa_exception_fp_ieee_invalid_op 0
		.amdhsa_exception_fp_denorm_src 0
		.amdhsa_exception_fp_ieee_div_zero 0
		.amdhsa_exception_fp_ieee_overflow 0
		.amdhsa_exception_fp_ieee_underflow 0
		.amdhsa_exception_fp_ieee_inexact 0
		.amdhsa_exception_int_div_zero 0
	.end_amdhsa_kernel
	.section	.text._ZN2at6native12_GLOBAL__N_135GammaBetaBackwardCUDAKernelTemplateIN3c108BFloat16EfLj32ELj1ELj8ELb1ELb1ELb1EEEvllPKT_S7_PKT0_SA_PS5_SB_,"axG",@progbits,_ZN2at6native12_GLOBAL__N_135GammaBetaBackwardCUDAKernelTemplateIN3c108BFloat16EfLj32ELj1ELj8ELb1ELb1ELb1EEEvllPKT_S7_PKT0_SA_PS5_SB_,comdat
.Lfunc_end200:
	.size	_ZN2at6native12_GLOBAL__N_135GammaBetaBackwardCUDAKernelTemplateIN3c108BFloat16EfLj32ELj1ELj8ELb1ELb1ELb1EEEvllPKT_S7_PKT0_SA_PS5_SB_, .Lfunc_end200-_ZN2at6native12_GLOBAL__N_135GammaBetaBackwardCUDAKernelTemplateIN3c108BFloat16EfLj32ELj1ELj8ELb1ELb1ELb1EEEvllPKT_S7_PKT0_SA_PS5_SB_
                                        ; -- End function
	.set _ZN2at6native12_GLOBAL__N_135GammaBetaBackwardCUDAKernelTemplateIN3c108BFloat16EfLj32ELj1ELj8ELb1ELb1ELb1EEEvllPKT_S7_PKT0_SA_PS5_SB_.num_vgpr, 40
	.set _ZN2at6native12_GLOBAL__N_135GammaBetaBackwardCUDAKernelTemplateIN3c108BFloat16EfLj32ELj1ELj8ELb1ELb1ELb1EEEvllPKT_S7_PKT0_SA_PS5_SB_.num_agpr, 0
	.set _ZN2at6native12_GLOBAL__N_135GammaBetaBackwardCUDAKernelTemplateIN3c108BFloat16EfLj32ELj1ELj8ELb1ELb1ELb1EEEvllPKT_S7_PKT0_SA_PS5_SB_.numbered_sgpr, 25
	.set _ZN2at6native12_GLOBAL__N_135GammaBetaBackwardCUDAKernelTemplateIN3c108BFloat16EfLj32ELj1ELj8ELb1ELb1ELb1EEEvllPKT_S7_PKT0_SA_PS5_SB_.num_named_barrier, 0
	.set _ZN2at6native12_GLOBAL__N_135GammaBetaBackwardCUDAKernelTemplateIN3c108BFloat16EfLj32ELj1ELj8ELb1ELb1ELb1EEEvllPKT_S7_PKT0_SA_PS5_SB_.private_seg_size, 0
	.set _ZN2at6native12_GLOBAL__N_135GammaBetaBackwardCUDAKernelTemplateIN3c108BFloat16EfLj32ELj1ELj8ELb1ELb1ELb1EEEvllPKT_S7_PKT0_SA_PS5_SB_.uses_vcc, 1
	.set _ZN2at6native12_GLOBAL__N_135GammaBetaBackwardCUDAKernelTemplateIN3c108BFloat16EfLj32ELj1ELj8ELb1ELb1ELb1EEEvllPKT_S7_PKT0_SA_PS5_SB_.uses_flat_scratch, 0
	.set _ZN2at6native12_GLOBAL__N_135GammaBetaBackwardCUDAKernelTemplateIN3c108BFloat16EfLj32ELj1ELj8ELb1ELb1ELb1EEEvllPKT_S7_PKT0_SA_PS5_SB_.has_dyn_sized_stack, 0
	.set _ZN2at6native12_GLOBAL__N_135GammaBetaBackwardCUDAKernelTemplateIN3c108BFloat16EfLj32ELj1ELj8ELb1ELb1ELb1EEEvllPKT_S7_PKT0_SA_PS5_SB_.has_recursion, 0
	.set _ZN2at6native12_GLOBAL__N_135GammaBetaBackwardCUDAKernelTemplateIN3c108BFloat16EfLj32ELj1ELj8ELb1ELb1ELb1EEEvllPKT_S7_PKT0_SA_PS5_SB_.has_indirect_call, 0
	.section	.AMDGPU.csdata,"",@progbits
; Kernel info:
; codeLenInByte = 1524
; TotalNumSgprs: 27
; NumVgprs: 40
; ScratchSize: 0
; MemoryBound: 0
; FloatMode: 240
; IeeeMode: 1
; LDSByteSize: 0 bytes/workgroup (compile time only)
; SGPRBlocks: 0
; VGPRBlocks: 4
; NumSGPRsForWavesPerEU: 27
; NumVGPRsForWavesPerEU: 40
; Occupancy: 16
; WaveLimiterHint : 0
; COMPUTE_PGM_RSRC2:SCRATCH_EN: 0
; COMPUTE_PGM_RSRC2:USER_SGPR: 2
; COMPUTE_PGM_RSRC2:TRAP_HANDLER: 0
; COMPUTE_PGM_RSRC2:TGID_X_EN: 1
; COMPUTE_PGM_RSRC2:TGID_Y_EN: 1
; COMPUTE_PGM_RSRC2:TGID_Z_EN: 0
; COMPUTE_PGM_RSRC2:TIDIG_COMP_CNT: 1
	.section	.text._ZN2at6native12_GLOBAL__N_135GammaBetaBackwardCUDAKernelTemplateIN3c108BFloat16EfLj32ELj1ELj8ELb1ELb0ELb1EEEvllPKT_S7_PKT0_SA_PS5_SB_,"axG",@progbits,_ZN2at6native12_GLOBAL__N_135GammaBetaBackwardCUDAKernelTemplateIN3c108BFloat16EfLj32ELj1ELj8ELb1ELb0ELb1EEEvllPKT_S7_PKT0_SA_PS5_SB_,comdat
	.globl	_ZN2at6native12_GLOBAL__N_135GammaBetaBackwardCUDAKernelTemplateIN3c108BFloat16EfLj32ELj1ELj8ELb1ELb0ELb1EEEvllPKT_S7_PKT0_SA_PS5_SB_ ; -- Begin function _ZN2at6native12_GLOBAL__N_135GammaBetaBackwardCUDAKernelTemplateIN3c108BFloat16EfLj32ELj1ELj8ELb1ELb0ELb1EEEvllPKT_S7_PKT0_SA_PS5_SB_
	.p2align	8
	.type	_ZN2at6native12_GLOBAL__N_135GammaBetaBackwardCUDAKernelTemplateIN3c108BFloat16EfLj32ELj1ELj8ELb1ELb0ELb1EEEvllPKT_S7_PKT0_SA_PS5_SB_,@function
_ZN2at6native12_GLOBAL__N_135GammaBetaBackwardCUDAKernelTemplateIN3c108BFloat16EfLj32ELj1ELj8ELb1ELb0ELb1EEEvllPKT_S7_PKT0_SA_PS5_SB_: ; @_ZN2at6native12_GLOBAL__N_135GammaBetaBackwardCUDAKernelTemplateIN3c108BFloat16EfLj32ELj1ELj8ELb1ELb0ELb1EEEvllPKT_S7_PKT0_SA_PS5_SB_
; %bb.0:
	s_clause 0x1
	s_load_b256 s[4:11], s[0:1], 0x0
	s_load_b64 s[12:13], s[0:1], 0x28
	s_lshl_b32 s28, ttmp9, 5
	s_mov_b32 s15, 0
	s_or_b32 s14, s28, 31
	s_wait_kmcnt 0x0
	v_cmp_le_i64_e64 s2, s[6:7], s[14:15]
	s_lshl_b32 s14, ttmp7, 3
	s_wait_alu 0xfffe
	v_cmp_gt_i64_e64 s29, s[4:5], s[14:15]
	s_and_b32 vcc_lo, exec_lo, s2
	v_cndmask_b32_e64 v1, 0, 1, s29
	s_delay_alu instid0(VALU_DEP_1)
	v_cmp_ne_u32_e64 s2, 1, v1
	s_cbranch_vccz .LBB201_49
; %bb.1:
	v_mov_b32_e32 v87, 0
	s_and_b32 vcc_lo, exec_lo, s2
	s_cbranch_vccnz .LBB201_50
; %bb.2:
	v_bfe_u32 v22, v0, 10, 10
	v_dual_mov_b32 v1, 0 :: v_dual_and_b32 v24, 0x3ff, v0
	s_load_b32 s3, s[0:1], 0x44
	s_mov_b32 s17, 0
	s_delay_alu instid0(VALU_DEP_2) | instskip(NEXT) | instid1(VALU_DEP_2)
	v_dual_mov_b32 v58, 0 :: v_dual_lshlrev_b32 v23, 3, v22
	v_dual_mov_b32 v5, v1 :: v_dual_add_nc_u32 v4, s28, v24
	s_mov_b32 s21, s17
	s_delay_alu instid0(VALU_DEP_2) | instskip(NEXT) | instid1(VALU_DEP_1)
	v_add_co_u32 v10, s2, v23, s14
	v_add_co_ci_u32_e64 v11, null, 0, 0, s2
	s_delay_alu instid0(VALU_DEP_3) | instskip(NEXT) | instid1(VALU_DEP_3)
	v_cmp_gt_i64_e64 s2, s[6:7], v[4:5]
	v_mul_lo_u32 v6, s7, v10
	v_mad_co_u64_u32 v[2:3], null, s6, v10, 0
	s_delay_alu instid0(VALU_DEP_4)
	v_mul_lo_u32 v7, s6, v11
	v_lshlrev_b64_e32 v[18:19], 1, v[4:5]
	v_mov_b32_e32 v25, v1
	s_add_nc_u64 s[18:19], s[0:1], 64
	s_mov_b64 s[24:25], 7
	s_wait_kmcnt 0x0
	s_lshl_b32 s20, s3, 3
	s_mov_b64 s[26:27], s[14:15]
	s_mul_u64 s[22:23], s[6:7], s[20:21]
	v_add3_u32 v3, v3, v7, v6
	v_add_co_u32 v6, vcc_lo, v10, 7
	s_delay_alu instid0(VALU_DEP_1)
	v_add_co_ci_u32_e64 v7, null, 0, v11, vcc_lo
	v_add_co_u32 v8, vcc_lo, v10, 6
	s_wait_alu 0xfffd
	v_add_co_ci_u32_e64 v9, null, 0, v11, vcc_lo
	v_lshlrev_b64_e32 v[4:5], 1, v[2:3]
	v_mul_lo_u32 v12, s7, v6
	v_mul_lo_u32 v13, s6, v7
	v_mad_co_u64_u32 v[6:7], null, s6, v6, 0
	v_mul_lo_u32 v14, s7, v8
	v_mul_lo_u32 v15, s6, v9
	v_mad_co_u64_u32 v[8:9], null, s6, v8, 0
	v_add_co_u32 v26, vcc_lo, s8, v4
	s_wait_alu 0xfffd
	v_add_co_ci_u32_e64 v27, null, s9, v5, vcc_lo
	v_add_co_u32 v28, vcc_lo, s10, v4
	v_add3_u32 v7, v7, v13, v12
	s_wait_alu 0xfffd
	v_add_co_ci_u32_e64 v29, null, s11, v5, vcc_lo
	v_add_co_u32 v12, vcc_lo, v10, 5
	v_add3_u32 v9, v9, v15, v14
	s_wait_alu 0xfffd
	v_add_co_ci_u32_e64 v13, null, 0, v11, vcc_lo
	v_lshlrev_b64_e32 v[4:5], 1, v[6:7]
	v_mul_lo_u32 v14, s7, v12
	v_lshlrev_b64_e32 v[6:7], 1, v[8:9]
	s_delay_alu instid0(VALU_DEP_4)
	v_mul_lo_u32 v13, s6, v13
	v_mad_co_u64_u32 v[8:9], null, s6, v12, 0
	v_add_co_u32 v30, vcc_lo, s8, v4
	s_wait_alu 0xfffd
	v_add_co_ci_u32_e64 v31, null, s9, v5, vcc_lo
	v_add_co_u32 v32, vcc_lo, s10, v4
	s_wait_alu 0xfffd
	v_add_co_ci_u32_e64 v33, null, s11, v5, vcc_lo
	v_add_co_u32 v34, vcc_lo, s8, v6
	v_add3_u32 v9, v9, v13, v14
	s_wait_alu 0xfffd
	v_add_co_ci_u32_e64 v35, null, s9, v7, vcc_lo
	v_add_co_u32 v12, vcc_lo, v10, 4
	v_add_co_u32 v36, s3, s10, v6
	s_wait_alu 0xfffd
	v_add_co_ci_u32_e64 v6, null, 0, v11, vcc_lo
	v_lshlrev_b64_e32 v[4:5], 1, v[8:9]
	v_add_co_u32 v8, vcc_lo, v10, 3
	s_wait_alu 0xfffd
	v_add_co_ci_u32_e64 v9, null, 0, v11, vcc_lo
	s_wait_alu 0xf1ff
	v_add_co_ci_u32_e64 v37, null, s11, v7, s3
	v_mul_lo_u32 v13, s7, v12
	v_mul_lo_u32 v14, s6, v6
	v_mad_co_u64_u32 v[6:7], null, s6, v12, 0
	v_mul_lo_u32 v12, s7, v8
	v_mul_lo_u32 v15, s6, v9
	v_mad_co_u64_u32 v[8:9], null, s6, v8, 0
	v_add_co_u32 v38, vcc_lo, s8, v4
	s_wait_alu 0xfffd
	v_add_co_ci_u32_e64 v39, null, s9, v5, vcc_lo
	v_add3_u32 v7, v7, v14, v13
	v_add_co_u32 v40, vcc_lo, s10, v4
	s_wait_alu 0xfffd
	v_add_co_ci_u32_e64 v41, null, s11, v5, vcc_lo
	v_add_co_u32 v10, vcc_lo, v10, 2
	v_add3_u32 v9, v9, v15, v12
	s_wait_alu 0xfffd
	v_add_co_ci_u32_e64 v11, null, 0, v11, vcc_lo
	v_lshlrev_b64_e32 v[4:5], 1, v[6:7]
	v_mul_lo_u32 v12, s7, v10
	v_lshlrev_b64_e32 v[6:7], 1, v[8:9]
	s_delay_alu instid0(VALU_DEP_4)
	v_mul_lo_u32 v11, s6, v11
	v_mad_co_u64_u32 v[8:9], null, s6, v10, 0
	v_add_co_u32 v42, vcc_lo, s8, v4
	s_wait_alu 0xfffd
	v_add_co_ci_u32_e64 v43, null, s9, v5, vcc_lo
	v_add_co_u32 v44, vcc_lo, s10, v4
	s_wait_alu 0xfffd
	v_add_co_ci_u32_e64 v45, null, s11, v5, vcc_lo
	;; [unrolled: 3-line block ×3, first 2 shown]
	v_add3_u32 v9, v9, v11, v12
	v_add_co_u32 v48, vcc_lo, s10, v6
	s_wait_alu 0xfffd
	v_add_co_ci_u32_e64 v49, null, s11, v7, vcc_lo
	v_add_co_u32 v2, vcc_lo, v2, s6
	s_wait_alu 0xfffd
	v_add_co_ci_u32_e64 v3, null, s7, v3, vcc_lo
	v_lshlrev_b64_e32 v[4:5], 1, v[8:9]
	s_lshl_b64 s[22:23], s[22:23], 1
	s_delay_alu instid0(VALU_DEP_2) | instskip(NEXT) | instid1(VALU_DEP_2)
	v_lshlrev_b64_e32 v[2:3], 1, v[2:3]
	v_add_co_u32 v50, vcc_lo, s8, v4
	s_wait_alu 0xfffd
	s_delay_alu instid0(VALU_DEP_3)
	v_add_co_ci_u32_e64 v51, null, s9, v5, vcc_lo
	v_add_co_u32 v52, vcc_lo, s10, v4
	s_wait_alu 0xfffd
	v_add_co_ci_u32_e64 v53, null, s11, v5, vcc_lo
	v_add_co_u32 v54, vcc_lo, s8, v2
	s_wait_alu 0xfffd
	;; [unrolled: 3-line block ×3, first 2 shown]
	v_add_co_ci_u32_e64 v57, null, s11, v3, vcc_lo
.LBB201_3:                              ; =>This Inner Loop Header: Depth=1
	s_add_nc_u64 s[30:31], s[14:15], s[24:25]
	v_add_co_u32 v20, vcc_lo, s14, v23
	s_wait_alu 0xfffe
	v_cmp_ge_i64_e64 s3, s[30:31], s[4:5]
	s_wait_alu 0xfffd
	v_add_co_ci_u32_e64 v21, null, 0, v25, vcc_lo
                                        ; implicit-def: $vgpr2_vgpr3_vgpr4_vgpr5_vgpr6_vgpr7_vgpr8_vgpr9
                                        ; implicit-def: $vgpr87
                                        ; implicit-def: $vgpr10_vgpr11_vgpr12_vgpr13_vgpr14_vgpr15_vgpr16_vgpr17
                                        ; implicit-def: $vgpr2
	s_and_b32 vcc_lo, exec_lo, s3
	s_mov_b32 s3, -1
	s_wait_alu 0xfffe
	s_cbranch_vccz .LBB201_25
; %bb.4:                                ;   in Loop: Header=BB201_3 Depth=1
	s_load_b32 s3, s[18:19], 0xc
	v_mov_b32_e32 v59, 0
	s_wait_kmcnt 0x0
	s_and_b32 s3, s3, 0xffff
	s_wait_alu 0xfffe
	v_mad_u32_u24 v2, v22, s3, v24
	s_mov_b32 s3, exec_lo
	s_delay_alu instid0(VALU_DEP_1) | instskip(NEXT) | instid1(VALU_DEP_1)
	v_and_b32_e32 v2, 31, v2
	v_cmpx_gt_u32_e32 8, v2
	s_cbranch_execz .LBB201_8
; %bb.5:                                ;   in Loop: Header=BB201_3 Depth=1
	v_add_co_u32 v2, vcc_lo, v20, v2
	s_wait_alu 0xfffd
	v_add_co_ci_u32_e64 v3, null, 0, v21, vcc_lo
	v_mov_b32_e32 v59, 0
	s_mov_b32 s16, exec_lo
	s_delay_alu instid0(VALU_DEP_2)
	v_cmpx_gt_i64_e64 s[4:5], v[2:3]
	s_cbranch_execz .LBB201_7
; %bb.6:                                ;   in Loop: Header=BB201_3 Depth=1
	v_lshlrev_b64_e32 v[2:3], 2, v[2:3]
	s_delay_alu instid0(VALU_DEP_1) | instskip(SKIP_1) | instid1(VALU_DEP_2)
	v_add_co_u32 v2, vcc_lo, s12, v2
	s_wait_alu 0xfffd
	v_add_co_ci_u32_e64 v3, null, s13, v3, vcc_lo
	global_load_b32 v59, v[2:3], off
.LBB201_7:                              ;   in Loop: Header=BB201_3 Depth=1
	s_or_b32 exec_lo, exec_lo, s16
.LBB201_8:                              ;   in Loop: Header=BB201_3 Depth=1
	s_wait_alu 0xfffe
	s_or_b32 exec_lo, exec_lo, s3
	v_mov_b32_e32 v8, v1
	v_dual_mov_b32 v2, v1 :: v_dual_mov_b32 v3, v1
	v_dual_mov_b32 v4, v1 :: v_dual_mov_b32 v5, v1
	;; [unrolled: 1-line block ×3, first 2 shown]
	v_cmp_gt_i64_e32 vcc_lo, s[4:5], v[20:21]
	s_delay_alu instid0(VALU_DEP_3) | instskip(NEXT) | instid1(VALU_DEP_3)
	v_dual_mov_b32 v17, v8 :: v_dual_mov_b32 v14, v5
	v_dual_mov_b32 v15, v6 :: v_dual_mov_b32 v16, v7
	;; [unrolled: 1-line block ×4, first 2 shown]
	v_mov_b32_e32 v9, v8
	v_mov_b32_e32 v8, v7
	;; [unrolled: 1-line block ×8, first 2 shown]
	s_and_b32 s16, s2, vcc_lo
	s_delay_alu instid0(SALU_CYCLE_1)
	s_and_saveexec_b32 s3, s16
	s_cbranch_execz .LBB201_10
; %bb.9:                                ;   in Loop: Header=BB201_3 Depth=1
	v_add_co_u32 v2, vcc_lo, v26, v18
	s_wait_alu 0xfffd
	v_add_co_ci_u32_e64 v3, null, v27, v19, vcc_lo
	v_add_co_u32 v4, vcc_lo, v28, v18
	s_wait_alu 0xfffd
	v_add_co_ci_u32_e64 v5, null, v29, v19, vcc_lo
	global_load_u16 v2, v[2:3], off
	global_load_u16 v10, v[4:5], off
	v_dual_mov_b32 v3, v1 :: v_dual_mov_b32 v4, v1
	v_dual_mov_b32 v5, v1 :: v_dual_mov_b32 v6, v1
	;; [unrolled: 1-line block ×6, first 2 shown]
	v_mov_b32_e32 v15, v1
	s_wait_loadcnt 0x1
	v_dual_mov_b32 v17, v1 :: v_dual_lshlrev_b32 v2, 16, v2
	s_wait_loadcnt 0x0
	v_lshlrev_b32_e32 v10, 16, v10
.LBB201_10:                             ;   in Loop: Header=BB201_3 Depth=1
	s_wait_alu 0xfffe
	s_or_b32 exec_lo, exec_lo, s3
	v_add_co_u32 v60, vcc_lo, v20, 1
	s_wait_alu 0xfffd
	v_add_co_ci_u32_e64 v61, null, 0, v21, vcc_lo
	s_delay_alu instid0(VALU_DEP_1) | instskip(SKIP_1) | instid1(SALU_CYCLE_1)
	v_cmp_gt_i64_e32 vcc_lo, s[4:5], v[60:61]
	s_and_b32 s16, s2, vcc_lo
	s_and_saveexec_b32 s3, s16
	s_cbranch_execz .LBB201_12
; %bb.11:                               ;   in Loop: Header=BB201_3 Depth=1
	v_add_co_u32 v60, vcc_lo, v54, v18
	s_wait_alu 0xfffd
	v_add_co_ci_u32_e64 v61, null, v55, v19, vcc_lo
	v_add_co_u32 v62, vcc_lo, v56, v18
	s_wait_alu 0xfffd
	v_add_co_ci_u32_e64 v63, null, v57, v19, vcc_lo
	global_load_u16 v3, v[60:61], off
	global_load_u16 v11, v[62:63], off
	s_wait_loadcnt 0x1
	v_lshlrev_b32_e32 v3, 16, v3
	s_wait_loadcnt 0x0
	v_lshlrev_b32_e32 v11, 16, v11
.LBB201_12:                             ;   in Loop: Header=BB201_3 Depth=1
	s_wait_alu 0xfffe
	s_or_b32 exec_lo, exec_lo, s3
	v_add_co_u32 v60, vcc_lo, v20, 2
	s_wait_alu 0xfffd
	v_add_co_ci_u32_e64 v61, null, 0, v21, vcc_lo
	s_delay_alu instid0(VALU_DEP_1) | instskip(SKIP_1) | instid1(SALU_CYCLE_1)
	v_cmp_gt_i64_e32 vcc_lo, s[4:5], v[60:61]
	s_and_b32 s16, s2, vcc_lo
	s_and_saveexec_b32 s3, s16
	s_cbranch_execz .LBB201_14
; %bb.13:                               ;   in Loop: Header=BB201_3 Depth=1
	v_add_co_u32 v60, vcc_lo, v50, v18
	s_wait_alu 0xfffd
	v_add_co_ci_u32_e64 v61, null, v51, v19, vcc_lo
	v_add_co_u32 v62, vcc_lo, v52, v18
	s_wait_alu 0xfffd
	v_add_co_ci_u32_e64 v63, null, v53, v19, vcc_lo
	global_load_u16 v4, v[60:61], off
	global_load_u16 v12, v[62:63], off
	s_wait_loadcnt 0x1
	v_lshlrev_b32_e32 v4, 16, v4
	s_wait_loadcnt 0x0
	v_lshlrev_b32_e32 v12, 16, v12
.LBB201_14:                             ;   in Loop: Header=BB201_3 Depth=1
	;; [unrolled: 24-line block ×7, first 2 shown]
	s_wait_alu 0xfffe
	s_or_b32 exec_lo, exec_lo, s3
	s_wait_loadcnt 0x0
	ds_bpermute_b32 v60, v1, v59
	ds_bpermute_b32 v61, v1, v59 offset:4
	ds_bpermute_b32 v62, v1, v59 offset:8
	v_dual_mul_f32 v2, v10, v2 :: v_dual_mul_f32 v3, v11, v3
	ds_bpermute_b32 v10, v1, v59 offset:12
	ds_bpermute_b32 v11, v1, v59 offset:16
	s_mov_b32 s3, 0
	v_mul_f32_e32 v6, v14, v6
	s_wait_dscnt 0x4
	v_fma_f32 v87, v2, v60, v58
	v_mul_f32_e32 v2, v12, v4
	ds_bpermute_b32 v4, v1, v59 offset:20
	s_wait_dscnt 0x4
	v_fmac_f32_e32 v87, v3, v61
	v_mul_f32_e32 v3, v13, v5
	ds_bpermute_b32 v5, v1, v59 offset:24
	s_wait_dscnt 0x4
	v_fmac_f32_e32 v87, v2, v62
	ds_bpermute_b32 v2, v1, v59 offset:28
	s_wait_dscnt 0x4
	v_fmac_f32_e32 v87, v3, v10
	v_mul_f32_e32 v3, v15, v7
	s_wait_dscnt 0x3
	s_delay_alu instid0(VALU_DEP_2) | instskip(SKIP_1) | instid1(VALU_DEP_1)
	v_fmac_f32_e32 v87, v6, v11
	s_wait_dscnt 0x2
	v_fmac_f32_e32 v87, v3, v4
	v_mul_f32_e32 v3, v16, v8
	s_wait_dscnt 0x1
	s_delay_alu instid0(VALU_DEP_1)
	v_fmac_f32_e32 v87, v3, v5
.LBB201_25:                             ;   in Loop: Header=BB201_3 Depth=1
	s_wait_alu 0xfffe
	s_and_b32 vcc_lo, exec_lo, s3
	s_wait_alu 0xfffe
	s_cbranch_vccz .LBB201_40
; %bb.26:                               ;   in Loop: Header=BB201_3 Depth=1
	s_load_b32 s3, s[18:19], 0x0
	v_mov_b32_e32 v59, 0
	s_wait_kmcnt 0x0
	s_cmp_lt_u32 ttmp9, s3
	s_cselect_b32 s16, 12, 18
	s_delay_alu instid0(SALU_CYCLE_1)
	s_add_nc_u64 s[30:31], s[18:19], s[16:17]
	s_load_u16 s3, s[30:31], 0x0
	s_wait_dscnt 0x0
	s_wait_kmcnt 0x0
	v_mad_u32_u24 v2, v22, s3, v24
	s_mov_b32 s3, exec_lo
	s_delay_alu instid0(VALU_DEP_1) | instskip(NEXT) | instid1(VALU_DEP_1)
	v_and_b32_e32 v2, 31, v2
	v_cmpx_gt_u32_e32 8, v2
	s_cbranch_execz .LBB201_30
; %bb.27:                               ;   in Loop: Header=BB201_3 Depth=1
	v_add_co_u32 v2, vcc_lo, v20, v2
	s_wait_alu 0xfffd
	v_add_co_ci_u32_e64 v3, null, 0, v21, vcc_lo
	v_mov_b32_e32 v59, 0
	s_mov_b32 s16, exec_lo
	s_delay_alu instid0(VALU_DEP_2)
	v_cmpx_gt_i64_e64 s[4:5], v[2:3]
	s_cbranch_execz .LBB201_29
; %bb.28:                               ;   in Loop: Header=BB201_3 Depth=1
	v_lshlrev_b64_e32 v[2:3], 2, v[2:3]
	s_delay_alu instid0(VALU_DEP_1) | instskip(SKIP_1) | instid1(VALU_DEP_2)
	v_add_co_u32 v2, vcc_lo, s12, v2
	s_wait_alu 0xfffd
	v_add_co_ci_u32_e64 v3, null, s13, v3, vcc_lo
	global_load_b32 v59, v[2:3], off
.LBB201_29:                             ;   in Loop: Header=BB201_3 Depth=1
	s_or_b32 exec_lo, exec_lo, s16
.LBB201_30:                             ;   in Loop: Header=BB201_3 Depth=1
	s_wait_alu 0xfffe
	s_or_b32 exec_lo, exec_lo, s3
	v_mov_b32_e32 v8, v1
	v_dual_mov_b32 v2, v1 :: v_dual_mov_b32 v3, v1
	v_dual_mov_b32 v4, v1 :: v_dual_mov_b32 v5, v1
	;; [unrolled: 1-line block ×3, first 2 shown]
	s_delay_alu instid0(VALU_DEP_4) | instskip(NEXT) | instid1(VALU_DEP_3)
	v_mov_b32_e32 v17, v8
	v_dual_mov_b32 v13, v4 :: v_dual_mov_b32 v12, v3
	s_delay_alu instid0(VALU_DEP_3) | instskip(NEXT) | instid1(VALU_DEP_4)
	v_dual_mov_b32 v15, v6 :: v_dual_mov_b32 v14, v5
	v_dual_mov_b32 v16, v7 :: v_dual_mov_b32 v11, v2
	;; [unrolled: 1-line block ×3, first 2 shown]
	v_mov_b32_e32 v8, v7
	v_mov_b32_e32 v7, v6
	;; [unrolled: 1-line block ×7, first 2 shown]
	s_and_saveexec_b32 s3, s2
	s_cbranch_execnz .LBB201_42
; %bb.31:                               ;   in Loop: Header=BB201_3 Depth=1
	s_wait_alu 0xfffe
	s_or_b32 exec_lo, exec_lo, s3
	s_and_saveexec_b32 s3, s2
	s_cbranch_execnz .LBB201_43
.LBB201_32:                             ;   in Loop: Header=BB201_3 Depth=1
	s_wait_alu 0xfffe
	s_or_b32 exec_lo, exec_lo, s3
	s_and_saveexec_b32 s3, s2
	s_cbranch_execnz .LBB201_44
.LBB201_33:                             ;   in Loop: Header=BB201_3 Depth=1
	s_wait_alu 0xfffe
	s_or_b32 exec_lo, exec_lo, s3
	s_and_saveexec_b32 s3, s2
	s_cbranch_execnz .LBB201_45
.LBB201_34:                             ;   in Loop: Header=BB201_3 Depth=1
	s_wait_alu 0xfffe
	s_or_b32 exec_lo, exec_lo, s3
	s_and_saveexec_b32 s3, s2
	s_cbranch_execnz .LBB201_46
.LBB201_35:                             ;   in Loop: Header=BB201_3 Depth=1
	s_wait_alu 0xfffe
	s_or_b32 exec_lo, exec_lo, s3
	s_and_saveexec_b32 s3, s2
	s_cbranch_execnz .LBB201_47
.LBB201_36:                             ;   in Loop: Header=BB201_3 Depth=1
	s_wait_alu 0xfffe
	s_or_b32 exec_lo, exec_lo, s3
	s_and_saveexec_b32 s3, s2
	s_cbranch_execnz .LBB201_48
.LBB201_37:                             ;   in Loop: Header=BB201_3 Depth=1
	s_wait_alu 0xfffe
	s_or_b32 exec_lo, exec_lo, s3
	s_and_saveexec_b32 s3, s2
	s_cbranch_execz .LBB201_39
.LBB201_38:                             ;   in Loop: Header=BB201_3 Depth=1
	v_add_co_u32 v20, vcc_lo, v30, v18
	s_wait_alu 0xfffd
	v_add_co_ci_u32_e64 v21, null, v31, v19, vcc_lo
	v_add_co_u32 v60, vcc_lo, v32, v18
	s_wait_alu 0xfffd
	v_add_co_ci_u32_e64 v61, null, v33, v19, vcc_lo
	global_load_u16 v9, v[20:21], off
	global_load_u16 v17, v[60:61], off
	s_wait_loadcnt 0x1
	v_lshlrev_b32_e32 v9, 16, v9
	s_wait_loadcnt 0x0
	v_lshlrev_b32_e32 v17, 16, v17
.LBB201_39:                             ;   in Loop: Header=BB201_3 Depth=1
	s_wait_alu 0xfffe
	s_or_b32 exec_lo, exec_lo, s3
	s_wait_loadcnt 0x0
	ds_bpermute_b32 v20, v1, v59
	ds_bpermute_b32 v21, v1, v59 offset:4
	ds_bpermute_b32 v60, v1, v59 offset:8
	v_dual_mul_f32 v2, v10, v2 :: v_dual_mul_f32 v3, v11, v3
	ds_bpermute_b32 v10, v1, v59 offset:12
	ds_bpermute_b32 v11, v1, v59 offset:16
	s_wait_dscnt 0x4
	v_fmac_f32_e32 v58, v2, v20
	v_mul_f32_e32 v2, v12, v4
	ds_bpermute_b32 v4, v1, v59 offset:20
	s_wait_dscnt 0x4
	v_fmac_f32_e32 v58, v3, v21
	v_mul_f32_e32 v3, v13, v5
	;; [unrolled: 4-line block ×3, first 2 shown]
	s_wait_dscnt 0x3
	s_delay_alu instid0(VALU_DEP_2) | instskip(SKIP_2) | instid1(VALU_DEP_2)
	v_fmac_f32_e32 v58, v3, v10
	v_mul_f32_e32 v3, v15, v7
	s_wait_dscnt 0x2
	v_fmac_f32_e32 v58, v2, v11
	ds_bpermute_b32 v2, v1, v59 offset:28
	s_wait_dscnt 0x2
	v_fmac_f32_e32 v58, v3, v4
	v_mul_f32_e32 v3, v16, v8
	s_wait_dscnt 0x1
	s_delay_alu instid0(VALU_DEP_1) | instskip(NEXT) | instid1(VALU_DEP_1)
	v_fmac_f32_e32 v58, v3, v5
	v_mov_b32_e32 v87, v58
.LBB201_40:                             ;   in Loop: Header=BB201_3 Depth=1
	v_add_co_u32 v26, vcc_lo, v26, s22
	s_wait_alu 0xfffd
	v_add_co_ci_u32_e64 v27, null, s23, v27, vcc_lo
	v_add_co_u32 v28, vcc_lo, v28, s22
	s_wait_alu 0xfffd
	v_add_co_ci_u32_e64 v29, null, s23, v29, vcc_lo
	;; [unrolled: 3-line block ×14, first 2 shown]
	v_add_co_u32 v54, vcc_lo, v54, s22
	v_mul_f32_e32 v3, v9, v17
	s_add_nc_u64 s[26:27], s[26:27], s[20:21]
	s_wait_alu 0xfffd
	v_add_co_ci_u32_e64 v55, null, s23, v55, vcc_lo
	v_add_co_u32 v56, vcc_lo, v56, s22
	s_wait_alu 0xfffe
	v_cmp_lt_i64_e64 s3, s[26:27], s[4:5]
	s_wait_alu 0xfffd
	v_add_co_ci_u32_e64 v57, null, s23, v57, vcc_lo
	v_add_co_u32 v23, vcc_lo, v23, s20
	s_wait_dscnt 0x0
	v_fmac_f32_e32 v87, v3, v2
	s_wait_alu 0xfffd
	v_add_co_ci_u32_e64 v25, null, 0, v25, vcc_lo
	s_and_b32 vcc_lo, exec_lo, s3
	s_add_nc_u64 s[24:25], s[24:25], s[20:21]
	s_wait_alu 0xfffe
	s_cbranch_vccz .LBB201_50
; %bb.41:                               ;   in Loop: Header=BB201_3 Depth=1
	v_mov_b32_e32 v58, v87
	s_branch .LBB201_3
.LBB201_42:                             ;   in Loop: Header=BB201_3 Depth=1
	v_add_co_u32 v2, vcc_lo, v26, v18
	s_wait_alu 0xfffd
	v_add_co_ci_u32_e64 v3, null, v27, v19, vcc_lo
	v_add_co_u32 v4, vcc_lo, v28, v18
	s_wait_alu 0xfffd
	v_add_co_ci_u32_e64 v5, null, v29, v19, vcc_lo
	global_load_u16 v2, v[2:3], off
	global_load_u16 v10, v[4:5], off
	v_dual_mov_b32 v3, v1 :: v_dual_mov_b32 v4, v1
	v_dual_mov_b32 v5, v1 :: v_dual_mov_b32 v6, v1
	v_dual_mov_b32 v7, v1 :: v_dual_mov_b32 v8, v1
	v_dual_mov_b32 v9, v1 :: v_dual_mov_b32 v12, v1
	v_dual_mov_b32 v11, v1 :: v_dual_mov_b32 v14, v1
	v_dual_mov_b32 v13, v1 :: v_dual_mov_b32 v16, v1
	v_mov_b32_e32 v15, v1
	s_wait_loadcnt 0x1
	v_dual_mov_b32 v17, v1 :: v_dual_lshlrev_b32 v2, 16, v2
	s_wait_loadcnt 0x0
	v_lshlrev_b32_e32 v10, 16, v10
	s_wait_alu 0xfffe
	s_or_b32 exec_lo, exec_lo, s3
	s_and_saveexec_b32 s3, s2
	s_cbranch_execz .LBB201_32
.LBB201_43:                             ;   in Loop: Header=BB201_3 Depth=1
	v_add_co_u32 v20, vcc_lo, v54, v18
	s_wait_alu 0xfffd
	v_add_co_ci_u32_e64 v21, null, v55, v19, vcc_lo
	v_add_co_u32 v60, vcc_lo, v56, v18
	s_wait_alu 0xfffd
	v_add_co_ci_u32_e64 v61, null, v57, v19, vcc_lo
	global_load_u16 v3, v[20:21], off
	global_load_u16 v11, v[60:61], off
	s_wait_loadcnt 0x1
	v_lshlrev_b32_e32 v3, 16, v3
	s_wait_loadcnt 0x0
	v_lshlrev_b32_e32 v11, 16, v11
	s_wait_alu 0xfffe
	s_or_b32 exec_lo, exec_lo, s3
	s_and_saveexec_b32 s3, s2
	s_cbranch_execz .LBB201_33
.LBB201_44:                             ;   in Loop: Header=BB201_3 Depth=1
	v_add_co_u32 v20, vcc_lo, v50, v18
	s_wait_alu 0xfffd
	v_add_co_ci_u32_e64 v21, null, v51, v19, vcc_lo
	v_add_co_u32 v60, vcc_lo, v52, v18
	s_wait_alu 0xfffd
	v_add_co_ci_u32_e64 v61, null, v53, v19, vcc_lo
	global_load_u16 v4, v[20:21], off
	global_load_u16 v12, v[60:61], off
	s_wait_loadcnt 0x1
	v_lshlrev_b32_e32 v4, 16, v4
	s_wait_loadcnt 0x0
	v_lshlrev_b32_e32 v12, 16, v12
	s_wait_alu 0xfffe
	s_or_b32 exec_lo, exec_lo, s3
	s_and_saveexec_b32 s3, s2
	s_cbranch_execz .LBB201_34
.LBB201_45:                             ;   in Loop: Header=BB201_3 Depth=1
	v_add_co_u32 v20, vcc_lo, v46, v18
	s_wait_alu 0xfffd
	v_add_co_ci_u32_e64 v21, null, v47, v19, vcc_lo
	v_add_co_u32 v60, vcc_lo, v48, v18
	s_wait_alu 0xfffd
	v_add_co_ci_u32_e64 v61, null, v49, v19, vcc_lo
	global_load_u16 v5, v[20:21], off
	global_load_u16 v13, v[60:61], off
	s_wait_loadcnt 0x1
	v_lshlrev_b32_e32 v5, 16, v5
	s_wait_loadcnt 0x0
	v_lshlrev_b32_e32 v13, 16, v13
	s_wait_alu 0xfffe
	s_or_b32 exec_lo, exec_lo, s3
	s_and_saveexec_b32 s3, s2
	s_cbranch_execz .LBB201_35
.LBB201_46:                             ;   in Loop: Header=BB201_3 Depth=1
	v_add_co_u32 v20, vcc_lo, v42, v18
	s_wait_alu 0xfffd
	v_add_co_ci_u32_e64 v21, null, v43, v19, vcc_lo
	v_add_co_u32 v60, vcc_lo, v44, v18
	s_wait_alu 0xfffd
	v_add_co_ci_u32_e64 v61, null, v45, v19, vcc_lo
	global_load_u16 v6, v[20:21], off
	global_load_u16 v14, v[60:61], off
	s_wait_loadcnt 0x1
	v_lshlrev_b32_e32 v6, 16, v6
	s_wait_loadcnt 0x0
	v_lshlrev_b32_e32 v14, 16, v14
	s_wait_alu 0xfffe
	s_or_b32 exec_lo, exec_lo, s3
	s_and_saveexec_b32 s3, s2
	s_cbranch_execz .LBB201_36
.LBB201_47:                             ;   in Loop: Header=BB201_3 Depth=1
	v_add_co_u32 v20, vcc_lo, v38, v18
	s_wait_alu 0xfffd
	v_add_co_ci_u32_e64 v21, null, v39, v19, vcc_lo
	v_add_co_u32 v60, vcc_lo, v40, v18
	s_wait_alu 0xfffd
	v_add_co_ci_u32_e64 v61, null, v41, v19, vcc_lo
	global_load_u16 v7, v[20:21], off
	global_load_u16 v15, v[60:61], off
	s_wait_loadcnt 0x1
	v_lshlrev_b32_e32 v7, 16, v7
	s_wait_loadcnt 0x0
	v_lshlrev_b32_e32 v15, 16, v15
	s_wait_alu 0xfffe
	s_or_b32 exec_lo, exec_lo, s3
	s_and_saveexec_b32 s3, s2
	s_cbranch_execz .LBB201_37
.LBB201_48:                             ;   in Loop: Header=BB201_3 Depth=1
	v_add_co_u32 v20, vcc_lo, v34, v18
	s_wait_alu 0xfffd
	v_add_co_ci_u32_e64 v21, null, v35, v19, vcc_lo
	v_add_co_u32 v60, vcc_lo, v36, v18
	s_wait_alu 0xfffd
	v_add_co_ci_u32_e64 v61, null, v37, v19, vcc_lo
	global_load_u16 v8, v[20:21], off
	global_load_u16 v16, v[60:61], off
	s_wait_loadcnt 0x1
	v_lshlrev_b32_e32 v8, 16, v8
	s_wait_loadcnt 0x0
	v_lshlrev_b32_e32 v16, 16, v16
	s_wait_alu 0xfffe
	s_or_b32 exec_lo, exec_lo, s3
	s_and_saveexec_b32 s3, s2
	s_cbranch_execnz .LBB201_38
	s_branch .LBB201_39
.LBB201_49:
                                        ; implicit-def: $vgpr87
	s_load_b64 s[16:17], s[0:1], 0x30
	s_branch .LBB201_51
.LBB201_50:
	s_load_b64 s[16:17], s[0:1], 0x30
	s_cbranch_execnz .LBB201_83
.LBB201_51:
	v_mov_b32_e32 v87, 0
	s_and_not1_b32 vcc_lo, exec_lo, s29
	s_wait_alu 0xfffe
	s_cbranch_vccnz .LBB201_83
; %bb.52:
	v_bfe_u32 v50, v0, 10, 10
	v_dual_mov_b32 v1, 0 :: v_dual_and_b32 v52, 0x3ff, v0
	s_lshl_b64 s[22:23], s[14:15], 1
	s_mov_b32 s3, 0
	s_delay_alu instid0(VALU_DEP_2) | instskip(NEXT) | instid1(VALU_DEP_2)
	v_dual_mov_b32 v86, 0 :: v_dual_lshlrev_b32 v51, 3, v50
	v_dual_mov_b32 v53, v1 :: v_dual_lshlrev_b32 v8, 4, v50
	v_dual_mov_b32 v5, v1 :: v_dual_add_nc_u32 v4, s28, v52
	s_delay_alu instid0(VALU_DEP_3) | instskip(SKIP_2) | instid1(VALU_DEP_3)
	v_add_co_u32 v10, s2, v51, s14
	s_wait_alu 0xf1ff
	v_add_co_ci_u32_e64 v11, null, 0, 0, s2
	v_lshlrev_b64_e32 v[18:19], 1, v[4:5]
	s_delay_alu instid0(VALU_DEP_3) | instskip(SKIP_1) | instid1(VALU_DEP_4)
	v_mul_lo_u32 v6, s7, v10
	v_mad_co_u64_u32 v[2:3], null, s6, v10, 0
	v_mul_lo_u32 v7, s6, v11
	s_load_b32 s2, s[0:1], 0x44
	s_mov_b32 s21, s3
	s_add_nc_u64 s[18:19], s[0:1], 64
	s_delay_alu instid0(VALU_DEP_1) | instskip(SKIP_3) | instid1(VALU_DEP_3)
	v_add3_u32 v3, v3, v7, v6
	v_add_co_u32 v6, s20, v8, s22
	s_wait_alu 0xf1ff
	v_add_co_ci_u32_e64 v7, null, 0, s23, s20
	v_lshlrev_b64_e32 v[4:5], 1, v[2:3]
	s_delay_alu instid0(VALU_DEP_3) | instskip(SKIP_1) | instid1(VALU_DEP_3)
	v_add_co_u32 v8, vcc_lo, v6, 2
	s_wait_alu 0xfffd
	v_add_co_ci_u32_e64 v9, null, 0, v7, vcc_lo
	s_delay_alu instid0(VALU_DEP_3)
	v_add_co_u32 v54, vcc_lo, s8, v4
	s_wait_alu 0xfffd
	v_add_co_ci_u32_e64 v55, null, s9, v5, vcc_lo
	v_add_co_u32 v56, vcc_lo, s10, v4
	s_wait_alu 0xfffd
	v_add_co_ci_u32_e64 v57, null, s11, v5, vcc_lo
	;; [unrolled: 3-line block ×5, first 2 shown]
	v_add_co_u32 v42, vcc_lo, v6, 10
	v_mad_co_u64_u32 v[22:23], null, s6, v4, s[8:9]
	v_mul_lo_u32 v5, s6, v5
	v_mul_lo_u32 v15, s7, v4
	v_mad_co_u64_u32 v[36:37], null, s6, v4, s[10:11]
	s_wait_alu 0xfffd
	v_add_co_ci_u32_e64 v30, null, 0, v7, vcc_lo
	v_add_co_u32 v44, vcc_lo, v6, 12
	s_wait_alu 0xfffd
	v_add_co_ci_u32_e64 v32, null, 0, v7, vcc_lo
	v_add_co_u32 v6, vcc_lo, v6, 14
	v_mad_co_u64_u32 v[20:21], null, s6, v8, s[8:9]
	v_mul_lo_u32 v9, s6, v9
	v_mul_lo_u32 v12, s7, v8
	v_mad_co_u64_u32 v[34:35], null, s6, v8, s[10:11]
	s_wait_alu 0xfffd
	v_add_co_ci_u32_e64 v7, null, 0, v7, vcc_lo
	v_add_co_u32 v4, vcc_lo, v10, 7
	v_add3_u32 v23, v15, v23, v5
	v_add3_u32 v37, v15, v37, v5
	s_wait_alu 0xfffd
	v_add_co_ci_u32_e64 v5, null, 0, v11, vcc_lo
	v_mul_lo_u32 v62, s6, v7
	v_add_co_u32 v7, vcc_lo, v10, 6
	v_add3_u32 v21, v12, v21, v9
	v_add3_u32 v35, v12, v35, v9
	s_wait_alu 0xfffd
	v_add_co_ci_u32_e64 v12, null, 0, v11, vcc_lo
	v_mul_lo_u32 v8, s7, v4
	v_mul_lo_u32 v9, s6, v5
	v_mad_co_u64_u32 v[4:5], null, s6, v4, 0
	v_mad_co_u64_u32 v[24:25], null, s6, v13, s[8:9]
	v_mul_lo_u32 v17, s7, v13
	v_mul_lo_u32 v60, s6, v32
	v_mad_co_u64_u32 v[32:33], null, s6, v6, s[8:9]
	v_mul_lo_u32 v63, s7, v6
	v_mad_co_u64_u32 v[38:39], null, s6, v13, s[10:11]
	v_mad_co_u64_u32 v[46:47], null, s6, v6, s[10:11]
	v_mul_lo_u32 v13, s7, v7
	v_mul_lo_u32 v12, s6, v12
	v_mad_co_u64_u32 v[6:7], null, s6, v7, 0
	v_add3_u32 v5, v5, v9, v8
	v_add_co_u32 v8, vcc_lo, v10, 5
	v_mul_lo_u32 v48, s6, v28
	v_mad_co_u64_u32 v[28:29], null, s6, v42, s[8:9]
	v_mul_lo_u32 v58, s6, v30
	v_mul_lo_u32 v59, s7, v42
	v_mad_co_u64_u32 v[42:43], null, s6, v42, s[10:11]
	s_wait_alu 0xfffd
	v_add_co_ci_u32_e64 v9, null, 0, v11, vcc_lo
	v_add3_u32 v7, v7, v12, v13
	v_mad_co_u64_u32 v[30:31], null, s6, v44, s[8:9]
	v_mul_lo_u32 v61, s7, v44
	v_mad_co_u64_u32 v[44:45], null, s6, v44, s[10:11]
	v_lshlrev_b64_e32 v[4:5], 1, v[4:5]
	v_mul_lo_u32 v12, s7, v8
	v_mul_lo_u32 v13, s6, v9
	v_mad_co_u64_u32 v[8:9], null, s6, v8, 0
	v_lshlrev_b64_e32 v[6:7], 1, v[6:7]
	v_add3_u32 v29, v59, v29, v58
	v_add3_u32 v43, v59, v43, v58
	v_add_co_u32 v58, vcc_lo, s8, v4
	v_add3_u32 v31, v61, v31, v60
	v_add3_u32 v45, v61, v45, v60
	s_wait_alu 0xfffd
	v_add_co_ci_u32_e64 v59, null, s9, v5, vcc_lo
	v_add_co_u32 v60, vcc_lo, s10, v4
	v_add3_u32 v33, v63, v33, v62
	v_add3_u32 v47, v63, v47, v62
	s_wait_alu 0xfffd
	v_add_co_ci_u32_e64 v61, null, s11, v5, vcc_lo
	v_add_co_u32 v62, vcc_lo, s8, v6
	v_mul_lo_u32 v14, s6, v14
	v_add3_u32 v9, v9, v13, v12
	s_wait_alu 0xfffd
	v_add_co_ci_u32_e64 v63, null, s9, v7, vcc_lo
	v_add_co_u32 v12, vcc_lo, v10, 4
	s_wait_kmcnt 0x0
	s_lshl_b32 s20, s2, 3
	v_add_co_u32 v64, s2, s10, v6
	s_wait_alu 0xfffd
	v_add_co_ci_u32_e64 v6, null, 0, v11, vcc_lo
	v_lshlrev_b64_e32 v[4:5], 1, v[8:9]
	v_add_co_u32 v8, vcc_lo, v10, 3
	s_wait_alu 0xfffd
	v_add_co_ci_u32_e64 v9, null, 0, v11, vcc_lo
	v_add3_u32 v25, v17, v25, v14
	v_add3_u32 v39, v17, v39, v14
	s_wait_alu 0xf1ff
	v_add_co_ci_u32_e64 v65, null, s11, v7, s2
	v_mul_lo_u32 v13, s7, v12
	v_mul_lo_u32 v14, s6, v6
	v_mad_co_u64_u32 v[6:7], null, s6, v12, 0
	v_mul_lo_u32 v12, s7, v8
	v_mul_lo_u32 v15, s6, v9
	v_mad_co_u64_u32 v[8:9], null, s6, v8, 0
	v_add_co_u32 v66, vcc_lo, s8, v4
	s_wait_alu 0xfffd
	v_add_co_ci_u32_e64 v67, null, s9, v5, vcc_lo
	v_add3_u32 v7, v7, v14, v13
	v_add_co_u32 v68, vcc_lo, s10, v4
	s_wait_alu 0xfffd
	v_add_co_ci_u32_e64 v69, null, s11, v5, vcc_lo
	v_add_co_u32 v10, vcc_lo, v10, 2
	v_add3_u32 v9, v9, v15, v12
	s_wait_alu 0xfffd
	v_add_co_ci_u32_e64 v11, null, 0, v11, vcc_lo
	v_lshlrev_b64_e32 v[4:5], 1, v[6:7]
	v_mul_lo_u32 v12, s7, v10
	v_lshlrev_b64_e32 v[6:7], 1, v[8:9]
	s_delay_alu instid0(VALU_DEP_4)
	v_mul_lo_u32 v11, s6, v11
	v_mad_co_u64_u32 v[8:9], null, s6, v10, 0
	v_add_co_u32 v70, vcc_lo, s8, v4
	s_wait_alu 0xfffd
	v_add_co_ci_u32_e64 v71, null, s9, v5, vcc_lo
	v_add_co_u32 v72, vcc_lo, s10, v4
	s_wait_alu 0xfffd
	v_add_co_ci_u32_e64 v73, null, s11, v5, vcc_lo
	;; [unrolled: 3-line block ×3, first 2 shown]
	v_add3_u32 v9, v9, v11, v12
	v_add_co_u32 v76, vcc_lo, s10, v6
	s_wait_alu 0xfffd
	v_add_co_ci_u32_e64 v77, null, s11, v7, vcc_lo
	v_add_co_u32 v2, vcc_lo, v2, s6
	s_wait_alu 0xfffd
	v_add_co_ci_u32_e64 v3, null, s7, v3, vcc_lo
	v_lshlrev_b64_e32 v[4:5], 1, v[8:9]
	v_mad_co_u64_u32 v[26:27], null, s6, v16, s[8:9]
	s_delay_alu instid0(VALU_DEP_3)
	v_lshlrev_b64_e32 v[2:3], 1, v[2:3]
	v_mul_lo_u32 v49, s7, v16
	v_mad_co_u64_u32 v[40:41], null, s6, v16, s[10:11]
	v_add_co_u32 v78, vcc_lo, s8, v4
	s_wait_alu 0xfffd
	v_add_co_ci_u32_e64 v79, null, s9, v5, vcc_lo
	v_add_co_u32 v80, vcc_lo, s10, v4
	s_wait_alu 0xfffd
	v_add_co_ci_u32_e64 v81, null, s11, v5, vcc_lo
	;; [unrolled: 3-line block ×3, first 2 shown]
	v_add_co_u32 v84, vcc_lo, s10, v2
	v_add3_u32 v27, v49, v27, v48
	v_add3_u32 v41, v49, v41, v48
	s_wait_alu 0xfffd
	v_add_co_ci_u32_e64 v85, null, s11, v3, vcc_lo
	s_wait_alu 0xfffe
	s_mul_u64 s[22:23], s[6:7], s[20:21]
	s_mov_b64 s[10:11], 7
	s_wait_alu 0xfffe
	s_lshl_b64 s[8:9], s[22:23], 1
	s_mov_b64 s[22:23], s[14:15]
.LBB201_53:                             ; =>This Inner Loop Header: Depth=1
	s_add_nc_u64 s[24:25], s[14:15], s[10:11]
	v_add_co_u32 v48, vcc_lo, s14, v51
	s_wait_alu 0xfffe
	v_cmp_ge_i64_e64 s2, s[24:25], s[4:5]
	s_wait_alu 0xfffd
	v_add_co_ci_u32_e64 v49, null, 0, v53, vcc_lo
                                        ; implicit-def: $vgpr87
	s_and_b32 vcc_lo, exec_lo, s2
	s_mov_b32 s2, -1
	s_wait_alu 0xfffe
	s_cbranch_vccz .LBB201_75
; %bb.54:                               ;   in Loop: Header=BB201_53 Depth=1
	s_load_b32 s2, s[18:19], 0xc
	v_mov_b32_e32 v88, 0
	s_wait_kmcnt 0x0
	s_and_b32 s2, s2, 0xffff
	s_wait_alu 0xfffe
	v_mad_u32_u24 v2, v50, s2, v52
	s_mov_b32 s2, exec_lo
	s_delay_alu instid0(VALU_DEP_1) | instskip(NEXT) | instid1(VALU_DEP_1)
	v_and_b32_e32 v2, 31, v2
	v_cmpx_gt_u32_e32 8, v2
	s_cbranch_execz .LBB201_58
; %bb.55:                               ;   in Loop: Header=BB201_53 Depth=1
	v_add_co_u32 v2, vcc_lo, v48, v2
	s_wait_alu 0xfffd
	v_add_co_ci_u32_e64 v3, null, 0, v49, vcc_lo
	v_mov_b32_e32 v88, 0
	s_mov_b32 s24, exec_lo
	s_delay_alu instid0(VALU_DEP_2)
	v_cmpx_gt_i64_e64 s[4:5], v[2:3]
	s_cbranch_execz .LBB201_57
; %bb.56:                               ;   in Loop: Header=BB201_53 Depth=1
	v_lshlrev_b64_e32 v[2:3], 2, v[2:3]
	s_delay_alu instid0(VALU_DEP_1) | instskip(SKIP_1) | instid1(VALU_DEP_2)
	v_add_co_u32 v2, vcc_lo, s12, v2
	s_wait_alu 0xfffd
	v_add_co_ci_u32_e64 v3, null, s13, v3, vcc_lo
	global_load_b32 v88, v[2:3], off
.LBB201_57:                             ;   in Loop: Header=BB201_53 Depth=1
	s_wait_alu 0xfffe
	s_or_b32 exec_lo, exec_lo, s24
.LBB201_58:                             ;   in Loop: Header=BB201_53 Depth=1
	s_wait_alu 0xfffe
	s_or_b32 exec_lo, exec_lo, s2
	v_mov_b32_e32 v8, v1
	v_dual_mov_b32 v2, v1 :: v_dual_mov_b32 v3, v1
	v_dual_mov_b32 v4, v1 :: v_dual_mov_b32 v5, v1
	;; [unrolled: 1-line block ×3, first 2 shown]
	s_delay_alu instid0(VALU_DEP_4) | instskip(NEXT) | instid1(VALU_DEP_3)
	v_mov_b32_e32 v17, v8
	v_dual_mov_b32 v13, v4 :: v_dual_mov_b32 v12, v3
	s_delay_alu instid0(VALU_DEP_3) | instskip(NEXT) | instid1(VALU_DEP_4)
	v_dual_mov_b32 v15, v6 :: v_dual_mov_b32 v14, v5
	v_dual_mov_b32 v16, v7 :: v_dual_mov_b32 v11, v2
	;; [unrolled: 1-line block ×3, first 2 shown]
	v_mov_b32_e32 v8, v7
	v_mov_b32_e32 v7, v6
	;; [unrolled: 1-line block ×7, first 2 shown]
	s_mov_b32 s2, exec_lo
	v_cmpx_gt_i64_e64 s[4:5], v[48:49]
	s_cbranch_execz .LBB201_60
; %bb.59:                               ;   in Loop: Header=BB201_53 Depth=1
	v_add_co_u32 v2, vcc_lo, v54, v18
	s_wait_alu 0xfffd
	v_add_co_ci_u32_e64 v3, null, v55, v19, vcc_lo
	v_add_co_u32 v4, vcc_lo, v56, v18
	s_wait_alu 0xfffd
	v_add_co_ci_u32_e64 v5, null, v57, v19, vcc_lo
	global_load_u16 v2, v[2:3], off
	global_load_u16 v10, v[4:5], off
	v_dual_mov_b32 v3, v1 :: v_dual_mov_b32 v4, v1
	v_dual_mov_b32 v5, v1 :: v_dual_mov_b32 v6, v1
	;; [unrolled: 1-line block ×6, first 2 shown]
	v_mov_b32_e32 v15, v1
	s_wait_loadcnt 0x1
	v_dual_mov_b32 v17, v1 :: v_dual_lshlrev_b32 v2, 16, v2
	s_wait_loadcnt 0x0
	v_lshlrev_b32_e32 v10, 16, v10
.LBB201_60:                             ;   in Loop: Header=BB201_53 Depth=1
	s_wait_alu 0xfffe
	s_or_b32 exec_lo, exec_lo, s2
	v_add_co_u32 v89, vcc_lo, v48, 1
	s_wait_alu 0xfffd
	v_add_co_ci_u32_e64 v90, null, 0, v49, vcc_lo
	s_mov_b32 s2, exec_lo
	v_cmpx_gt_i64_e64 s[4:5], v[89:90]
	s_cbranch_execz .LBB201_62
; %bb.61:                               ;   in Loop: Header=BB201_53 Depth=1
	v_add_co_u32 v89, vcc_lo, v82, v18
	s_wait_alu 0xfffd
	v_add_co_ci_u32_e64 v90, null, v83, v19, vcc_lo
	v_add_co_u32 v91, vcc_lo, v84, v18
	s_wait_alu 0xfffd
	v_add_co_ci_u32_e64 v92, null, v85, v19, vcc_lo
	global_load_u16 v3, v[89:90], off
	global_load_u16 v11, v[91:92], off
	s_wait_loadcnt 0x1
	v_lshlrev_b32_e32 v3, 16, v3
	s_wait_loadcnt 0x0
	v_lshlrev_b32_e32 v11, 16, v11
.LBB201_62:                             ;   in Loop: Header=BB201_53 Depth=1
	s_wait_alu 0xfffe
	s_or_b32 exec_lo, exec_lo, s2
	v_add_co_u32 v89, vcc_lo, v48, 2
	s_wait_alu 0xfffd
	v_add_co_ci_u32_e64 v90, null, 0, v49, vcc_lo
	s_mov_b32 s2, exec_lo
	v_cmpx_gt_i64_e64 s[4:5], v[89:90]
	s_cbranch_execz .LBB201_64
; %bb.63:                               ;   in Loop: Header=BB201_53 Depth=1
	v_add_co_u32 v89, vcc_lo, v78, v18
	s_wait_alu 0xfffd
	v_add_co_ci_u32_e64 v90, null, v79, v19, vcc_lo
	v_add_co_u32 v91, vcc_lo, v80, v18
	s_wait_alu 0xfffd
	v_add_co_ci_u32_e64 v92, null, v81, v19, vcc_lo
	global_load_u16 v4, v[89:90], off
	global_load_u16 v12, v[91:92], off
	s_wait_loadcnt 0x1
	v_lshlrev_b32_e32 v4, 16, v4
	s_wait_loadcnt 0x0
	v_lshlrev_b32_e32 v12, 16, v12
.LBB201_64:                             ;   in Loop: Header=BB201_53 Depth=1
	;; [unrolled: 22-line block ×7, first 2 shown]
	s_wait_alu 0xfffe
	s_or_b32 exec_lo, exec_lo, s2
	s_wait_loadcnt 0x0
	ds_bpermute_b32 v87, v1, v88
	ds_bpermute_b32 v89, v1, v88 offset:4
	ds_bpermute_b32 v90, v1, v88 offset:8
	v_dual_mul_f32 v2, v10, v2 :: v_dual_mul_f32 v3, v11, v3
	ds_bpermute_b32 v10, v1, v88 offset:12
	ds_bpermute_b32 v11, v1, v88 offset:16
	s_mov_b32 s2, 0
	s_wait_dscnt 0x4
	v_fma_f32 v87, v2, v87, v86
	v_mul_f32_e32 v2, v12, v4
	ds_bpermute_b32 v4, v1, v88 offset:20
	s_wait_dscnt 0x4
	v_fmac_f32_e32 v87, v3, v89
	v_mul_f32_e32 v3, v13, v5
	ds_bpermute_b32 v5, v1, v88 offset:24
	s_wait_dscnt 0x4
	v_fmac_f32_e32 v87, v2, v90
	v_mul_f32_e32 v2, v14, v6
	v_mul_f32_e32 v6, v15, v7
	s_wait_dscnt 0x3
	s_delay_alu instid0(VALU_DEP_3) | instskip(SKIP_4) | instid1(VALU_DEP_1)
	v_fmac_f32_e32 v87, v3, v10
	ds_bpermute_b32 v3, v1, v88 offset:28
	s_wait_dscnt 0x3
	v_dual_fmac_f32 v87, v2, v11 :: v_dual_mul_f32 v2, v16, v8
	s_wait_dscnt 0x2
	v_fmac_f32_e32 v87, v6, v4
	s_wait_dscnt 0x1
	s_delay_alu instid0(VALU_DEP_1) | instskip(SKIP_2) | instid1(VALU_DEP_1)
	v_fmac_f32_e32 v87, v2, v5
	v_mul_f32_e32 v2, v17, v9
	s_wait_dscnt 0x0
	v_fmac_f32_e32 v87, v2, v3
.LBB201_75:                             ;   in Loop: Header=BB201_53 Depth=1
	s_wait_alu 0xfffe
	s_and_b32 vcc_lo, exec_lo, s2
	s_wait_alu 0xfffe
	s_cbranch_vccz .LBB201_81
; %bb.76:                               ;   in Loop: Header=BB201_53 Depth=1
	s_load_b32 s2, s[18:19], 0x0
	v_mov_b32_e32 v4, 0
	s_wait_kmcnt 0x0
	s_cmp_lt_u32 ttmp9, s2
	s_cselect_b32 s2, 12, 18
	s_wait_alu 0xfffe
	s_add_nc_u64 s[24:25], s[18:19], s[2:3]
	s_load_u16 s2, s[24:25], 0x0
	s_wait_kmcnt 0x0
	v_mad_u32_u24 v2, v50, s2, v52
	s_mov_b32 s2, exec_lo
	s_delay_alu instid0(VALU_DEP_1) | instskip(NEXT) | instid1(VALU_DEP_1)
	v_and_b32_e32 v2, 31, v2
	v_cmpx_gt_u32_e32 8, v2
	s_cbranch_execz .LBB201_80
; %bb.77:                               ;   in Loop: Header=BB201_53 Depth=1
	v_add_co_u32 v2, vcc_lo, v48, v2
	s_wait_alu 0xfffd
	v_add_co_ci_u32_e64 v3, null, 0, v49, vcc_lo
	v_mov_b32_e32 v4, 0
	s_mov_b32 s24, exec_lo
	s_delay_alu instid0(VALU_DEP_2)
	v_cmpx_gt_i64_e64 s[4:5], v[2:3]
	s_cbranch_execz .LBB201_79
; %bb.78:                               ;   in Loop: Header=BB201_53 Depth=1
	v_lshlrev_b64_e32 v[2:3], 2, v[2:3]
	s_delay_alu instid0(VALU_DEP_1) | instskip(SKIP_1) | instid1(VALU_DEP_2)
	v_add_co_u32 v2, vcc_lo, s12, v2
	s_wait_alu 0xfffd
	v_add_co_ci_u32_e64 v3, null, s13, v3, vcc_lo
	global_load_b32 v4, v[2:3], off
.LBB201_79:                             ;   in Loop: Header=BB201_53 Depth=1
	s_wait_alu 0xfffe
	s_or_b32 exec_lo, exec_lo, s24
.LBB201_80:                             ;   in Loop: Header=BB201_53 Depth=1
	s_wait_alu 0xfffe
	s_or_b32 exec_lo, exec_lo, s2
	v_add_co_u32 v2, vcc_lo, v54, v18
	s_wait_alu 0xfffd
	v_add_co_ci_u32_e64 v3, null, v55, v19, vcc_lo
	v_add_co_u32 v5, vcc_lo, v56, v18
	s_wait_alu 0xfffd
	v_add_co_ci_u32_e64 v6, null, v57, v19, vcc_lo
	;; [unrolled: 3-line block ×4, first 2 shown]
	global_load_u16 v13, v[2:3], off
	global_load_u16 v14, v[5:6], off
	;; [unrolled: 1-line block ×4, first 2 shown]
	v_add_co_u32 v2, vcc_lo, v22, v18
	s_wait_alu 0xfffd
	v_add_co_ci_u32_e64 v3, null, v23, v19, vcc_lo
	v_add_co_u32 v5, vcc_lo, v36, v18
	s_wait_alu 0xfffd
	v_add_co_ci_u32_e64 v6, null, v37, v19, vcc_lo
	global_load_u16 v17, v[2:3], off
	v_add_co_u32 v2, vcc_lo, v24, v18
	s_wait_alu 0xfffd
	v_add_co_ci_u32_e64 v3, null, v25, v19, vcc_lo
	v_add_co_u32 v7, vcc_lo, v38, v18
	s_wait_alu 0xfffd
	v_add_co_ci_u32_e64 v8, null, v39, v19, vcc_lo
	;; [unrolled: 3-line block ×4, first 2 shown]
	global_load_u16 v48, v[5:6], off
	global_load_u16 v49, v[2:3], off
	;; [unrolled: 1-line block ×5, first 2 shown]
	v_add_co_u32 v2, vcc_lo, v28, v18
	s_wait_alu 0xfffd
	v_add_co_ci_u32_e64 v3, null, v29, v19, vcc_lo
	v_add_co_u32 v5, vcc_lo, v42, v18
	s_wait_alu 0xfffd
	v_add_co_ci_u32_e64 v6, null, v43, v19, vcc_lo
	;; [unrolled: 3-line block ×4, first 2 shown]
	global_load_u16 v12, v[2:3], off
	global_load_u16 v89, v[5:6], off
	global_load_u16 v7, v[7:8], off
	global_load_u16 v8, v[9:10], off
	v_add_co_u32 v2, vcc_lo, v46, v18
	s_wait_alu 0xfffd
	v_add_co_ci_u32_e64 v3, null, v47, v19, vcc_lo
	v_add_co_u32 v5, vcc_lo, v32, v18
	s_wait_alu 0xfffd
	v_add_co_ci_u32_e64 v6, null, v33, v19, vcc_lo
	global_load_u16 v2, v[2:3], off
	global_load_u16 v3, v[5:6], off
	s_wait_loadcnt 0x10
	ds_bpermute_b32 v5, v1, v4
	ds_bpermute_b32 v6, v1, v4 offset:4
	ds_bpermute_b32 v9, v1, v4 offset:8
	s_wait_loadcnt 0xd
	v_lshlrev_b32_e32 v15, 16, v15
	s_wait_loadcnt 0x6
	v_lshlrev_b32_e32 v11, 16, v11
	v_lshlrev_b32_e32 v16, 16, v16
	;; [unrolled: 1-line block ×3, first 2 shown]
	ds_bpermute_b32 v14, v1, v4 offset:12
	v_mul_f32_e32 v15, v15, v16
	v_lshlrev_b32_e32 v13, 16, v13
	v_lshlrev_b32_e32 v16, 16, v49
	s_delay_alu instid0(VALU_DEP_2)
	v_mul_f32_e32 v10, v13, v10
	ds_bpermute_b32 v13, v1, v4 offset:16
	s_wait_loadcnt 0x5
	v_lshlrev_b32_e32 v12, 16, v12
	v_lshlrev_b32_e32 v48, 16, v48
	s_wait_loadcnt 0x3
	v_lshlrev_b32_e32 v7, 16, v7
	s_wait_loadcnt 0x2
	v_lshlrev_b32_e32 v8, 16, v8
	s_wait_dscnt 0x4
	v_fmac_f32_e32 v86, v10, v5
	v_lshlrev_b32_e32 v10, 16, v87
	ds_bpermute_b32 v5, v1, v4 offset:20
	v_mul_f32_e32 v7, v7, v8
	v_dual_mul_f32 v10, v16, v10 :: v_dual_lshlrev_b32 v17, 16, v17
	s_wait_loadcnt 0x1
	s_delay_alu instid0(VALU_DEP_1)
	v_dual_mul_f32 v17, v17, v48 :: v_dual_lshlrev_b32 v2, 16, v2
	s_wait_dscnt 0x4
	v_fmac_f32_e32 v86, v15, v6
	ds_bpermute_b32 v6, v1, v4 offset:24
	ds_bpermute_b32 v4, v1, v4 offset:28
	s_wait_loadcnt_dscnt 0x5
	v_dual_fmac_f32 v86, v17, v9 :: v_dual_lshlrev_b32 v3, 16, v3
	v_lshlrev_b32_e32 v15, 16, v88
	s_delay_alu instid0(VALU_DEP_2) | instskip(SKIP_1) | instid1(VALU_DEP_2)
	v_dual_mul_f32 v2, v3, v2 :: v_dual_lshlrev_b32 v9, 16, v89
	s_wait_dscnt 0x4
	v_dual_fmac_f32 v86, v10, v14 :: v_dual_mul_f32 v11, v15, v11
	s_delay_alu instid0(VALU_DEP_2) | instskip(SKIP_1) | instid1(VALU_DEP_2)
	v_mul_f32_e32 v9, v12, v9
	s_wait_dscnt 0x3
	v_fmac_f32_e32 v86, v11, v13
	s_wait_dscnt 0x2
	s_delay_alu instid0(VALU_DEP_1) | instskip(SKIP_1) | instid1(VALU_DEP_1)
	v_fmac_f32_e32 v86, v9, v5
	s_wait_dscnt 0x1
	v_fmac_f32_e32 v86, v7, v6
	s_wait_dscnt 0x0
	s_delay_alu instid0(VALU_DEP_1) | instskip(NEXT) | instid1(VALU_DEP_1)
	v_fmac_f32_e32 v86, v2, v4
	v_mov_b32_e32 v87, v86
.LBB201_81:                             ;   in Loop: Header=BB201_53 Depth=1
	v_add_co_u32 v54, vcc_lo, v54, s8
	s_wait_alu 0xfffd
	v_add_co_ci_u32_e64 v55, null, s9, v55, vcc_lo
	v_add_co_u32 v56, vcc_lo, v56, s8
	s_wait_alu 0xfffd
	v_add_co_ci_u32_e64 v57, null, s9, v57, vcc_lo
	;; [unrolled: 3-line block ×28, first 2 shown]
	v_add_co_u32 v80, vcc_lo, v80, s8
	s_add_nc_u64 s[22:23], s[22:23], s[20:21]
	s_wait_alu 0xfffd
	v_add_co_ci_u32_e64 v81, null, s9, v81, vcc_lo
	v_add_co_u32 v82, vcc_lo, v82, s8
	s_wait_alu 0xfffe
	v_cmp_ge_i64_e64 s2, s[22:23], s[4:5]
	s_wait_alu 0xfffd
	v_add_co_ci_u32_e64 v83, null, s9, v83, vcc_lo
	v_add_co_u32 v84, vcc_lo, v84, s8
	s_wait_alu 0xfffd
	v_add_co_ci_u32_e64 v85, null, s9, v85, vcc_lo
	s_and_b32 vcc_lo, exec_lo, s2
	s_add_nc_u64 s[10:11], s[10:11], s[20:21]
	s_wait_alu 0xfffe
	s_cbranch_vccnz .LBB201_83
; %bb.82:                               ;   in Loop: Header=BB201_53 Depth=1
	v_mov_b32_e32 v86, v87
	s_branch .LBB201_53
.LBB201_83:
	s_mov_b32 s2, ttmp9
	s_mov_b32 s3, 0
	s_wait_alu 0xfffe
	s_lshl_b64 s[2:3], s[2:3], 5
	s_wait_kmcnt 0x0
	s_cmp_lg_u64 s[16:17], 0
	s_wait_alu 0xfffe
	v_and_or_b32 v1, 0x3ff, v0, s2
	v_mov_b32_e32 v2, s3
	s_cselect_b32 s2, -1, 0
	s_delay_alu instid0(VALU_DEP_1)
	v_cmp_gt_i64_e32 vcc_lo, s[6:7], v[1:2]
	s_wait_alu 0xfffe
	s_and_b32 s2, vcc_lo, s2
	s_wait_alu 0xfffe
	s_and_saveexec_b32 s3, s2
	s_cbranch_execz .LBB201_85
; %bb.84:
	s_load_u16 s0, s[0:1], 0x4e
	v_bfe_u32 v3, v0, 10, 10
	v_mov_b32_e32 v4, 0
	v_bfe_u32 v6, v87, 16, 1
	s_wait_kmcnt 0x0
	s_delay_alu instid0(VALU_DEP_2) | instskip(NEXT) | instid1(VALU_DEP_1)
	v_mad_co_u64_u32 v[3:4], null, s0, ttmp7, v[3:4]
	v_mul_lo_u32 v0, v4, s6
	s_delay_alu instid0(VALU_DEP_2) | instskip(SKIP_1) | instid1(VALU_DEP_1)
	v_mul_lo_u32 v5, v3, s7
	v_mad_co_u64_u32 v[3:4], null, v3, s6, 0
	v_add3_u32 v4, v4, v5, v0
	v_add3_u32 v5, v87, v6, 0x7fff
	v_lshlrev_b64_e32 v[0:1], 1, v[1:2]
	s_delay_alu instid0(VALU_DEP_3) | instskip(NEXT) | instid1(VALU_DEP_3)
	v_lshlrev_b64_e32 v[3:4], 1, v[3:4]
	v_lshrrev_b32_e32 v2, 16, v5
	s_delay_alu instid0(VALU_DEP_2) | instskip(SKIP_1) | instid1(VALU_DEP_3)
	v_add_co_u32 v3, vcc_lo, s16, v3
	s_wait_alu 0xfffd
	v_add_co_ci_u32_e64 v4, null, s17, v4, vcc_lo
	v_cmp_o_f32_e32 vcc_lo, v87, v87
	s_wait_alu 0xfffd
	v_cndmask_b32_e32 v2, 0x7fc0, v2, vcc_lo
	v_add_co_u32 v0, vcc_lo, v3, v0
	s_wait_alu 0xfffd
	v_add_co_ci_u32_e64 v1, null, v4, v1, vcc_lo
	global_store_b16 v[0:1], v2, off
.LBB201_85:
	s_endpgm
	.section	.rodata,"a",@progbits
	.p2align	6, 0x0
	.amdhsa_kernel _ZN2at6native12_GLOBAL__N_135GammaBetaBackwardCUDAKernelTemplateIN3c108BFloat16EfLj32ELj1ELj8ELb1ELb0ELb1EEEvllPKT_S7_PKT0_SA_PS5_SB_
		.amdhsa_group_segment_fixed_size 0
		.amdhsa_private_segment_fixed_size 0
		.amdhsa_kernarg_size 320
		.amdhsa_user_sgpr_count 2
		.amdhsa_user_sgpr_dispatch_ptr 0
		.amdhsa_user_sgpr_queue_ptr 0
		.amdhsa_user_sgpr_kernarg_segment_ptr 1
		.amdhsa_user_sgpr_dispatch_id 0
		.amdhsa_user_sgpr_private_segment_size 0
		.amdhsa_wavefront_size32 1
		.amdhsa_uses_dynamic_stack 0
		.amdhsa_enable_private_segment 0
		.amdhsa_system_sgpr_workgroup_id_x 1
		.amdhsa_system_sgpr_workgroup_id_y 1
		.amdhsa_system_sgpr_workgroup_id_z 0
		.amdhsa_system_sgpr_workgroup_info 0
		.amdhsa_system_vgpr_workitem_id 1
		.amdhsa_next_free_vgpr 93
		.amdhsa_next_free_sgpr 32
		.amdhsa_reserve_vcc 1
		.amdhsa_float_round_mode_32 0
		.amdhsa_float_round_mode_16_64 0
		.amdhsa_float_denorm_mode_32 3
		.amdhsa_float_denorm_mode_16_64 3
		.amdhsa_fp16_overflow 0
		.amdhsa_workgroup_processor_mode 1
		.amdhsa_memory_ordered 1
		.amdhsa_forward_progress 1
		.amdhsa_inst_pref_size 72
		.amdhsa_round_robin_scheduling 0
		.amdhsa_exception_fp_ieee_invalid_op 0
		.amdhsa_exception_fp_denorm_src 0
		.amdhsa_exception_fp_ieee_div_zero 0
		.amdhsa_exception_fp_ieee_overflow 0
		.amdhsa_exception_fp_ieee_underflow 0
		.amdhsa_exception_fp_ieee_inexact 0
		.amdhsa_exception_int_div_zero 0
	.end_amdhsa_kernel
	.section	.text._ZN2at6native12_GLOBAL__N_135GammaBetaBackwardCUDAKernelTemplateIN3c108BFloat16EfLj32ELj1ELj8ELb1ELb0ELb1EEEvllPKT_S7_PKT0_SA_PS5_SB_,"axG",@progbits,_ZN2at6native12_GLOBAL__N_135GammaBetaBackwardCUDAKernelTemplateIN3c108BFloat16EfLj32ELj1ELj8ELb1ELb0ELb1EEEvllPKT_S7_PKT0_SA_PS5_SB_,comdat
.Lfunc_end201:
	.size	_ZN2at6native12_GLOBAL__N_135GammaBetaBackwardCUDAKernelTemplateIN3c108BFloat16EfLj32ELj1ELj8ELb1ELb0ELb1EEEvllPKT_S7_PKT0_SA_PS5_SB_, .Lfunc_end201-_ZN2at6native12_GLOBAL__N_135GammaBetaBackwardCUDAKernelTemplateIN3c108BFloat16EfLj32ELj1ELj8ELb1ELb0ELb1EEEvllPKT_S7_PKT0_SA_PS5_SB_
                                        ; -- End function
	.set _ZN2at6native12_GLOBAL__N_135GammaBetaBackwardCUDAKernelTemplateIN3c108BFloat16EfLj32ELj1ELj8ELb1ELb0ELb1EEEvllPKT_S7_PKT0_SA_PS5_SB_.num_vgpr, 93
	.set _ZN2at6native12_GLOBAL__N_135GammaBetaBackwardCUDAKernelTemplateIN3c108BFloat16EfLj32ELj1ELj8ELb1ELb0ELb1EEEvllPKT_S7_PKT0_SA_PS5_SB_.num_agpr, 0
	.set _ZN2at6native12_GLOBAL__N_135GammaBetaBackwardCUDAKernelTemplateIN3c108BFloat16EfLj32ELj1ELj8ELb1ELb0ELb1EEEvllPKT_S7_PKT0_SA_PS5_SB_.numbered_sgpr, 32
	.set _ZN2at6native12_GLOBAL__N_135GammaBetaBackwardCUDAKernelTemplateIN3c108BFloat16EfLj32ELj1ELj8ELb1ELb0ELb1EEEvllPKT_S7_PKT0_SA_PS5_SB_.num_named_barrier, 0
	.set _ZN2at6native12_GLOBAL__N_135GammaBetaBackwardCUDAKernelTemplateIN3c108BFloat16EfLj32ELj1ELj8ELb1ELb0ELb1EEEvllPKT_S7_PKT0_SA_PS5_SB_.private_seg_size, 0
	.set _ZN2at6native12_GLOBAL__N_135GammaBetaBackwardCUDAKernelTemplateIN3c108BFloat16EfLj32ELj1ELj8ELb1ELb0ELb1EEEvllPKT_S7_PKT0_SA_PS5_SB_.uses_vcc, 1
	.set _ZN2at6native12_GLOBAL__N_135GammaBetaBackwardCUDAKernelTemplateIN3c108BFloat16EfLj32ELj1ELj8ELb1ELb0ELb1EEEvllPKT_S7_PKT0_SA_PS5_SB_.uses_flat_scratch, 0
	.set _ZN2at6native12_GLOBAL__N_135GammaBetaBackwardCUDAKernelTemplateIN3c108BFloat16EfLj32ELj1ELj8ELb1ELb0ELb1EEEvllPKT_S7_PKT0_SA_PS5_SB_.has_dyn_sized_stack, 0
	.set _ZN2at6native12_GLOBAL__N_135GammaBetaBackwardCUDAKernelTemplateIN3c108BFloat16EfLj32ELj1ELj8ELb1ELb0ELb1EEEvllPKT_S7_PKT0_SA_PS5_SB_.has_recursion, 0
	.set _ZN2at6native12_GLOBAL__N_135GammaBetaBackwardCUDAKernelTemplateIN3c108BFloat16EfLj32ELj1ELj8ELb1ELb0ELb1EEEvllPKT_S7_PKT0_SA_PS5_SB_.has_indirect_call, 0
	.section	.AMDGPU.csdata,"",@progbits
; Kernel info:
; codeLenInByte = 9096
; TotalNumSgprs: 34
; NumVgprs: 93
; ScratchSize: 0
; MemoryBound: 0
; FloatMode: 240
; IeeeMode: 1
; LDSByteSize: 0 bytes/workgroup (compile time only)
; SGPRBlocks: 0
; VGPRBlocks: 11
; NumSGPRsForWavesPerEU: 34
; NumVGPRsForWavesPerEU: 93
; Occupancy: 16
; WaveLimiterHint : 0
; COMPUTE_PGM_RSRC2:SCRATCH_EN: 0
; COMPUTE_PGM_RSRC2:USER_SGPR: 2
; COMPUTE_PGM_RSRC2:TRAP_HANDLER: 0
; COMPUTE_PGM_RSRC2:TGID_X_EN: 1
; COMPUTE_PGM_RSRC2:TGID_Y_EN: 1
; COMPUTE_PGM_RSRC2:TGID_Z_EN: 0
; COMPUTE_PGM_RSRC2:TIDIG_COMP_CNT: 1
	.section	.text._ZN2at6native12_GLOBAL__N_135GammaBetaBackwardCUDAKernelTemplateIN3c108BFloat16EfLj32ELj8ELj64ELb0ELb1ELb1EEEvllPKT_S7_PKT0_SA_PS5_SB_,"axG",@progbits,_ZN2at6native12_GLOBAL__N_135GammaBetaBackwardCUDAKernelTemplateIN3c108BFloat16EfLj32ELj8ELj64ELb0ELb1ELb1EEEvllPKT_S7_PKT0_SA_PS5_SB_,comdat
	.globl	_ZN2at6native12_GLOBAL__N_135GammaBetaBackwardCUDAKernelTemplateIN3c108BFloat16EfLj32ELj8ELj64ELb0ELb1ELb1EEEvllPKT_S7_PKT0_SA_PS5_SB_ ; -- Begin function _ZN2at6native12_GLOBAL__N_135GammaBetaBackwardCUDAKernelTemplateIN3c108BFloat16EfLj32ELj8ELj64ELb0ELb1ELb1EEEvllPKT_S7_PKT0_SA_PS5_SB_
	.p2align	8
	.type	_ZN2at6native12_GLOBAL__N_135GammaBetaBackwardCUDAKernelTemplateIN3c108BFloat16EfLj32ELj8ELj64ELb0ELb1ELb1EEEvllPKT_S7_PKT0_SA_PS5_SB_,@function
_ZN2at6native12_GLOBAL__N_135GammaBetaBackwardCUDAKernelTemplateIN3c108BFloat16EfLj32ELj8ELj64ELb0ELb1ELb1EEEvllPKT_S7_PKT0_SA_PS5_SB_: ; @_ZN2at6native12_GLOBAL__N_135GammaBetaBackwardCUDAKernelTemplateIN3c108BFloat16EfLj32ELj8ELj64ELb0ELb1ELb1EEEvllPKT_S7_PKT0_SA_PS5_SB_
; %bb.0:
	s_load_b128 s[4:7], s[0:1], 0x0
	s_lshl_b32 s12, ttmp7, 6
	s_mov_b32 s13, 0
	v_bfe_u32 v7, v0, 10, 10
	s_wait_kmcnt 0x0
	v_cmp_gt_i64_e64 s2, s[4:5], s[12:13]
	s_and_b32 vcc_lo, exec_lo, s2
	s_cbranch_vccnz .LBB202_2
; %bb.1:
	v_bfe_u32 v1, v0, 10, 10
	s_mov_b32 s2, s13
	v_and_b32_e32 v6, 0x3ff, v0
	v_mov_b32_e32 v12, 0
	s_and_not1_b32 vcc_lo, exec_lo, s2
	s_cbranch_vccz .LBB202_3
	s_branch .LBB202_10
.LBB202_2:
                                        ; implicit-def: $vgpr1
	v_and_b32_e32 v6, 0x3ff, v0
	v_mov_b32_e32 v12, 0
.LBB202_3:
	s_load_b32 s2, s[0:1], 0x4c
	v_dual_mov_b32 v1, 0 :: v_dual_lshlrev_b32 v0, 3, v7
	s_clause 0x2
	s_load_b32 s3, s[0:1], 0x44
	s_load_b128 s[8:11], s[0:1], 0x10
	s_load_b64 s[16:17], s[0:1], 0x28
	s_mov_b32 s15, 0
	v_dual_mov_b32 v8, 8 :: v_dual_mov_b32 v9, 4
	v_add_co_u32 v2, s14, v0, s12
	s_delay_alu instid0(VALU_DEP_1) | instskip(SKIP_1) | instid1(VALU_DEP_3)
	v_add_co_ci_u32_e64 v3, null, 0, 0, s14
	v_lshl_add_u32 v0, ttmp9, 5, v6
	v_mul_lo_u32 v12, s7, v2
	v_mad_co_u64_u32 v[4:5], null, s6, v2, 0
	s_delay_alu instid0(VALU_DEP_4) | instskip(NEXT) | instid1(VALU_DEP_4)
	v_mul_lo_u32 v14, s6, v3
	v_lshlrev_b64_e32 v[15:16], 1, v[0:1]
	v_dual_mov_b32 v10, 12 :: v_dual_mov_b32 v11, 16
	v_mov_b32_e32 v0, 24
	s_wait_kmcnt 0x0
	s_and_b32 s2, s2, 0xffff
	s_lshl_b32 s14, s3, 6
	v_mad_u32_u24 v13, v7, s2, v6
	v_add3_u32 v5, v5, v14, v12
	v_mov_b32_e32 v14, 28
	v_mov_b32_e32 v12, 0
	s_wait_alu 0xfffe
	s_mul_u64 s[18:19], s[6:7], s[14:15]
	v_and_b32_e32 v19, 31, v13
	v_lshlrev_b64_e32 v[4:5], 1, v[4:5]
	v_mov_b32_e32 v13, 20
	s_lshl_b64 s[18:19], s[18:19], 1
	s_lshl_b64 s[6:7], s[6:7], 1
	v_add_co_u32 v2, vcc_lo, v2, v19
	s_delay_alu instid0(VALU_DEP_1) | instskip(SKIP_3) | instid1(VALU_DEP_3)
	v_add_co_ci_u32_e64 v3, null, 0, v3, vcc_lo
	v_add_co_u32 v15, vcc_lo, v4, v15
	s_wait_alu 0xfffd
	v_add_co_ci_u32_e64 v16, null, v5, v16, vcc_lo
	v_lshlrev_b64_e32 v[17:18], 2, v[2:3]
	v_cmp_gt_u32_e64 s2, 8, v19
	s_delay_alu instid0(VALU_DEP_2) | instskip(SKIP_1) | instid1(VALU_DEP_3)
	v_add_co_u32 v4, vcc_lo, s16, v17
	s_wait_alu 0xfffd
	v_add_co_ci_u32_e64 v5, null, s17, v18, vcc_lo
	s_lshl_b64 s[16:17], s[14:15], 2
	s_branch .LBB202_6
.LBB202_4:                              ;   in Loop: Header=BB202_6 Depth=1
	s_or_b32 exec_lo, exec_lo, s20
.LBB202_5:                              ;   in Loop: Header=BB202_6 Depth=1
	s_wait_alu 0xfffe
	s_or_b32 exec_lo, exec_lo, s3
	v_add_co_u32 v18, vcc_lo, s8, v15
	s_wait_alu 0xfffd
	v_add_co_ci_u32_e64 v19, null, s9, v16, vcc_lo
	v_add_co_u32 v20, vcc_lo, s10, v15
	s_wait_alu 0xfffd
	v_add_co_ci_u32_e64 v21, null, s11, v16, vcc_lo
	global_load_u16 v28, v[18:19], off
	global_load_u16 v29, v[20:21], off
	v_add_co_u32 v18, vcc_lo, v18, s6
	s_wait_alu 0xfffd
	v_add_co_ci_u32_e64 v19, null, s7, v19, vcc_lo
	v_add_co_u32 v20, vcc_lo, v20, s6
	s_wait_alu 0xfffd
	v_add_co_ci_u32_e64 v21, null, s7, v21, vcc_lo
	global_load_u16 v30, v[18:19], off
	v_add_co_u32 v18, vcc_lo, v18, s6
	s_wait_alu 0xfffd
	v_add_co_ci_u32_e64 v19, null, s7, v19, vcc_lo
	v_add_co_u32 v22, vcc_lo, v20, s6
	s_wait_alu 0xfffd
	v_add_co_ci_u32_e64 v23, null, s7, v21, vcc_lo
	;; [unrolled: 3-line block ×4, first 2 shown]
	global_load_u16 v31, v[20:21], off
	global_load_u16 v32, v[18:19], off
	;; [unrolled: 1-line block ×5, first 2 shown]
	v_add_co_u32 v18, vcc_lo, v26, s6
	s_wait_alu 0xfffd
	v_add_co_ci_u32_e64 v19, null, s7, v27, vcc_lo
	v_add_co_u32 v20, vcc_lo, v24, s6
	s_wait_alu 0xfffd
	v_add_co_ci_u32_e64 v21, null, s7, v25, vcc_lo
	global_load_u16 v36, v[18:19], off
	v_add_co_u32 v22, vcc_lo, v20, s6
	s_wait_alu 0xfffd
	v_add_co_ci_u32_e64 v23, null, s7, v21, vcc_lo
	v_add_co_u32 v18, vcc_lo, v18, s6
	s_wait_alu 0xfffd
	v_add_co_ci_u32_e64 v19, null, s7, v19, vcc_lo
	v_add_co_u32 v24, vcc_lo, v22, s6
	s_wait_alu 0xfffd
	v_add_co_ci_u32_e64 v25, null, s7, v23, vcc_lo
	v_add_co_u32 v26, vcc_lo, v18, s6
	s_wait_alu 0xfffd
	v_add_co_ci_u32_e64 v27, null, s7, v19, vcc_lo
	s_clause 0x1
	global_load_u16 v37, v[20:21], off
	global_load_u16 v22, v[22:23], off
	;; [unrolled: 1-line block ×5, first 2 shown]
	v_add_co_u32 v18, vcc_lo, v26, s6
	s_wait_alu 0xfffd
	v_add_co_ci_u32_e64 v19, null, s7, v27, vcc_lo
	v_add_co_u32 v20, vcc_lo, v24, s6
	s_wait_alu 0xfffd
	v_add_co_ci_u32_e64 v21, null, s7, v25, vcc_lo
	global_load_u16 v18, v[18:19], off
	global_load_u16 v19, v[20:21], off
	s_wait_loadcnt 0x10
	ds_bpermute_b32 v20, v1, v17
	ds_bpermute_b32 v21, v9, v17
	;; [unrolled: 1-line block ×3, first 2 shown]
	v_add_co_u32 v4, vcc_lo, v4, s16
	s_add_nc_u64 s[12:13], s[12:13], s[14:15]
	s_wait_alu 0xfffd
	v_add_co_ci_u32_e64 v5, null, s17, v5, vcc_lo
	v_add_co_u32 v2, vcc_lo, v2, s14
	s_wait_alu 0xfffe
	v_cmp_lt_i64_e64 s3, s[12:13], s[4:5]
	s_wait_alu 0xfffd
	v_add_co_ci_u32_e64 v3, null, 0, v3, vcc_lo
	v_add_co_u32 v15, vcc_lo, v15, s18
	s_wait_alu 0xfffd
	v_add_co_ci_u32_e64 v16, null, s19, v16, vcc_lo
	s_and_b32 vcc_lo, exec_lo, s3
	s_wait_loadcnt 0xf
	v_lshlrev_b32_e32 v25, 16, v28
	s_wait_loadcnt 0xe
	v_lshlrev_b32_e32 v24, 16, v29
	ds_bpermute_b32 v28, v10, v17
	s_wait_loadcnt 0xd
	v_dual_mul_f32 v24, v25, v24 :: v_dual_lshlrev_b32 v25, 16, v30
	s_wait_loadcnt_dscnt 0xc03
	s_delay_alu instid0(VALU_DEP_1) | instskip(SKIP_3) | instid1(VALU_DEP_2)
	v_dual_fmac_f32 v12, v24, v20 :: v_dual_lshlrev_b32 v27, 16, v31
	s_wait_loadcnt 0xb
	v_lshlrev_b32_e32 v24, 16, v32
	s_wait_loadcnt 0xa
	v_dual_mul_f32 v20, v25, v27 :: v_dual_lshlrev_b32 v29, 16, v33
	ds_bpermute_b32 v25, v11, v17
	s_wait_loadcnt_dscnt 0x803
	v_dual_fmac_f32 v12, v20, v21 :: v_dual_lshlrev_b32 v27, 16, v35
	v_mul_f32_e32 v20, v24, v29
	ds_bpermute_b32 v24, v13, v17
	s_wait_loadcnt_dscnt 0x703
	v_dual_fmac_f32 v12, v20, v26 :: v_dual_lshlrev_b32 v29, 16, v36
	v_lshlrev_b32_e32 v21, 16, v34
	ds_bpermute_b32 v26, v0, v17
	ds_bpermute_b32 v17, v14, v17
	s_wait_loadcnt 0x6
	v_dual_mul_f32 v20, v21, v27 :: v_dual_lshlrev_b32 v21, 16, v37
	s_wait_loadcnt_dscnt 0x404
	s_delay_alu instid0(VALU_DEP_1) | instskip(NEXT) | instid1(VALU_DEP_2)
	v_dual_fmac_f32 v12, v20, v28 :: v_dual_lshlrev_b32 v23, 16, v23
	v_dual_mul_f32 v20, v21, v29 :: v_dual_lshlrev_b32 v21, 16, v22
	s_wait_loadcnt 0x2
	v_lshlrev_b32_e32 v22, 16, v39
	s_wait_dscnt 0x3
	s_delay_alu instid0(VALU_DEP_2) | instskip(SKIP_4) | instid1(VALU_DEP_2)
	v_dual_fmac_f32 v12, v20, v25 :: v_dual_lshlrev_b32 v27, 16, v38
	v_mul_f32_e32 v20, v21, v23
	s_wait_loadcnt 0x1
	v_lshlrev_b32_e32 v18, 16, v18
	s_wait_loadcnt_dscnt 0x2
	v_dual_fmac_f32 v12, v20, v24 :: v_dual_lshlrev_b32 v19, 16, v19
	v_mul_f32_e32 v20, v27, v22
	s_delay_alu instid0(VALU_DEP_2) | instskip(SKIP_1) | instid1(VALU_DEP_2)
	v_mul_f32_e32 v18, v19, v18
	s_wait_dscnt 0x1
	v_fmac_f32_e32 v12, v20, v26
	s_wait_dscnt 0x0
	s_delay_alu instid0(VALU_DEP_1)
	v_fmac_f32_e32 v12, v18, v17
	s_wait_alu 0xfffe
	s_cbranch_vccz .LBB202_9
.LBB202_6:                              ; =>This Inner Loop Header: Depth=1
	v_mov_b32_e32 v17, 0
	s_and_saveexec_b32 s3, s2
	s_cbranch_execz .LBB202_5
; %bb.7:                                ;   in Loop: Header=BB202_6 Depth=1
	v_mov_b32_e32 v17, 0
	s_mov_b32 s20, exec_lo
	v_cmpx_gt_i64_e64 s[4:5], v[2:3]
	s_cbranch_execz .LBB202_4
; %bb.8:                                ;   in Loop: Header=BB202_6 Depth=1
	global_load_b32 v17, v[4:5], off
	s_branch .LBB202_4
.LBB202_9:
	v_mov_b32_e32 v1, v7
.LBB202_10:
	s_load_b64 s[2:3], s[0:1], 0x30
	s_delay_alu instid0(VALU_DEP_1) | instskip(SKIP_3) | instid1(VALU_DEP_3)
	v_mad_u32_u24 v0, v1, 33, v6
	v_lshrrev_b32_e32 v2, 5, v6
	v_mov_b32_e32 v4, 0
	s_mov_b32 s0, exec_lo
	v_lshl_add_u32 v3, v0, 2, 0
	s_delay_alu instid0(VALU_DEP_3)
	v_add_nc_u32_e32 v0, v2, v1
	ds_store_b32 v3, v12
	ds_store_b32 v3, v4 offset:1056
	s_wait_dscnt 0x0
	s_barrier_signal -1
	s_barrier_wait -1
	global_inv scope:SCOPE_SE
	v_cmpx_gt_u32_e32 32, v0
	s_cbranch_execz .LBB202_30
; %bb.11:
	v_and_b32_e32 v1, 31, v6
	s_delay_alu instid0(VALU_DEP_1)
	v_cmp_gt_u32_e32 vcc_lo, 8, v1
	v_mul_u32_u24_e32 v2, 33, v1
                                        ; implicit-def: $vgpr1
	s_and_saveexec_b32 s0, vcc_lo
	s_cbranch_execz .LBB202_13
; %bb.12:
	v_lshlrev_b32_e32 v1, 2, v0
	s_delay_alu instid0(VALU_DEP_2) | instskip(NEXT) | instid1(VALU_DEP_1)
	v_lshlrev_b32_e32 v3, 2, v2
	v_add3_u32 v1, 0, v1, v3
	ds_load_b32 v1, v1
.LBB202_13:
	s_wait_alu 0xfffe
	s_or_b32 exec_lo, exec_lo, s0
	v_mbcnt_lo_u32_b32 v5, -1, 0
	s_mov_b32 s4, ttmp9
	s_wait_kmcnt 0x0
	s_cmp_lg_u64 s[2:3], 0
	s_mov_b32 s5, 0
	s_cselect_b32 s1, -1, 0
	v_xor_b32_e32 v3, 4, v5
	v_xor_b32_e32 v4, 2, v5
	;; [unrolled: 1-line block ×3, first 2 shown]
	s_wait_alu 0xfffe
	s_lshl_b64 s[4:5], s[4:5], 6
	s_wait_alu 0xfffe
	s_add_nc_u64 s[2:3], s[2:3], s[4:5]
	v_cmp_gt_i32_e64 s0, 32, v3
	s_wait_alu 0xf1ff
	s_delay_alu instid0(VALU_DEP_1) | instskip(SKIP_1) | instid1(VALU_DEP_2)
	v_cndmask_b32_e64 v3, v5, v3, s0
	v_cmp_gt_i32_e64 s0, 32, v4
	v_lshlrev_b32_e32 v3, 2, v3
	s_wait_alu 0xf1ff
	s_delay_alu instid0(VALU_DEP_2)
	v_cndmask_b32_e64 v4, v5, v4, s0
	v_cmp_gt_i32_e64 s0, 32, v8
	s_wait_dscnt 0x0
	ds_bpermute_b32 v7, v3, v1
	v_lshlrev_b32_e32 v4, 2, v4
	s_wait_alu 0xf1ff
	v_cndmask_b32_e64 v5, v5, v8, s0
	v_cmp_eq_u32_e64 s0, 0, v6
	s_and_b32 s1, s0, s1
	s_wait_dscnt 0x0
	v_add_f32_e32 v1, v1, v7
	ds_bpermute_b32 v7, v4, v1
	s_wait_dscnt 0x0
	v_add_f32_e32 v1, v1, v7
	v_lshlrev_b32_e32 v5, 2, v5
	ds_bpermute_b32 v7, v5, v1
	s_wait_dscnt 0x0
	v_add_f32_e32 v6, v1, v7
	s_wait_alu 0xfffe
	s_and_saveexec_b32 s4, s1
	s_cbranch_execz .LBB202_15
; %bb.14:
	s_delay_alu instid0(VALU_DEP_1) | instskip(SKIP_1) | instid1(VALU_DEP_2)
	v_bfe_u32 v1, v6, 16, 1
	v_cmp_o_f32_e64 s0, v6, v6
	v_add3_u32 v7, v6, v1, 0x7fff
	v_mov_b32_e32 v1, 0
	s_delay_alu instid0(VALU_DEP_2) | instskip(NEXT) | instid1(VALU_DEP_2)
	v_lshrrev_b32_e32 v9, 16, v7
	v_lshlrev_b64_e32 v[7:8], 1, v[0:1]
	s_wait_alu 0xf1ff
	s_delay_alu instid0(VALU_DEP_2) | instskip(NEXT) | instid1(VALU_DEP_2)
	v_cndmask_b32_e64 v1, 0x7fc0, v9, s0
	v_add_co_u32 v7, s0, s2, v7
	s_wait_alu 0xf1ff
	s_delay_alu instid0(VALU_DEP_3)
	v_add_co_ci_u32_e64 v8, null, s3, v8, s0
	global_store_b16 v[7:8], v1, off
.LBB202_15:
	s_wait_alu 0xfffe
	s_or_b32 exec_lo, exec_lo, s4
	v_cmp_gt_u32_e64 s0, 24, v0
	s_and_b32 exec_lo, exec_lo, s0
	s_cbranch_execz .LBB202_30
; %bb.16:
	s_and_saveexec_b32 s0, vcc_lo
	s_cbranch_execz .LBB202_18
; %bb.17:
	v_lshlrev_b32_e32 v1, 2, v0
	v_lshlrev_b32_e32 v6, 2, v2
	s_delay_alu instid0(VALU_DEP_1)
	v_add3_u32 v1, 0, v1, v6
	ds_load_b32 v6, v1 offset:32
.LBB202_18:
	s_wait_alu 0xfffe
	s_or_b32 exec_lo, exec_lo, s0
	s_wait_dscnt 0x0
	ds_bpermute_b32 v1, v3, v6
	s_wait_dscnt 0x0
	v_add_f32_e32 v1, v6, v1
	ds_bpermute_b32 v6, v4, v1
	s_wait_dscnt 0x0
	v_add_f32_e32 v1, v1, v6
	;; [unrolled: 3-line block ×3, first 2 shown]
	s_and_saveexec_b32 s4, s1
	s_cbranch_execz .LBB202_20
; %bb.19:
	s_delay_alu instid0(VALU_DEP_1) | instskip(SKIP_1) | instid1(VALU_DEP_2)
	v_bfe_u32 v1, v6, 16, 1
	v_cmp_o_f32_e64 s0, v6, v6
	v_add3_u32 v7, v6, v1, 0x7fff
	v_mov_b32_e32 v1, 0
	s_delay_alu instid0(VALU_DEP_2) | instskip(NEXT) | instid1(VALU_DEP_2)
	v_lshrrev_b32_e32 v9, 16, v7
	v_lshlrev_b64_e32 v[7:8], 1, v[0:1]
	s_wait_alu 0xf1ff
	s_delay_alu instid0(VALU_DEP_2) | instskip(NEXT) | instid1(VALU_DEP_2)
	v_cndmask_b32_e64 v1, 0x7fc0, v9, s0
	v_add_co_u32 v7, s0, s2, v7
	s_wait_alu 0xf1ff
	s_delay_alu instid0(VALU_DEP_3)
	v_add_co_ci_u32_e64 v8, null, s3, v8, s0
	global_store_b16 v[7:8], v1, off offset:16
.LBB202_20:
	s_wait_alu 0xfffe
	s_or_b32 exec_lo, exec_lo, s4
	v_cmp_gt_u32_e64 s0, 16, v0
	s_and_b32 exec_lo, exec_lo, s0
	s_cbranch_execz .LBB202_30
; %bb.21:
	s_and_saveexec_b32 s0, vcc_lo
	s_cbranch_execz .LBB202_23
; %bb.22:
	v_lshlrev_b32_e32 v1, 2, v0
	v_lshlrev_b32_e32 v6, 2, v2
	s_delay_alu instid0(VALU_DEP_1)
	v_add3_u32 v1, 0, v1, v6
	ds_load_b32 v6, v1 offset:64
.LBB202_23:
	s_wait_alu 0xfffe
	s_or_b32 exec_lo, exec_lo, s0
	s_wait_dscnt 0x0
	ds_bpermute_b32 v1, v3, v6
	s_wait_dscnt 0x0
	v_add_f32_e32 v1, v6, v1
	ds_bpermute_b32 v6, v4, v1
	s_wait_dscnt 0x0
	v_add_f32_e32 v1, v1, v6
	ds_bpermute_b32 v6, v5, v1
	s_wait_dscnt 0x0
	v_add_f32_e32 v6, v1, v6
	s_and_saveexec_b32 s4, s1
	s_cbranch_execz .LBB202_25
; %bb.24:
	s_delay_alu instid0(VALU_DEP_1) | instskip(SKIP_1) | instid1(VALU_DEP_2)
	v_bfe_u32 v1, v6, 16, 1
	v_cmp_o_f32_e64 s0, v6, v6
	v_add3_u32 v7, v6, v1, 0x7fff
	v_mov_b32_e32 v1, 0
	s_delay_alu instid0(VALU_DEP_2) | instskip(NEXT) | instid1(VALU_DEP_2)
	v_lshrrev_b32_e32 v9, 16, v7
	v_lshlrev_b64_e32 v[7:8], 1, v[0:1]
	s_wait_alu 0xf1ff
	s_delay_alu instid0(VALU_DEP_2) | instskip(NEXT) | instid1(VALU_DEP_2)
	v_cndmask_b32_e64 v1, 0x7fc0, v9, s0
	v_add_co_u32 v7, s0, s2, v7
	s_wait_alu 0xf1ff
	s_delay_alu instid0(VALU_DEP_3)
	v_add_co_ci_u32_e64 v8, null, s3, v8, s0
	global_store_b16 v[7:8], v1, off offset:32
.LBB202_25:
	s_wait_alu 0xfffe
	s_or_b32 exec_lo, exec_lo, s4
	v_cmp_gt_u32_e64 s0, 8, v0
	s_and_b32 exec_lo, exec_lo, s0
	s_cbranch_execz .LBB202_30
; %bb.26:
	s_and_saveexec_b32 s0, vcc_lo
	s_cbranch_execz .LBB202_28
; %bb.27:
	v_lshlrev_b32_e32 v1, 2, v0
	v_lshlrev_b32_e32 v2, 2, v2
	s_delay_alu instid0(VALU_DEP_1)
	v_add3_u32 v1, 0, v1, v2
	ds_load_b32 v6, v1 offset:96
.LBB202_28:
	s_wait_alu 0xfffe
	s_or_b32 exec_lo, exec_lo, s0
	s_wait_dscnt 0x0
	ds_bpermute_b32 v1, v3, v6
	s_wait_dscnt 0x0
	v_add_f32_e32 v1, v6, v1
	ds_bpermute_b32 v2, v4, v1
	s_wait_dscnt 0x0
	v_add_f32_e32 v1, v1, v2
	ds_bpermute_b32 v2, v5, v1
	s_and_saveexec_b32 s0, s1
	s_wait_alu 0xfffe
	s_xor_b32 s0, exec_lo, s0
	s_cbranch_execz .LBB202_30
; %bb.29:
	s_wait_dscnt 0x0
	v_add_f32_e32 v2, v1, v2
	s_delay_alu instid0(VALU_DEP_1) | instskip(NEXT) | instid1(VALU_DEP_1)
	v_bfe_u32 v1, v2, 16, 1
	v_add3_u32 v3, v2, v1, 0x7fff
	v_mov_b32_e32 v1, 0
	v_cmp_o_f32_e32 vcc_lo, v2, v2
	s_delay_alu instid0(VALU_DEP_3) | instskip(NEXT) | instid1(VALU_DEP_3)
	v_lshrrev_b32_e32 v3, 16, v3
	v_lshlrev_b64_e32 v[0:1], 1, v[0:1]
	s_wait_alu 0xfffd
	s_delay_alu instid0(VALU_DEP_2) | instskip(NEXT) | instid1(VALU_DEP_2)
	v_cndmask_b32_e32 v2, 0x7fc0, v3, vcc_lo
	v_add_co_u32 v0, vcc_lo, s2, v0
	s_wait_alu 0xfffd
	s_delay_alu instid0(VALU_DEP_3)
	v_add_co_ci_u32_e64 v1, null, s3, v1, vcc_lo
	global_store_b16 v[0:1], v2, off offset:48
.LBB202_30:
	s_endpgm
	.section	.rodata,"a",@progbits
	.p2align	6, 0x0
	.amdhsa_kernel _ZN2at6native12_GLOBAL__N_135GammaBetaBackwardCUDAKernelTemplateIN3c108BFloat16EfLj32ELj8ELj64ELb0ELb1ELb1EEEvllPKT_S7_PKT0_SA_PS5_SB_
		.amdhsa_group_segment_fixed_size 0
		.amdhsa_private_segment_fixed_size 0
		.amdhsa_kernarg_size 320
		.amdhsa_user_sgpr_count 2
		.amdhsa_user_sgpr_dispatch_ptr 0
		.amdhsa_user_sgpr_queue_ptr 0
		.amdhsa_user_sgpr_kernarg_segment_ptr 1
		.amdhsa_user_sgpr_dispatch_id 0
		.amdhsa_user_sgpr_private_segment_size 0
		.amdhsa_wavefront_size32 1
		.amdhsa_uses_dynamic_stack 0
		.amdhsa_enable_private_segment 0
		.amdhsa_system_sgpr_workgroup_id_x 1
		.amdhsa_system_sgpr_workgroup_id_y 1
		.amdhsa_system_sgpr_workgroup_id_z 0
		.amdhsa_system_sgpr_workgroup_info 0
		.amdhsa_system_vgpr_workitem_id 1
		.amdhsa_next_free_vgpr 40
		.amdhsa_next_free_sgpr 21
		.amdhsa_reserve_vcc 1
		.amdhsa_float_round_mode_32 0
		.amdhsa_float_round_mode_16_64 0
		.amdhsa_float_denorm_mode_32 3
		.amdhsa_float_denorm_mode_16_64 3
		.amdhsa_fp16_overflow 0
		.amdhsa_workgroup_processor_mode 1
		.amdhsa_memory_ordered 1
		.amdhsa_forward_progress 1
		.amdhsa_inst_pref_size 20
		.amdhsa_round_robin_scheduling 0
		.amdhsa_exception_fp_ieee_invalid_op 0
		.amdhsa_exception_fp_denorm_src 0
		.amdhsa_exception_fp_ieee_div_zero 0
		.amdhsa_exception_fp_ieee_overflow 0
		.amdhsa_exception_fp_ieee_underflow 0
		.amdhsa_exception_fp_ieee_inexact 0
		.amdhsa_exception_int_div_zero 0
	.end_amdhsa_kernel
	.section	.text._ZN2at6native12_GLOBAL__N_135GammaBetaBackwardCUDAKernelTemplateIN3c108BFloat16EfLj32ELj8ELj64ELb0ELb1ELb1EEEvllPKT_S7_PKT0_SA_PS5_SB_,"axG",@progbits,_ZN2at6native12_GLOBAL__N_135GammaBetaBackwardCUDAKernelTemplateIN3c108BFloat16EfLj32ELj8ELj64ELb0ELb1ELb1EEEvllPKT_S7_PKT0_SA_PS5_SB_,comdat
.Lfunc_end202:
	.size	_ZN2at6native12_GLOBAL__N_135GammaBetaBackwardCUDAKernelTemplateIN3c108BFloat16EfLj32ELj8ELj64ELb0ELb1ELb1EEEvllPKT_S7_PKT0_SA_PS5_SB_, .Lfunc_end202-_ZN2at6native12_GLOBAL__N_135GammaBetaBackwardCUDAKernelTemplateIN3c108BFloat16EfLj32ELj8ELj64ELb0ELb1ELb1EEEvllPKT_S7_PKT0_SA_PS5_SB_
                                        ; -- End function
	.set _ZN2at6native12_GLOBAL__N_135GammaBetaBackwardCUDAKernelTemplateIN3c108BFloat16EfLj32ELj8ELj64ELb0ELb1ELb1EEEvllPKT_S7_PKT0_SA_PS5_SB_.num_vgpr, 40
	.set _ZN2at6native12_GLOBAL__N_135GammaBetaBackwardCUDAKernelTemplateIN3c108BFloat16EfLj32ELj8ELj64ELb0ELb1ELb1EEEvllPKT_S7_PKT0_SA_PS5_SB_.num_agpr, 0
	.set _ZN2at6native12_GLOBAL__N_135GammaBetaBackwardCUDAKernelTemplateIN3c108BFloat16EfLj32ELj8ELj64ELb0ELb1ELb1EEEvllPKT_S7_PKT0_SA_PS5_SB_.numbered_sgpr, 21
	.set _ZN2at6native12_GLOBAL__N_135GammaBetaBackwardCUDAKernelTemplateIN3c108BFloat16EfLj32ELj8ELj64ELb0ELb1ELb1EEEvllPKT_S7_PKT0_SA_PS5_SB_.num_named_barrier, 0
	.set _ZN2at6native12_GLOBAL__N_135GammaBetaBackwardCUDAKernelTemplateIN3c108BFloat16EfLj32ELj8ELj64ELb0ELb1ELb1EEEvllPKT_S7_PKT0_SA_PS5_SB_.private_seg_size, 0
	.set _ZN2at6native12_GLOBAL__N_135GammaBetaBackwardCUDAKernelTemplateIN3c108BFloat16EfLj32ELj8ELj64ELb0ELb1ELb1EEEvllPKT_S7_PKT0_SA_PS5_SB_.uses_vcc, 1
	.set _ZN2at6native12_GLOBAL__N_135GammaBetaBackwardCUDAKernelTemplateIN3c108BFloat16EfLj32ELj8ELj64ELb0ELb1ELb1EEEvllPKT_S7_PKT0_SA_PS5_SB_.uses_flat_scratch, 0
	.set _ZN2at6native12_GLOBAL__N_135GammaBetaBackwardCUDAKernelTemplateIN3c108BFloat16EfLj32ELj8ELj64ELb0ELb1ELb1EEEvllPKT_S7_PKT0_SA_PS5_SB_.has_dyn_sized_stack, 0
	.set _ZN2at6native12_GLOBAL__N_135GammaBetaBackwardCUDAKernelTemplateIN3c108BFloat16EfLj32ELj8ELj64ELb0ELb1ELb1EEEvllPKT_S7_PKT0_SA_PS5_SB_.has_recursion, 0
	.set _ZN2at6native12_GLOBAL__N_135GammaBetaBackwardCUDAKernelTemplateIN3c108BFloat16EfLj32ELj8ELj64ELb0ELb1ELb1EEEvllPKT_S7_PKT0_SA_PS5_SB_.has_indirect_call, 0
	.section	.AMDGPU.csdata,"",@progbits
; Kernel info:
; codeLenInByte = 2492
; TotalNumSgprs: 23
; NumVgprs: 40
; ScratchSize: 0
; MemoryBound: 0
; FloatMode: 240
; IeeeMode: 1
; LDSByteSize: 0 bytes/workgroup (compile time only)
; SGPRBlocks: 0
; VGPRBlocks: 4
; NumSGPRsForWavesPerEU: 23
; NumVGPRsForWavesPerEU: 40
; Occupancy: 16
; WaveLimiterHint : 0
; COMPUTE_PGM_RSRC2:SCRATCH_EN: 0
; COMPUTE_PGM_RSRC2:USER_SGPR: 2
; COMPUTE_PGM_RSRC2:TRAP_HANDLER: 0
; COMPUTE_PGM_RSRC2:TGID_X_EN: 1
; COMPUTE_PGM_RSRC2:TGID_Y_EN: 1
; COMPUTE_PGM_RSRC2:TGID_Z_EN: 0
; COMPUTE_PGM_RSRC2:TIDIG_COMP_CNT: 1
	.section	.text._ZN2at6native12_GLOBAL__N_135GammaBetaBackwardCUDAKernelTemplateIN3c108BFloat16EfLj32ELj8ELj64ELb0ELb0ELb1EEEvllPKT_S7_PKT0_SA_PS5_SB_,"axG",@progbits,_ZN2at6native12_GLOBAL__N_135GammaBetaBackwardCUDAKernelTemplateIN3c108BFloat16EfLj32ELj8ELj64ELb0ELb0ELb1EEEvllPKT_S7_PKT0_SA_PS5_SB_,comdat
	.globl	_ZN2at6native12_GLOBAL__N_135GammaBetaBackwardCUDAKernelTemplateIN3c108BFloat16EfLj32ELj8ELj64ELb0ELb0ELb1EEEvllPKT_S7_PKT0_SA_PS5_SB_ ; -- Begin function _ZN2at6native12_GLOBAL__N_135GammaBetaBackwardCUDAKernelTemplateIN3c108BFloat16EfLj32ELj8ELj64ELb0ELb0ELb1EEEvllPKT_S7_PKT0_SA_PS5_SB_
	.p2align	8
	.type	_ZN2at6native12_GLOBAL__N_135GammaBetaBackwardCUDAKernelTemplateIN3c108BFloat16EfLj32ELj8ELj64ELb0ELb0ELb1EEEvllPKT_S7_PKT0_SA_PS5_SB_,@function
_ZN2at6native12_GLOBAL__N_135GammaBetaBackwardCUDAKernelTemplateIN3c108BFloat16EfLj32ELj8ELj64ELb0ELb0ELb1EEEvllPKT_S7_PKT0_SA_PS5_SB_: ; @_ZN2at6native12_GLOBAL__N_135GammaBetaBackwardCUDAKernelTemplateIN3c108BFloat16EfLj32ELj8ELj64ELb0ELb0ELb1EEEvllPKT_S7_PKT0_SA_PS5_SB_
; %bb.0:
	s_clause 0x1
	s_load_b256 s[4:11], s[0:1], 0x0
	s_load_b64 s[12:13], s[0:1], 0x28
	s_lshl_b32 s28, ttmp9, 5
	s_mov_b32 s15, 0
	s_or_b32 s14, s28, 31
	s_wait_kmcnt 0x0
	v_cmp_le_i64_e64 s2, s[6:7], s[14:15]
	s_lshl_b32 s14, ttmp7, 6
	s_wait_alu 0xfffe
	v_cmp_gt_i64_e64 s29, s[4:5], s[14:15]
	s_and_b32 vcc_lo, exec_lo, s2
	v_cndmask_b32_e64 v1, 0, 1, s29
	s_delay_alu instid0(VALU_DEP_1)
	v_cmp_ne_u32_e64 s2, 1, v1
	s_cbranch_vccz .LBB203_49
; %bb.1:
	v_mov_b32_e32 v86, 0
	s_and_b32 vcc_lo, exec_lo, s2
	s_cbranch_vccnz .LBB203_50
; %bb.2:
	v_bfe_u32 v20, v0, 10, 10
	v_dual_mov_b32 v1, 0 :: v_dual_and_b32 v22, 0x3ff, v0
	s_load_b32 s3, s[0:1], 0x44
	s_mov_b32 s17, 0
	s_delay_alu instid0(VALU_DEP_2) | instskip(NEXT) | instid1(VALU_DEP_2)
	v_lshlrev_b32_e32 v21, 3, v20
	v_dual_mov_b32 v3, v1 :: v_dual_add_nc_u32 v2, s28, v22
	s_mov_b32 s21, s17
	v_mov_b32_e32 v55, 0
	s_delay_alu instid0(VALU_DEP_3) | instskip(NEXT) | instid1(VALU_DEP_1)
	v_add_co_u32 v10, s2, v21, s14
	v_add_co_ci_u32_e64 v11, null, 0, 0, s2
	v_cmp_gt_i64_e64 s2, s[6:7], v[2:3]
	s_delay_alu instid0(VALU_DEP_3) | instskip(SKIP_1) | instid1(VALU_DEP_4)
	v_mul_lo_u32 v6, s7, v10
	v_mad_co_u64_u32 v[4:5], null, s6, v10, 0
	v_mul_lo_u32 v7, s6, v11
	v_add_co_u32 v8, vcc_lo, v10, 7
	s_delay_alu instid0(VALU_DEP_1) | instskip(SKIP_1) | instid1(VALU_DEP_3)
	v_add_co_ci_u32_e64 v9, null, 0, v11, vcc_lo
	v_lshlrev_b64_e32 v[18:19], 1, v[2:3]
	v_mul_lo_u32 v12, s7, v8
	s_wait_kmcnt 0x0
	s_lshl_b32 s20, s3, 6
	v_add3_u32 v5, v5, v7, v6
	v_mad_co_u64_u32 v[6:7], null, s6, v8, 0
	v_add_co_u32 v8, vcc_lo, v10, 6
	v_mul_lo_u32 v13, s6, v9
	s_wait_alu 0xfffd
	v_add_co_ci_u32_e64 v9, null, 0, v11, vcc_lo
	v_lshlrev_b64_e32 v[2:3], 1, v[4:5]
	v_mul_lo_u32 v14, s7, v8
	s_mul_u64 s[22:23], s[6:7], s[20:21]
	s_delay_alu instid0(VALU_DEP_3) | instskip(SKIP_1) | instid1(VALU_DEP_4)
	v_mul_lo_u32 v15, s6, v9
	v_mad_co_u64_u32 v[8:9], null, s6, v8, 0
	v_add_co_u32 v23, vcc_lo, s8, v2
	s_wait_alu 0xfffd
	v_add_co_ci_u32_e64 v24, null, s9, v3, vcc_lo
	v_add_co_u32 v25, vcc_lo, s10, v2
	v_add3_u32 v7, v7, v13, v12
	s_wait_alu 0xfffd
	v_add_co_ci_u32_e64 v26, null, s11, v3, vcc_lo
	v_add_co_u32 v12, vcc_lo, v10, 5
	v_add3_u32 v9, v9, v15, v14
	s_wait_alu 0xfffd
	v_add_co_ci_u32_e64 v13, null, 0, v11, vcc_lo
	v_lshlrev_b64_e32 v[2:3], 1, v[6:7]
	v_mul_lo_u32 v14, s7, v12
	v_lshlrev_b64_e32 v[6:7], 1, v[8:9]
	s_delay_alu instid0(VALU_DEP_4)
	v_mul_lo_u32 v13, s6, v13
	v_mad_co_u64_u32 v[8:9], null, s6, v12, 0
	v_add_co_u32 v27, vcc_lo, s8, v2
	s_wait_alu 0xfffd
	v_add_co_ci_u32_e64 v28, null, s9, v3, vcc_lo
	v_add_co_u32 v29, vcc_lo, s10, v2
	s_wait_alu 0xfffd
	v_add_co_ci_u32_e64 v30, null, s11, v3, vcc_lo
	v_add_co_u32 v31, vcc_lo, s8, v6
	v_add3_u32 v9, v9, v13, v14
	s_wait_alu 0xfffd
	v_add_co_ci_u32_e64 v32, null, s9, v7, vcc_lo
	v_add_co_u32 v12, vcc_lo, v10, 4
	v_add_co_u32 v33, s3, s10, v6
	s_wait_alu 0xfffd
	v_add_co_ci_u32_e64 v6, null, 0, v11, vcc_lo
	v_lshlrev_b64_e32 v[2:3], 1, v[8:9]
	v_add_co_u32 v8, vcc_lo, v10, 3
	s_wait_alu 0xfffd
	v_add_co_ci_u32_e64 v9, null, 0, v11, vcc_lo
	s_wait_alu 0xf1ff
	v_add_co_ci_u32_e64 v34, null, s11, v7, s3
	v_mul_lo_u32 v13, s7, v12
	v_mul_lo_u32 v14, s6, v6
	v_mad_co_u64_u32 v[6:7], null, s6, v12, 0
	v_mul_lo_u32 v12, s7, v8
	v_mul_lo_u32 v15, s6, v9
	v_mad_co_u64_u32 v[8:9], null, s6, v8, 0
	v_add_co_u32 v35, vcc_lo, s8, v2
	s_wait_alu 0xfffd
	v_add_co_ci_u32_e64 v36, null, s9, v3, vcc_lo
	v_add3_u32 v7, v7, v14, v13
	v_add_co_u32 v37, vcc_lo, s10, v2
	s_wait_alu 0xfffd
	v_add_co_ci_u32_e64 v38, null, s11, v3, vcc_lo
	v_add_co_u32 v10, vcc_lo, v10, 2
	v_add3_u32 v9, v9, v15, v12
	s_wait_alu 0xfffd
	v_add_co_ci_u32_e64 v11, null, 0, v11, vcc_lo
	v_lshlrev_b64_e32 v[2:3], 1, v[6:7]
	v_mul_lo_u32 v12, s7, v10
	v_lshlrev_b64_e32 v[6:7], 1, v[8:9]
	s_delay_alu instid0(VALU_DEP_4)
	v_mul_lo_u32 v11, s6, v11
	v_mad_co_u64_u32 v[8:9], null, s6, v10, 0
	v_add_co_u32 v39, vcc_lo, s8, v2
	s_wait_alu 0xfffd
	v_add_co_ci_u32_e64 v40, null, s9, v3, vcc_lo
	v_add_co_u32 v41, vcc_lo, s10, v2
	s_wait_alu 0xfffd
	v_add_co_ci_u32_e64 v42, null, s11, v3, vcc_lo
	;; [unrolled: 3-line block ×3, first 2 shown]
	v_add3_u32 v9, v9, v11, v12
	v_add_co_u32 v45, vcc_lo, s10, v6
	s_wait_alu 0xfffd
	v_add_co_ci_u32_e64 v46, null, s11, v7, vcc_lo
	v_add_co_u32 v4, vcc_lo, v4, s6
	s_wait_alu 0xfffd
	v_add_co_ci_u32_e64 v5, null, s7, v5, vcc_lo
	v_lshlrev_b64_e32 v[2:3], 1, v[8:9]
	s_add_nc_u64 s[18:19], s[0:1], 64
	s_lshl_b64 s[22:23], s[22:23], 1
	s_delay_alu instid0(VALU_DEP_2)
	v_lshlrev_b64_e32 v[4:5], 1, v[4:5]
	s_add_nc_u64 s[24:25], s[14:15], 63
	s_mov_b64 s[26:27], s[14:15]
	v_add_co_u32 v47, vcc_lo, s8, v2
	s_wait_alu 0xfffd
	v_add_co_ci_u32_e64 v48, null, s9, v3, vcc_lo
	v_add_co_u32 v49, vcc_lo, s10, v2
	s_wait_alu 0xfffd
	v_add_co_ci_u32_e64 v50, null, s11, v3, vcc_lo
	;; [unrolled: 3-line block ×4, first 2 shown]
.LBB203_3:                              ; =>This Inner Loop Header: Depth=1
	v_cmp_ge_i64_e64 s3, s[24:25], s[4:5]
	v_add_co_u32 v56, s16, v21, s24
	s_wait_alu 0xf1ff
	v_add_co_ci_u32_e64 v57, null, 0, s25, s16
                                        ; implicit-def: $vgpr2_vgpr3_vgpr4_vgpr5_vgpr6_vgpr7_vgpr8_vgpr9
                                        ; implicit-def: $vgpr86
                                        ; implicit-def: $vgpr10_vgpr11_vgpr12_vgpr13_vgpr14_vgpr15_vgpr16_vgpr17
                                        ; implicit-def: $vgpr2
	s_and_b32 vcc_lo, exec_lo, s3
	s_mov_b32 s3, -1
	s_wait_alu 0xfffe
	s_cbranch_vccz .LBB203_25
; %bb.4:                                ;   in Loop: Header=BB203_3 Depth=1
	s_load_b32 s3, s[18:19], 0xc
	v_mov_b32_e32 v58, 0
	s_wait_kmcnt 0x0
	s_and_b32 s3, s3, 0xffff
	s_wait_alu 0xfffe
	v_mad_u32_u24 v2, v20, s3, v22
	s_mov_b32 s3, exec_lo
	s_delay_alu instid0(VALU_DEP_1) | instskip(NEXT) | instid1(VALU_DEP_1)
	v_and_b32_e32 v2, 31, v2
	v_cmpx_gt_u32_e32 8, v2
	s_cbranch_execz .LBB203_8
; %bb.5:                                ;   in Loop: Header=BB203_3 Depth=1
	v_add_co_u32 v2, vcc_lo, v56, v2
	s_wait_alu 0xfffd
	v_add_co_ci_u32_e64 v3, null, 0, v57, vcc_lo
	v_mov_b32_e32 v58, 0
	s_delay_alu instid0(VALU_DEP_3) | instskip(SKIP_1) | instid1(VALU_DEP_3)
	v_add_co_u32 v2, vcc_lo, 0xffffffc1, v2
	s_wait_alu 0xfffd
	v_add_co_ci_u32_e64 v3, null, -1, v3, vcc_lo
	s_mov_b32 s16, exec_lo
	v_cmpx_gt_i64_e64 s[4:5], v[2:3]
	s_cbranch_execz .LBB203_7
; %bb.6:                                ;   in Loop: Header=BB203_3 Depth=1
	v_lshlrev_b64_e32 v[2:3], 2, v[2:3]
	s_delay_alu instid0(VALU_DEP_1) | instskip(SKIP_1) | instid1(VALU_DEP_2)
	v_add_co_u32 v2, vcc_lo, s12, v2
	s_wait_alu 0xfffd
	v_add_co_ci_u32_e64 v3, null, s13, v3, vcc_lo
	global_load_b32 v58, v[2:3], off
.LBB203_7:                              ;   in Loop: Header=BB203_3 Depth=1
	s_wait_alu 0xfffe
	s_or_b32 exec_lo, exec_lo, s16
.LBB203_8:                              ;   in Loop: Header=BB203_3 Depth=1
	s_wait_alu 0xfffe
	s_or_b32 exec_lo, exec_lo, s3
	v_add_co_u32 v9, vcc_lo, 0xffffffc1, v56
	s_wait_alu 0xfffd
	v_add_co_ci_u32_e64 v10, null, -1, v57, vcc_lo
	v_mov_b32_e32 v8, v1
	v_dual_mov_b32 v2, v1 :: v_dual_mov_b32 v3, v1
	v_dual_mov_b32 v4, v1 :: v_dual_mov_b32 v5, v1
	;; [unrolled: 1-line block ×3, first 2 shown]
	v_cmp_gt_i64_e32 vcc_lo, s[4:5], v[9:10]
	s_delay_alu instid0(VALU_DEP_3) | instskip(NEXT) | instid1(VALU_DEP_3)
	v_dual_mov_b32 v17, v8 :: v_dual_mov_b32 v14, v5
	v_dual_mov_b32 v15, v6 :: v_dual_mov_b32 v16, v7
	;; [unrolled: 1-line block ×4, first 2 shown]
	v_mov_b32_e32 v9, v8
	v_mov_b32_e32 v8, v7
	;; [unrolled: 1-line block ×8, first 2 shown]
	s_and_b32 s16, s2, vcc_lo
	s_wait_alu 0xfffe
	s_and_saveexec_b32 s3, s16
	s_cbranch_execz .LBB203_10
; %bb.9:                                ;   in Loop: Header=BB203_3 Depth=1
	v_add_co_u32 v2, vcc_lo, v23, v18
	s_wait_alu 0xfffd
	v_add_co_ci_u32_e64 v3, null, v24, v19, vcc_lo
	v_add_co_u32 v4, vcc_lo, v25, v18
	s_wait_alu 0xfffd
	v_add_co_ci_u32_e64 v5, null, v26, v19, vcc_lo
	global_load_u16 v2, v[2:3], off
	global_load_u16 v10, v[4:5], off
	v_dual_mov_b32 v3, v1 :: v_dual_mov_b32 v4, v1
	v_dual_mov_b32 v5, v1 :: v_dual_mov_b32 v6, v1
	;; [unrolled: 1-line block ×6, first 2 shown]
	v_mov_b32_e32 v15, v1
	s_wait_loadcnt 0x1
	v_dual_mov_b32 v17, v1 :: v_dual_lshlrev_b32 v2, 16, v2
	s_wait_loadcnt 0x0
	v_lshlrev_b32_e32 v10, 16, v10
.LBB203_10:                             ;   in Loop: Header=BB203_3 Depth=1
	s_wait_alu 0xfffe
	s_or_b32 exec_lo, exec_lo, s3
	v_add_co_u32 v59, vcc_lo, 0xffffffc2, v56
	s_wait_alu 0xfffd
	v_add_co_ci_u32_e64 v60, null, -1, v57, vcc_lo
	s_delay_alu instid0(VALU_DEP_1)
	v_cmp_gt_i64_e32 vcc_lo, s[4:5], v[59:60]
	s_and_b32 s16, s2, vcc_lo
	s_wait_alu 0xfffe
	s_and_saveexec_b32 s3, s16
	s_cbranch_execz .LBB203_12
; %bb.11:                               ;   in Loop: Header=BB203_3 Depth=1
	v_add_co_u32 v59, vcc_lo, v51, v18
	s_wait_alu 0xfffd
	v_add_co_ci_u32_e64 v60, null, v52, v19, vcc_lo
	v_add_co_u32 v61, vcc_lo, v53, v18
	s_wait_alu 0xfffd
	v_add_co_ci_u32_e64 v62, null, v54, v19, vcc_lo
	global_load_u16 v3, v[59:60], off
	global_load_u16 v11, v[61:62], off
	s_wait_loadcnt 0x1
	v_lshlrev_b32_e32 v3, 16, v3
	s_wait_loadcnt 0x0
	v_lshlrev_b32_e32 v11, 16, v11
.LBB203_12:                             ;   in Loop: Header=BB203_3 Depth=1
	s_wait_alu 0xfffe
	s_or_b32 exec_lo, exec_lo, s3
	v_add_co_u32 v59, vcc_lo, 0xffffffc3, v56
	s_wait_alu 0xfffd
	v_add_co_ci_u32_e64 v60, null, -1, v57, vcc_lo
	s_delay_alu instid0(VALU_DEP_1)
	v_cmp_gt_i64_e32 vcc_lo, s[4:5], v[59:60]
	s_and_b32 s16, s2, vcc_lo
	s_wait_alu 0xfffe
	s_and_saveexec_b32 s3, s16
	s_cbranch_execz .LBB203_14
; %bb.13:                               ;   in Loop: Header=BB203_3 Depth=1
	v_add_co_u32 v59, vcc_lo, v47, v18
	s_wait_alu 0xfffd
	v_add_co_ci_u32_e64 v60, null, v48, v19, vcc_lo
	v_add_co_u32 v61, vcc_lo, v49, v18
	s_wait_alu 0xfffd
	v_add_co_ci_u32_e64 v62, null, v50, v19, vcc_lo
	global_load_u16 v4, v[59:60], off
	global_load_u16 v12, v[61:62], off
	s_wait_loadcnt 0x1
	v_lshlrev_b32_e32 v4, 16, v4
	s_wait_loadcnt 0x0
	v_lshlrev_b32_e32 v12, 16, v12
.LBB203_14:                             ;   in Loop: Header=BB203_3 Depth=1
	;; [unrolled: 25-line block ×7, first 2 shown]
	s_wait_alu 0xfffe
	s_or_b32 exec_lo, exec_lo, s3
	s_wait_loadcnt 0x0
	ds_bpermute_b32 v59, v1, v58
	ds_bpermute_b32 v60, v1, v58 offset:4
	ds_bpermute_b32 v61, v1, v58 offset:8
	v_dual_mul_f32 v2, v10, v2 :: v_dual_mul_f32 v3, v11, v3
	ds_bpermute_b32 v10, v1, v58 offset:12
	ds_bpermute_b32 v11, v1, v58 offset:16
	v_mul_f32_e32 v6, v14, v6
	s_mov_b32 s3, 0
	s_wait_dscnt 0x4
	v_fma_f32 v86, v2, v59, v55
	v_mul_f32_e32 v2, v12, v4
	ds_bpermute_b32 v4, v1, v58 offset:20
	s_wait_dscnt 0x4
	v_dual_fmac_f32 v86, v3, v60 :: v_dual_mul_f32 v3, v13, v5
	ds_bpermute_b32 v5, v1, v58 offset:24
	s_wait_dscnt 0x4
	v_fmac_f32_e32 v86, v2, v61
	ds_bpermute_b32 v2, v1, v58 offset:28
	s_wait_dscnt 0x4
	v_fmac_f32_e32 v86, v3, v10
	v_mul_f32_e32 v3, v15, v7
	s_wait_dscnt 0x3
	s_delay_alu instid0(VALU_DEP_2) | instskip(SKIP_1) | instid1(VALU_DEP_1)
	v_fmac_f32_e32 v86, v6, v11
	s_wait_dscnt 0x2
	v_fmac_f32_e32 v86, v3, v4
	v_mul_f32_e32 v3, v16, v8
	s_wait_dscnt 0x1
	s_delay_alu instid0(VALU_DEP_1)
	v_fmac_f32_e32 v86, v3, v5
.LBB203_25:                             ;   in Loop: Header=BB203_3 Depth=1
	s_wait_alu 0xfffe
	s_and_b32 vcc_lo, exec_lo, s3
	s_wait_alu 0xfffe
	s_cbranch_vccz .LBB203_40
; %bb.26:                               ;   in Loop: Header=BB203_3 Depth=1
	s_load_b32 s3, s[18:19], 0x0
	v_mov_b32_e32 v58, 0
	s_wait_kmcnt 0x0
	s_cmp_lt_u32 ttmp9, s3
	s_cselect_b32 s16, 12, 18
	s_wait_alu 0xfffe
	s_add_nc_u64 s[30:31], s[18:19], s[16:17]
	s_load_u16 s3, s[30:31], 0x0
	s_wait_dscnt 0x0
	s_wait_kmcnt 0x0
	v_mad_u32_u24 v2, v20, s3, v22
	s_mov_b32 s3, exec_lo
	s_delay_alu instid0(VALU_DEP_1) | instskip(NEXT) | instid1(VALU_DEP_1)
	v_and_b32_e32 v2, 31, v2
	v_cmpx_gt_u32_e32 8, v2
	s_cbranch_execz .LBB203_30
; %bb.27:                               ;   in Loop: Header=BB203_3 Depth=1
	v_add_co_u32 v2, vcc_lo, v56, v2
	s_wait_alu 0xfffd
	v_add_co_ci_u32_e64 v3, null, 0, v57, vcc_lo
	v_mov_b32_e32 v58, 0
	s_delay_alu instid0(VALU_DEP_3) | instskip(SKIP_1) | instid1(VALU_DEP_3)
	v_add_co_u32 v2, vcc_lo, 0xffffffc1, v2
	s_wait_alu 0xfffd
	v_add_co_ci_u32_e64 v3, null, -1, v3, vcc_lo
	s_mov_b32 s16, exec_lo
	v_cmpx_gt_i64_e64 s[4:5], v[2:3]
	s_cbranch_execz .LBB203_29
; %bb.28:                               ;   in Loop: Header=BB203_3 Depth=1
	v_lshlrev_b64_e32 v[2:3], 2, v[2:3]
	s_delay_alu instid0(VALU_DEP_1) | instskip(SKIP_1) | instid1(VALU_DEP_2)
	v_add_co_u32 v2, vcc_lo, s12, v2
	s_wait_alu 0xfffd
	v_add_co_ci_u32_e64 v3, null, s13, v3, vcc_lo
	global_load_b32 v58, v[2:3], off
.LBB203_29:                             ;   in Loop: Header=BB203_3 Depth=1
	s_wait_alu 0xfffe
	s_or_b32 exec_lo, exec_lo, s16
.LBB203_30:                             ;   in Loop: Header=BB203_3 Depth=1
	s_wait_alu 0xfffe
	s_or_b32 exec_lo, exec_lo, s3
	v_mov_b32_e32 v8, v1
	v_dual_mov_b32 v2, v1 :: v_dual_mov_b32 v3, v1
	v_dual_mov_b32 v4, v1 :: v_dual_mov_b32 v5, v1
	;; [unrolled: 1-line block ×3, first 2 shown]
	s_delay_alu instid0(VALU_DEP_4) | instskip(NEXT) | instid1(VALU_DEP_3)
	v_mov_b32_e32 v17, v8
	v_dual_mov_b32 v13, v4 :: v_dual_mov_b32 v12, v3
	s_delay_alu instid0(VALU_DEP_3) | instskip(NEXT) | instid1(VALU_DEP_4)
	v_dual_mov_b32 v15, v6 :: v_dual_mov_b32 v14, v5
	v_dual_mov_b32 v16, v7 :: v_dual_mov_b32 v11, v2
	;; [unrolled: 1-line block ×3, first 2 shown]
	v_mov_b32_e32 v8, v7
	v_mov_b32_e32 v7, v6
	;; [unrolled: 1-line block ×7, first 2 shown]
	s_and_saveexec_b32 s3, s2
	s_cbranch_execnz .LBB203_42
; %bb.31:                               ;   in Loop: Header=BB203_3 Depth=1
	s_wait_alu 0xfffe
	s_or_b32 exec_lo, exec_lo, s3
	s_and_saveexec_b32 s3, s2
	s_cbranch_execnz .LBB203_43
.LBB203_32:                             ;   in Loop: Header=BB203_3 Depth=1
	s_wait_alu 0xfffe
	s_or_b32 exec_lo, exec_lo, s3
	s_and_saveexec_b32 s3, s2
	s_cbranch_execnz .LBB203_44
.LBB203_33:                             ;   in Loop: Header=BB203_3 Depth=1
	s_wait_alu 0xfffe
	s_or_b32 exec_lo, exec_lo, s3
	s_and_saveexec_b32 s3, s2
	s_cbranch_execnz .LBB203_45
.LBB203_34:                             ;   in Loop: Header=BB203_3 Depth=1
	s_wait_alu 0xfffe
	s_or_b32 exec_lo, exec_lo, s3
	s_and_saveexec_b32 s3, s2
	s_cbranch_execnz .LBB203_46
.LBB203_35:                             ;   in Loop: Header=BB203_3 Depth=1
	s_wait_alu 0xfffe
	s_or_b32 exec_lo, exec_lo, s3
	s_and_saveexec_b32 s3, s2
	s_cbranch_execnz .LBB203_47
.LBB203_36:                             ;   in Loop: Header=BB203_3 Depth=1
	s_wait_alu 0xfffe
	s_or_b32 exec_lo, exec_lo, s3
	s_and_saveexec_b32 s3, s2
	s_cbranch_execnz .LBB203_48
.LBB203_37:                             ;   in Loop: Header=BB203_3 Depth=1
	s_wait_alu 0xfffe
	s_or_b32 exec_lo, exec_lo, s3
	s_and_saveexec_b32 s3, s2
	s_cbranch_execz .LBB203_39
.LBB203_38:                             ;   in Loop: Header=BB203_3 Depth=1
	v_add_co_u32 v56, vcc_lo, v27, v18
	s_wait_alu 0xfffd
	v_add_co_ci_u32_e64 v57, null, v28, v19, vcc_lo
	v_add_co_u32 v59, vcc_lo, v29, v18
	s_wait_alu 0xfffd
	v_add_co_ci_u32_e64 v60, null, v30, v19, vcc_lo
	global_load_u16 v9, v[56:57], off
	global_load_u16 v17, v[59:60], off
	s_wait_loadcnt 0x1
	v_lshlrev_b32_e32 v9, 16, v9
	s_wait_loadcnt 0x0
	v_lshlrev_b32_e32 v17, 16, v17
.LBB203_39:                             ;   in Loop: Header=BB203_3 Depth=1
	s_wait_alu 0xfffe
	s_or_b32 exec_lo, exec_lo, s3
	s_wait_loadcnt 0x0
	ds_bpermute_b32 v56, v1, v58
	ds_bpermute_b32 v57, v1, v58 offset:4
	ds_bpermute_b32 v59, v1, v58 offset:8
	v_dual_mul_f32 v2, v10, v2 :: v_dual_mul_f32 v3, v11, v3
	ds_bpermute_b32 v10, v1, v58 offset:12
	ds_bpermute_b32 v11, v1, v58 offset:16
	s_wait_dscnt 0x4
	v_fmac_f32_e32 v55, v2, v56
	v_mul_f32_e32 v2, v12, v4
	ds_bpermute_b32 v4, v1, v58 offset:20
	s_wait_dscnt 0x4
	v_fmac_f32_e32 v55, v3, v57
	v_mul_f32_e32 v3, v13, v5
	;; [unrolled: 4-line block ×3, first 2 shown]
	s_wait_dscnt 0x3
	s_delay_alu instid0(VALU_DEP_2) | instskip(SKIP_2) | instid1(VALU_DEP_2)
	v_fmac_f32_e32 v55, v3, v10
	v_mul_f32_e32 v3, v15, v7
	s_wait_dscnt 0x2
	v_fmac_f32_e32 v55, v2, v11
	ds_bpermute_b32 v2, v1, v58 offset:28
	s_wait_dscnt 0x2
	v_fmac_f32_e32 v55, v3, v4
	v_mul_f32_e32 v3, v16, v8
	s_wait_dscnt 0x1
	s_delay_alu instid0(VALU_DEP_1) | instskip(NEXT) | instid1(VALU_DEP_1)
	v_fmac_f32_e32 v55, v3, v5
	v_mov_b32_e32 v86, v55
.LBB203_40:                             ;   in Loop: Header=BB203_3 Depth=1
	v_add_co_u32 v23, vcc_lo, v23, s22
	s_wait_alu 0xfffd
	v_add_co_ci_u32_e64 v24, null, s23, v24, vcc_lo
	v_add_co_u32 v25, vcc_lo, v25, s22
	s_wait_alu 0xfffd
	v_add_co_ci_u32_e64 v26, null, s23, v26, vcc_lo
	;; [unrolled: 3-line block ×13, first 2 shown]
	v_add_co_u32 v49, vcc_lo, v49, s22
	v_mul_f32_e32 v3, v9, v17
	s_add_nc_u64 s[26:27], s[26:27], s[20:21]
	s_wait_alu 0xfffd
	v_add_co_ci_u32_e64 v50, null, s23, v50, vcc_lo
	v_add_co_u32 v51, vcc_lo, v51, s22
	s_wait_alu 0xfffe
	v_cmp_lt_i64_e64 s3, s[26:27], s[4:5]
	s_wait_alu 0xfffd
	v_add_co_ci_u32_e64 v52, null, s23, v52, vcc_lo
	v_add_co_u32 v53, vcc_lo, v53, s22
	s_wait_dscnt 0x0
	v_fmac_f32_e32 v86, v3, v2
	s_wait_alu 0xfffd
	v_add_co_ci_u32_e64 v54, null, s23, v54, vcc_lo
	s_and_b32 vcc_lo, exec_lo, s3
	s_add_nc_u64 s[24:25], s[24:25], s[20:21]
	s_wait_alu 0xfffe
	s_cbranch_vccz .LBB203_50
; %bb.41:                               ;   in Loop: Header=BB203_3 Depth=1
	v_mov_b32_e32 v55, v86
	s_branch .LBB203_3
.LBB203_42:                             ;   in Loop: Header=BB203_3 Depth=1
	v_add_co_u32 v2, vcc_lo, v23, v18
	s_wait_alu 0xfffd
	v_add_co_ci_u32_e64 v3, null, v24, v19, vcc_lo
	v_add_co_u32 v4, vcc_lo, v25, v18
	s_wait_alu 0xfffd
	v_add_co_ci_u32_e64 v5, null, v26, v19, vcc_lo
	global_load_u16 v2, v[2:3], off
	global_load_u16 v10, v[4:5], off
	v_dual_mov_b32 v3, v1 :: v_dual_mov_b32 v4, v1
	v_dual_mov_b32 v5, v1 :: v_dual_mov_b32 v6, v1
	;; [unrolled: 1-line block ×6, first 2 shown]
	v_mov_b32_e32 v15, v1
	s_wait_loadcnt 0x1
	v_dual_mov_b32 v17, v1 :: v_dual_lshlrev_b32 v2, 16, v2
	s_wait_loadcnt 0x0
	v_lshlrev_b32_e32 v10, 16, v10
	s_wait_alu 0xfffe
	s_or_b32 exec_lo, exec_lo, s3
	s_and_saveexec_b32 s3, s2
	s_cbranch_execz .LBB203_32
.LBB203_43:                             ;   in Loop: Header=BB203_3 Depth=1
	v_add_co_u32 v56, vcc_lo, v51, v18
	s_wait_alu 0xfffd
	v_add_co_ci_u32_e64 v57, null, v52, v19, vcc_lo
	v_add_co_u32 v59, vcc_lo, v53, v18
	s_wait_alu 0xfffd
	v_add_co_ci_u32_e64 v60, null, v54, v19, vcc_lo
	global_load_u16 v3, v[56:57], off
	global_load_u16 v11, v[59:60], off
	s_wait_loadcnt 0x1
	v_lshlrev_b32_e32 v3, 16, v3
	s_wait_loadcnt 0x0
	v_lshlrev_b32_e32 v11, 16, v11
	s_wait_alu 0xfffe
	s_or_b32 exec_lo, exec_lo, s3
	s_and_saveexec_b32 s3, s2
	s_cbranch_execz .LBB203_33
.LBB203_44:                             ;   in Loop: Header=BB203_3 Depth=1
	v_add_co_u32 v56, vcc_lo, v47, v18
	s_wait_alu 0xfffd
	v_add_co_ci_u32_e64 v57, null, v48, v19, vcc_lo
	v_add_co_u32 v59, vcc_lo, v49, v18
	s_wait_alu 0xfffd
	v_add_co_ci_u32_e64 v60, null, v50, v19, vcc_lo
	global_load_u16 v4, v[56:57], off
	global_load_u16 v12, v[59:60], off
	s_wait_loadcnt 0x1
	v_lshlrev_b32_e32 v4, 16, v4
	s_wait_loadcnt 0x0
	v_lshlrev_b32_e32 v12, 16, v12
	s_wait_alu 0xfffe
	s_or_b32 exec_lo, exec_lo, s3
	s_and_saveexec_b32 s3, s2
	s_cbranch_execz .LBB203_34
.LBB203_45:                             ;   in Loop: Header=BB203_3 Depth=1
	v_add_co_u32 v56, vcc_lo, v43, v18
	s_wait_alu 0xfffd
	v_add_co_ci_u32_e64 v57, null, v44, v19, vcc_lo
	v_add_co_u32 v59, vcc_lo, v45, v18
	s_wait_alu 0xfffd
	v_add_co_ci_u32_e64 v60, null, v46, v19, vcc_lo
	global_load_u16 v5, v[56:57], off
	global_load_u16 v13, v[59:60], off
	s_wait_loadcnt 0x1
	v_lshlrev_b32_e32 v5, 16, v5
	s_wait_loadcnt 0x0
	v_lshlrev_b32_e32 v13, 16, v13
	s_wait_alu 0xfffe
	s_or_b32 exec_lo, exec_lo, s3
	s_and_saveexec_b32 s3, s2
	s_cbranch_execz .LBB203_35
.LBB203_46:                             ;   in Loop: Header=BB203_3 Depth=1
	v_add_co_u32 v56, vcc_lo, v39, v18
	s_wait_alu 0xfffd
	v_add_co_ci_u32_e64 v57, null, v40, v19, vcc_lo
	v_add_co_u32 v59, vcc_lo, v41, v18
	s_wait_alu 0xfffd
	v_add_co_ci_u32_e64 v60, null, v42, v19, vcc_lo
	global_load_u16 v6, v[56:57], off
	global_load_u16 v14, v[59:60], off
	s_wait_loadcnt 0x1
	v_lshlrev_b32_e32 v6, 16, v6
	s_wait_loadcnt 0x0
	v_lshlrev_b32_e32 v14, 16, v14
	s_wait_alu 0xfffe
	s_or_b32 exec_lo, exec_lo, s3
	s_and_saveexec_b32 s3, s2
	s_cbranch_execz .LBB203_36
.LBB203_47:                             ;   in Loop: Header=BB203_3 Depth=1
	v_add_co_u32 v56, vcc_lo, v35, v18
	s_wait_alu 0xfffd
	v_add_co_ci_u32_e64 v57, null, v36, v19, vcc_lo
	v_add_co_u32 v59, vcc_lo, v37, v18
	s_wait_alu 0xfffd
	v_add_co_ci_u32_e64 v60, null, v38, v19, vcc_lo
	global_load_u16 v7, v[56:57], off
	global_load_u16 v15, v[59:60], off
	s_wait_loadcnt 0x1
	v_lshlrev_b32_e32 v7, 16, v7
	s_wait_loadcnt 0x0
	v_lshlrev_b32_e32 v15, 16, v15
	s_wait_alu 0xfffe
	s_or_b32 exec_lo, exec_lo, s3
	s_and_saveexec_b32 s3, s2
	s_cbranch_execz .LBB203_37
.LBB203_48:                             ;   in Loop: Header=BB203_3 Depth=1
	v_add_co_u32 v56, vcc_lo, v31, v18
	s_wait_alu 0xfffd
	v_add_co_ci_u32_e64 v57, null, v32, v19, vcc_lo
	v_add_co_u32 v59, vcc_lo, v33, v18
	s_wait_alu 0xfffd
	v_add_co_ci_u32_e64 v60, null, v34, v19, vcc_lo
	global_load_u16 v8, v[56:57], off
	global_load_u16 v16, v[59:60], off
	s_wait_loadcnt 0x1
	v_lshlrev_b32_e32 v8, 16, v8
	s_wait_loadcnt 0x0
	v_lshlrev_b32_e32 v16, 16, v16
	s_wait_alu 0xfffe
	s_or_b32 exec_lo, exec_lo, s3
	s_and_saveexec_b32 s3, s2
	s_cbranch_execnz .LBB203_38
	s_branch .LBB203_39
.LBB203_49:
                                        ; implicit-def: $vgpr86
	s_branch .LBB203_51
.LBB203_50:
	s_cbranch_execnz .LBB203_83
.LBB203_51:
	v_mov_b32_e32 v86, 0
	s_and_not1_b32 vcc_lo, exec_lo, s29
	s_wait_alu 0xfffe
	s_cbranch_vccnz .LBB203_83
; %bb.52:
	v_bfe_u32 v48, v0, 10, 10
	v_dual_mov_b32 v1, 0 :: v_dual_and_b32 v50, 0x3ff, v0
	s_lshl_b64 s[18:19], s[14:15], 1
	s_mov_b32 s3, 0
	s_delay_alu instid0(VALU_DEP_2) | instskip(SKIP_2) | instid1(VALU_DEP_3)
	v_lshlrev_b32_e32 v49, 3, v48
	v_dual_mov_b32 v83, 0 :: v_dual_lshlrev_b32 v8, 4, v48
	v_dual_mov_b32 v5, v1 :: v_dual_add_nc_u32 v4, s28, v50
	v_add_co_u32 v10, s2, v49, s14
	s_wait_alu 0xf1ff
	v_add_co_ci_u32_e64 v11, null, 0, 0, s2
	s_delay_alu instid0(VALU_DEP_3) | instskip(NEXT) | instid1(VALU_DEP_3)
	v_lshlrev_b64_e32 v[18:19], 1, v[4:5]
	v_mul_lo_u32 v6, s7, v10
	v_mad_co_u64_u32 v[2:3], null, s6, v10, 0
	s_delay_alu instid0(VALU_DEP_4) | instskip(SKIP_2) | instid1(VALU_DEP_1)
	v_mul_lo_u32 v7, s6, v11
	s_load_b32 s2, s[0:1], 0x44
	s_mov_b32 s17, s3
	v_add3_u32 v3, v3, v7, v6
	v_add_co_u32 v6, s16, v8, s18
	s_wait_alu 0xf1ff
	v_add_co_ci_u32_e64 v7, null, 0, s19, s16
	s_delay_alu instid0(VALU_DEP_3) | instskip(NEXT) | instid1(VALU_DEP_3)
	v_lshlrev_b64_e32 v[4:5], 1, v[2:3]
	v_add_co_u32 v8, vcc_lo, v6, 2
	s_wait_alu 0xfffd
	s_delay_alu instid0(VALU_DEP_3) | instskip(NEXT) | instid1(VALU_DEP_3)
	v_add_co_ci_u32_e64 v9, null, 0, v7, vcc_lo
	v_add_co_u32 v51, vcc_lo, s8, v4
	s_wait_alu 0xfffd
	v_add_co_ci_u32_e64 v52, null, s9, v5, vcc_lo
	v_add_co_u32 v53, vcc_lo, s10, v4
	s_wait_alu 0xfffd
	;; [unrolled: 3-line block ×5, first 2 shown]
	v_add_co_ci_u32_e64 v28, null, 0, v7, vcc_lo
	v_add_co_u32 v42, vcc_lo, v6, 10
	v_mad_co_u64_u32 v[22:23], null, s6, v4, s[8:9]
	v_mul_lo_u32 v5, s6, v5
	v_mul_lo_u32 v15, s7, v4
	v_mad_co_u64_u32 v[36:37], null, s6, v4, s[10:11]
	s_wait_alu 0xfffd
	v_add_co_ci_u32_e64 v30, null, 0, v7, vcc_lo
	v_add_co_u32 v44, vcc_lo, v6, 12
	s_wait_alu 0xfffd
	v_add_co_ci_u32_e64 v32, null, 0, v7, vcc_lo
	v_add_co_u32 v6, vcc_lo, v6, 14
	v_mad_co_u64_u32 v[20:21], null, s6, v8, s[8:9]
	v_mul_lo_u32 v9, s6, v9
	v_mul_lo_u32 v12, s7, v8
	v_mad_co_u64_u32 v[34:35], null, s6, v8, s[10:11]
	s_wait_alu 0xfffd
	v_add_co_ci_u32_e64 v7, null, 0, v7, vcc_lo
	v_add_co_u32 v4, vcc_lo, v10, 7
	v_add3_u32 v23, v15, v23, v5
	v_add3_u32 v37, v15, v37, v5
	s_wait_alu 0xfffd
	v_add_co_ci_u32_e64 v5, null, 0, v11, vcc_lo
	v_mul_lo_u32 v61, s6, v7
	v_add_co_u32 v7, vcc_lo, v10, 6
	v_add3_u32 v21, v12, v21, v9
	v_add3_u32 v35, v12, v35, v9
	s_wait_alu 0xfffd
	v_add_co_ci_u32_e64 v12, null, 0, v11, vcc_lo
	v_mul_lo_u32 v8, s7, v4
	v_mul_lo_u32 v9, s6, v5
	v_mad_co_u64_u32 v[4:5], null, s6, v4, 0
	v_mad_co_u64_u32 v[24:25], null, s6, v13, s[8:9]
	v_mul_lo_u32 v17, s7, v13
	v_mul_lo_u32 v59, s6, v32
	v_mad_co_u64_u32 v[32:33], null, s6, v6, s[8:9]
	v_mul_lo_u32 v62, s7, v6
	v_mad_co_u64_u32 v[38:39], null, s6, v13, s[10:11]
	v_mad_co_u64_u32 v[46:47], null, s6, v6, s[10:11]
	v_mul_lo_u32 v13, s7, v7
	v_mul_lo_u32 v12, s6, v12
	v_mad_co_u64_u32 v[6:7], null, s6, v7, 0
	v_add3_u32 v5, v5, v9, v8
	v_add_co_u32 v8, vcc_lo, v10, 5
	v_mad_co_u64_u32 v[26:27], null, s6, v16, s[8:9]
	v_mul_lo_u32 v55, s6, v28
	v_mul_lo_u32 v56, s7, v16
	v_mad_co_u64_u32 v[40:41], null, s6, v16, s[10:11]
	s_wait_alu 0xfffd
	v_add_co_ci_u32_e64 v9, null, 0, v11, vcc_lo
	v_add3_u32 v7, v7, v12, v13
	v_mad_co_u64_u32 v[28:29], null, s6, v42, s[8:9]
	v_mul_lo_u32 v57, s6, v30
	v_mul_lo_u32 v58, s7, v42
	v_mad_co_u64_u32 v[42:43], null, s6, v42, s[10:11]
	v_lshlrev_b64_e32 v[4:5], 1, v[4:5]
	v_mad_co_u64_u32 v[30:31], null, s6, v44, s[8:9]
	v_mul_lo_u32 v60, s7, v44
	v_mad_co_u64_u32 v[44:45], null, s6, v44, s[10:11]
	v_mul_lo_u32 v12, s7, v8
	v_mul_lo_u32 v13, s6, v9
	v_mad_co_u64_u32 v[8:9], null, s6, v8, 0
	v_lshlrev_b64_e32 v[6:7], 1, v[6:7]
	v_add3_u32 v27, v56, v27, v55
	v_add3_u32 v41, v56, v41, v55
	v_add_co_u32 v55, vcc_lo, s8, v4
	v_add3_u32 v29, v58, v29, v57
	v_add3_u32 v43, v58, v43, v57
	s_wait_alu 0xfffd
	v_add_co_ci_u32_e64 v56, null, s9, v5, vcc_lo
	v_add_co_u32 v57, vcc_lo, s10, v4
	v_add3_u32 v31, v60, v31, v59
	v_add3_u32 v45, v60, v45, v59
	s_wait_alu 0xfffd
	v_add_co_ci_u32_e64 v58, null, s11, v5, vcc_lo
	v_add_co_u32 v59, vcc_lo, s8, v6
	v_mul_lo_u32 v14, s6, v14
	v_add3_u32 v9, v9, v13, v12
	s_wait_alu 0xfffd
	v_add_co_ci_u32_e64 v60, null, s9, v7, vcc_lo
	v_add_co_u32 v12, vcc_lo, v10, 4
	s_wait_kmcnt 0x0
	s_lshl_b32 s16, s2, 6
	v_add3_u32 v33, v62, v33, v61
	v_add3_u32 v47, v62, v47, v61
	v_add_co_u32 v61, s2, s10, v6
	s_wait_alu 0xfffd
	v_add_co_ci_u32_e64 v6, null, 0, v11, vcc_lo
	v_lshlrev_b64_e32 v[4:5], 1, v[8:9]
	v_add_co_u32 v8, vcc_lo, v10, 3
	s_wait_alu 0xfffd
	v_add_co_ci_u32_e64 v9, null, 0, v11, vcc_lo
	v_add3_u32 v25, v17, v25, v14
	v_add3_u32 v39, v17, v39, v14
	s_wait_alu 0xf1ff
	v_add_co_ci_u32_e64 v62, null, s11, v7, s2
	v_mul_lo_u32 v13, s7, v12
	v_mul_lo_u32 v14, s6, v6
	v_mad_co_u64_u32 v[6:7], null, s6, v12, 0
	v_mul_lo_u32 v12, s7, v8
	v_mul_lo_u32 v15, s6, v9
	v_mad_co_u64_u32 v[8:9], null, s6, v8, 0
	v_add_co_u32 v63, vcc_lo, s8, v4
	s_wait_alu 0xfffd
	v_add_co_ci_u32_e64 v64, null, s9, v5, vcc_lo
	v_add3_u32 v7, v7, v14, v13
	v_add_co_u32 v65, vcc_lo, s10, v4
	s_wait_alu 0xfffd
	v_add_co_ci_u32_e64 v66, null, s11, v5, vcc_lo
	v_add_co_u32 v10, vcc_lo, v10, 2
	v_add3_u32 v9, v9, v15, v12
	s_wait_alu 0xfffd
	v_add_co_ci_u32_e64 v11, null, 0, v11, vcc_lo
	v_lshlrev_b64_e32 v[4:5], 1, v[6:7]
	v_mul_lo_u32 v12, s7, v10
	v_lshlrev_b64_e32 v[6:7], 1, v[8:9]
	s_delay_alu instid0(VALU_DEP_4)
	v_mul_lo_u32 v11, s6, v11
	v_mad_co_u64_u32 v[8:9], null, s6, v10, 0
	v_add_co_u32 v67, vcc_lo, s8, v4
	s_wait_alu 0xfffd
	v_add_co_ci_u32_e64 v68, null, s9, v5, vcc_lo
	v_add_co_u32 v69, vcc_lo, s10, v4
	s_wait_alu 0xfffd
	v_add_co_ci_u32_e64 v70, null, s11, v5, vcc_lo
	;; [unrolled: 3-line block ×3, first 2 shown]
	v_add3_u32 v9, v9, v11, v12
	v_add_co_u32 v73, vcc_lo, s10, v6
	s_wait_alu 0xfffd
	v_add_co_ci_u32_e64 v74, null, s11, v7, vcc_lo
	v_add_co_u32 v2, vcc_lo, v2, s6
	s_wait_alu 0xfffd
	v_add_co_ci_u32_e64 v3, null, s7, v3, vcc_lo
	v_lshlrev_b64_e32 v[4:5], 1, v[8:9]
	s_wait_alu 0xfffe
	s_mul_u64 s[18:19], s[6:7], s[16:17]
	s_delay_alu instid0(VALU_DEP_2) | instskip(NEXT) | instid1(VALU_DEP_2)
	v_lshlrev_b64_e32 v[2:3], 1, v[2:3]
	v_add_co_u32 v75, vcc_lo, s8, v4
	s_wait_alu 0xfffd
	v_add_co_ci_u32_e64 v76, null, s9, v5, vcc_lo
	v_add_co_u32 v77, vcc_lo, s10, v4
	s_wait_alu 0xfffd
	v_add_co_ci_u32_e64 v78, null, s11, v5, vcc_lo
	;; [unrolled: 3-line block ×4, first 2 shown]
	s_add_nc_u64 s[8:9], s[0:1], 64
	s_wait_alu 0xfffe
	s_lshl_b64 s[10:11], s[18:19], 1
	s_add_nc_u64 s[18:19], s[14:15], 63
.LBB203_53:                             ; =>This Inner Loop Header: Depth=1
	s_wait_alu 0xfffe
	v_cmp_ge_i64_e64 s2, s[18:19], s[4:5]
	v_add_co_u32 v84, s20, v49, s18
	s_wait_alu 0xf1ff
	v_add_co_ci_u32_e64 v85, null, 0, s19, s20
                                        ; implicit-def: $vgpr86
	s_and_b32 vcc_lo, exec_lo, s2
	s_mov_b32 s2, -1
	s_wait_alu 0xfffe
	s_cbranch_vccz .LBB203_75
; %bb.54:                               ;   in Loop: Header=BB203_53 Depth=1
	s_load_b32 s2, s[8:9], 0xc
	v_mov_b32_e32 v87, 0
	s_wait_kmcnt 0x0
	s_and_b32 s2, s2, 0xffff
	s_wait_alu 0xfffe
	v_mad_u32_u24 v2, v48, s2, v50
	s_mov_b32 s2, exec_lo
	s_delay_alu instid0(VALU_DEP_1) | instskip(NEXT) | instid1(VALU_DEP_1)
	v_and_b32_e32 v2, 31, v2
	v_cmpx_gt_u32_e32 8, v2
	s_cbranch_execz .LBB203_58
; %bb.55:                               ;   in Loop: Header=BB203_53 Depth=1
	v_add_co_u32 v2, vcc_lo, v84, v2
	s_wait_alu 0xfffd
	v_add_co_ci_u32_e64 v3, null, 0, v85, vcc_lo
	v_mov_b32_e32 v87, 0
	s_delay_alu instid0(VALU_DEP_3) | instskip(SKIP_1) | instid1(VALU_DEP_3)
	v_add_co_u32 v2, vcc_lo, 0xffffffc1, v2
	s_wait_alu 0xfffd
	v_add_co_ci_u32_e64 v3, null, -1, v3, vcc_lo
	s_mov_b32 s20, exec_lo
	v_cmpx_gt_i64_e64 s[4:5], v[2:3]
	s_cbranch_execz .LBB203_57
; %bb.56:                               ;   in Loop: Header=BB203_53 Depth=1
	v_lshlrev_b64_e32 v[2:3], 2, v[2:3]
	s_delay_alu instid0(VALU_DEP_1) | instskip(SKIP_1) | instid1(VALU_DEP_2)
	v_add_co_u32 v2, vcc_lo, s12, v2
	s_wait_alu 0xfffd
	v_add_co_ci_u32_e64 v3, null, s13, v3, vcc_lo
	global_load_b32 v87, v[2:3], off
.LBB203_57:                             ;   in Loop: Header=BB203_53 Depth=1
	s_wait_alu 0xfffe
	s_or_b32 exec_lo, exec_lo, s20
.LBB203_58:                             ;   in Loop: Header=BB203_53 Depth=1
	s_wait_alu 0xfffe
	s_or_b32 exec_lo, exec_lo, s2
	v_add_co_u32 v9, vcc_lo, 0xffffffc1, v84
	s_wait_alu 0xfffd
	v_add_co_ci_u32_e64 v10, null, -1, v85, vcc_lo
	v_mov_b32_e32 v8, v1
	v_dual_mov_b32 v2, v1 :: v_dual_mov_b32 v3, v1
	v_dual_mov_b32 v4, v1 :: v_dual_mov_b32 v5, v1
	;; [unrolled: 1-line block ×3, first 2 shown]
	v_cmp_gt_i64_e32 vcc_lo, s[4:5], v[9:10]
	s_delay_alu instid0(VALU_DEP_3) | instskip(NEXT) | instid1(VALU_DEP_3)
	v_dual_mov_b32 v17, v8 :: v_dual_mov_b32 v14, v5
	v_dual_mov_b32 v15, v6 :: v_dual_mov_b32 v16, v7
	;; [unrolled: 1-line block ×4, first 2 shown]
	v_mov_b32_e32 v9, v8
	v_mov_b32_e32 v8, v7
	;; [unrolled: 1-line block ×8, first 2 shown]
	s_and_saveexec_b32 s2, vcc_lo
	s_cbranch_execz .LBB203_60
; %bb.59:                               ;   in Loop: Header=BB203_53 Depth=1
	v_add_co_u32 v2, vcc_lo, v51, v18
	s_wait_alu 0xfffd
	v_add_co_ci_u32_e64 v3, null, v52, v19, vcc_lo
	v_add_co_u32 v4, vcc_lo, v53, v18
	s_wait_alu 0xfffd
	v_add_co_ci_u32_e64 v5, null, v54, v19, vcc_lo
	global_load_u16 v2, v[2:3], off
	global_load_u16 v10, v[4:5], off
	v_dual_mov_b32 v3, v1 :: v_dual_mov_b32 v4, v1
	v_dual_mov_b32 v5, v1 :: v_dual_mov_b32 v6, v1
	;; [unrolled: 1-line block ×6, first 2 shown]
	v_mov_b32_e32 v15, v1
	s_wait_loadcnt 0x1
	v_dual_mov_b32 v17, v1 :: v_dual_lshlrev_b32 v2, 16, v2
	s_wait_loadcnt 0x0
	v_lshlrev_b32_e32 v10, 16, v10
.LBB203_60:                             ;   in Loop: Header=BB203_53 Depth=1
	s_wait_alu 0xfffe
	s_or_b32 exec_lo, exec_lo, s2
	v_add_co_u32 v88, vcc_lo, 0xffffffc2, v84
	s_wait_alu 0xfffd
	v_add_co_ci_u32_e64 v89, null, -1, v85, vcc_lo
	s_mov_b32 s2, exec_lo
	v_cmpx_gt_i64_e64 s[4:5], v[88:89]
	s_cbranch_execz .LBB203_62
; %bb.61:                               ;   in Loop: Header=BB203_53 Depth=1
	v_add_co_u32 v88, vcc_lo, v79, v18
	s_wait_alu 0xfffd
	v_add_co_ci_u32_e64 v89, null, v80, v19, vcc_lo
	v_add_co_u32 v90, vcc_lo, v81, v18
	s_wait_alu 0xfffd
	v_add_co_ci_u32_e64 v91, null, v82, v19, vcc_lo
	global_load_u16 v3, v[88:89], off
	global_load_u16 v11, v[90:91], off
	s_wait_loadcnt 0x1
	v_lshlrev_b32_e32 v3, 16, v3
	s_wait_loadcnt 0x0
	v_lshlrev_b32_e32 v11, 16, v11
.LBB203_62:                             ;   in Loop: Header=BB203_53 Depth=1
	s_wait_alu 0xfffe
	s_or_b32 exec_lo, exec_lo, s2
	v_add_co_u32 v88, vcc_lo, 0xffffffc3, v84
	s_wait_alu 0xfffd
	v_add_co_ci_u32_e64 v89, null, -1, v85, vcc_lo
	s_mov_b32 s2, exec_lo
	v_cmpx_gt_i64_e64 s[4:5], v[88:89]
	s_cbranch_execz .LBB203_64
; %bb.63:                               ;   in Loop: Header=BB203_53 Depth=1
	v_add_co_u32 v88, vcc_lo, v75, v18
	s_wait_alu 0xfffd
	v_add_co_ci_u32_e64 v89, null, v76, v19, vcc_lo
	v_add_co_u32 v90, vcc_lo, v77, v18
	s_wait_alu 0xfffd
	v_add_co_ci_u32_e64 v91, null, v78, v19, vcc_lo
	global_load_u16 v4, v[88:89], off
	global_load_u16 v12, v[90:91], off
	s_wait_loadcnt 0x1
	v_lshlrev_b32_e32 v4, 16, v4
	s_wait_loadcnt 0x0
	v_lshlrev_b32_e32 v12, 16, v12
.LBB203_64:                             ;   in Loop: Header=BB203_53 Depth=1
	s_wait_alu 0xfffe
	s_or_b32 exec_lo, exec_lo, s2
	v_add_co_u32 v88, vcc_lo, 0xffffffc4, v84
	s_wait_alu 0xfffd
	v_add_co_ci_u32_e64 v89, null, -1, v85, vcc_lo
	s_mov_b32 s2, exec_lo
	v_cmpx_gt_i64_e64 s[4:5], v[88:89]
	s_cbranch_execz .LBB203_66
; %bb.65:                               ;   in Loop: Header=BB203_53 Depth=1
	v_add_co_u32 v88, vcc_lo, v71, v18
	s_wait_alu 0xfffd
	v_add_co_ci_u32_e64 v89, null, v72, v19, vcc_lo
	v_add_co_u32 v90, vcc_lo, v73, v18
	s_wait_alu 0xfffd
	v_add_co_ci_u32_e64 v91, null, v74, v19, vcc_lo
	global_load_u16 v5, v[88:89], off
	global_load_u16 v13, v[90:91], off
	s_wait_loadcnt 0x1
	v_lshlrev_b32_e32 v5, 16, v5
	s_wait_loadcnt 0x0
	v_lshlrev_b32_e32 v13, 16, v13
.LBB203_66:                             ;   in Loop: Header=BB203_53 Depth=1
	s_wait_alu 0xfffe
	s_or_b32 exec_lo, exec_lo, s2
	v_add_co_u32 v88, vcc_lo, 0xffffffc5, v84
	s_wait_alu 0xfffd
	v_add_co_ci_u32_e64 v89, null, -1, v85, vcc_lo
	s_mov_b32 s2, exec_lo
	v_cmpx_gt_i64_e64 s[4:5], v[88:89]
	s_cbranch_execz .LBB203_68
; %bb.67:                               ;   in Loop: Header=BB203_53 Depth=1
	v_add_co_u32 v88, vcc_lo, v67, v18
	s_wait_alu 0xfffd
	v_add_co_ci_u32_e64 v89, null, v68, v19, vcc_lo
	v_add_co_u32 v90, vcc_lo, v69, v18
	s_wait_alu 0xfffd
	v_add_co_ci_u32_e64 v91, null, v70, v19, vcc_lo
	global_load_u16 v6, v[88:89], off
	global_load_u16 v14, v[90:91], off
	s_wait_loadcnt 0x1
	v_lshlrev_b32_e32 v6, 16, v6
	s_wait_loadcnt 0x0
	v_lshlrev_b32_e32 v14, 16, v14
.LBB203_68:                             ;   in Loop: Header=BB203_53 Depth=1
	s_wait_alu 0xfffe
	s_or_b32 exec_lo, exec_lo, s2
	v_add_co_u32 v88, vcc_lo, 0xffffffc6, v84
	s_wait_alu 0xfffd
	v_add_co_ci_u32_e64 v89, null, -1, v85, vcc_lo
	s_mov_b32 s2, exec_lo
	v_cmpx_gt_i64_e64 s[4:5], v[88:89]
	s_cbranch_execz .LBB203_70
; %bb.69:                               ;   in Loop: Header=BB203_53 Depth=1
	v_add_co_u32 v88, vcc_lo, v63, v18
	s_wait_alu 0xfffd
	v_add_co_ci_u32_e64 v89, null, v64, v19, vcc_lo
	v_add_co_u32 v90, vcc_lo, v65, v18
	s_wait_alu 0xfffd
	v_add_co_ci_u32_e64 v91, null, v66, v19, vcc_lo
	global_load_u16 v7, v[88:89], off
	global_load_u16 v15, v[90:91], off
	s_wait_loadcnt 0x1
	v_lshlrev_b32_e32 v7, 16, v7
	s_wait_loadcnt 0x0
	v_lshlrev_b32_e32 v15, 16, v15
.LBB203_70:                             ;   in Loop: Header=BB203_53 Depth=1
	s_wait_alu 0xfffe
	s_or_b32 exec_lo, exec_lo, s2
	v_add_co_u32 v88, vcc_lo, 0xffffffc7, v84
	s_wait_alu 0xfffd
	v_add_co_ci_u32_e64 v89, null, -1, v85, vcc_lo
	s_mov_b32 s2, exec_lo
	v_cmpx_gt_i64_e64 s[4:5], v[88:89]
	s_cbranch_execz .LBB203_72
; %bb.71:                               ;   in Loop: Header=BB203_53 Depth=1
	v_add_co_u32 v88, vcc_lo, v59, v18
	s_wait_alu 0xfffd
	v_add_co_ci_u32_e64 v89, null, v60, v19, vcc_lo
	v_add_co_u32 v90, vcc_lo, v61, v18
	s_wait_alu 0xfffd
	v_add_co_ci_u32_e64 v91, null, v62, v19, vcc_lo
	global_load_u16 v8, v[88:89], off
	global_load_u16 v16, v[90:91], off
	s_wait_loadcnt 0x1
	v_lshlrev_b32_e32 v8, 16, v8
	s_wait_loadcnt 0x0
	v_lshlrev_b32_e32 v16, 16, v16
.LBB203_72:                             ;   in Loop: Header=BB203_53 Depth=1
	s_wait_alu 0xfffe
	s_or_b32 exec_lo, exec_lo, s2
	v_add_co_u32 v88, vcc_lo, 0xffffffc8, v84
	s_wait_alu 0xfffd
	v_add_co_ci_u32_e64 v89, null, -1, v85, vcc_lo
	s_mov_b32 s2, exec_lo
	v_cmpx_gt_i64_e64 s[4:5], v[88:89]
	s_cbranch_execz .LBB203_74
; %bb.73:                               ;   in Loop: Header=BB203_53 Depth=1
	v_add_co_u32 v88, vcc_lo, v55, v18
	s_wait_alu 0xfffd
	v_add_co_ci_u32_e64 v89, null, v56, v19, vcc_lo
	v_add_co_u32 v90, vcc_lo, v57, v18
	s_wait_alu 0xfffd
	v_add_co_ci_u32_e64 v91, null, v58, v19, vcc_lo
	global_load_u16 v9, v[88:89], off
	global_load_u16 v17, v[90:91], off
	s_wait_loadcnt 0x1
	v_lshlrev_b32_e32 v9, 16, v9
	s_wait_loadcnt 0x0
	v_lshlrev_b32_e32 v17, 16, v17
.LBB203_74:                             ;   in Loop: Header=BB203_53 Depth=1
	s_wait_alu 0xfffe
	s_or_b32 exec_lo, exec_lo, s2
	s_wait_loadcnt 0x0
	ds_bpermute_b32 v86, v1, v87
	ds_bpermute_b32 v88, v1, v87 offset:4
	ds_bpermute_b32 v89, v1, v87 offset:8
	v_dual_mul_f32 v2, v10, v2 :: v_dual_mul_f32 v3, v11, v3
	ds_bpermute_b32 v10, v1, v87 offset:12
	ds_bpermute_b32 v11, v1, v87 offset:16
	s_mov_b32 s2, 0
	s_wait_dscnt 0x4
	v_fma_f32 v86, v2, v86, v83
	v_mul_f32_e32 v2, v12, v4
	ds_bpermute_b32 v4, v1, v87 offset:20
	s_wait_dscnt 0x4
	v_dual_fmac_f32 v86, v3, v88 :: v_dual_mul_f32 v3, v13, v5
	ds_bpermute_b32 v5, v1, v87 offset:24
	s_wait_dscnt 0x4
	v_fmac_f32_e32 v86, v2, v89
	v_mul_f32_e32 v2, v14, v6
	v_mul_f32_e32 v6, v15, v7
	s_wait_dscnt 0x3
	s_delay_alu instid0(VALU_DEP_3)
	v_fmac_f32_e32 v86, v3, v10
	ds_bpermute_b32 v3, v1, v87 offset:28
	s_wait_dscnt 0x3
	v_fmac_f32_e32 v86, v2, v11
	v_mul_f32_e32 v2, v16, v8
	s_wait_dscnt 0x2
	s_delay_alu instid0(VALU_DEP_2) | instskip(SKIP_1) | instid1(VALU_DEP_1)
	v_fmac_f32_e32 v86, v6, v4
	s_wait_dscnt 0x1
	v_fmac_f32_e32 v86, v2, v5
	v_mul_f32_e32 v2, v17, v9
	s_wait_dscnt 0x0
	s_delay_alu instid0(VALU_DEP_1)
	v_fmac_f32_e32 v86, v2, v3
.LBB203_75:                             ;   in Loop: Header=BB203_53 Depth=1
	s_wait_alu 0xfffe
	s_and_b32 vcc_lo, exec_lo, s2
	s_wait_alu 0xfffe
	s_cbranch_vccz .LBB203_81
; %bb.76:                               ;   in Loop: Header=BB203_53 Depth=1
	s_load_b32 s2, s[8:9], 0x0
	v_mov_b32_e32 v4, 0
	s_wait_kmcnt 0x0
	s_cmp_lt_u32 ttmp9, s2
	s_cselect_b32 s2, 12, 18
	s_wait_alu 0xfffe
	s_add_nc_u64 s[20:21], s[8:9], s[2:3]
	s_load_u16 s2, s[20:21], 0x0
	s_wait_kmcnt 0x0
	v_mad_u32_u24 v2, v48, s2, v50
	s_mov_b32 s2, exec_lo
	s_delay_alu instid0(VALU_DEP_1) | instskip(NEXT) | instid1(VALU_DEP_1)
	v_and_b32_e32 v2, 31, v2
	v_cmpx_gt_u32_e32 8, v2
	s_cbranch_execz .LBB203_80
; %bb.77:                               ;   in Loop: Header=BB203_53 Depth=1
	v_add_co_u32 v2, vcc_lo, v84, v2
	s_wait_alu 0xfffd
	v_add_co_ci_u32_e64 v3, null, 0, v85, vcc_lo
	v_mov_b32_e32 v4, 0
	s_delay_alu instid0(VALU_DEP_3) | instskip(SKIP_1) | instid1(VALU_DEP_3)
	v_add_co_u32 v2, vcc_lo, 0xffffffc1, v2
	s_wait_alu 0xfffd
	v_add_co_ci_u32_e64 v3, null, -1, v3, vcc_lo
	s_mov_b32 s20, exec_lo
	v_cmpx_gt_i64_e64 s[4:5], v[2:3]
	s_cbranch_execz .LBB203_79
; %bb.78:                               ;   in Loop: Header=BB203_53 Depth=1
	v_lshlrev_b64_e32 v[2:3], 2, v[2:3]
	s_delay_alu instid0(VALU_DEP_1) | instskip(SKIP_1) | instid1(VALU_DEP_2)
	v_add_co_u32 v2, vcc_lo, s12, v2
	s_wait_alu 0xfffd
	v_add_co_ci_u32_e64 v3, null, s13, v3, vcc_lo
	global_load_b32 v4, v[2:3], off
.LBB203_79:                             ;   in Loop: Header=BB203_53 Depth=1
	s_wait_alu 0xfffe
	s_or_b32 exec_lo, exec_lo, s20
.LBB203_80:                             ;   in Loop: Header=BB203_53 Depth=1
	s_wait_alu 0xfffe
	s_or_b32 exec_lo, exec_lo, s2
	v_add_co_u32 v2, vcc_lo, v51, v18
	s_wait_alu 0xfffd
	v_add_co_ci_u32_e64 v3, null, v52, v19, vcc_lo
	v_add_co_u32 v5, vcc_lo, v53, v18
	s_wait_alu 0xfffd
	v_add_co_ci_u32_e64 v6, null, v54, v19, vcc_lo
	;; [unrolled: 3-line block ×4, first 2 shown]
	global_load_u16 v13, v[2:3], off
	global_load_u16 v14, v[5:6], off
	;; [unrolled: 1-line block ×4, first 2 shown]
	v_add_co_u32 v2, vcc_lo, v22, v18
	s_wait_alu 0xfffd
	v_add_co_ci_u32_e64 v3, null, v23, v19, vcc_lo
	v_add_co_u32 v5, vcc_lo, v36, v18
	s_wait_alu 0xfffd
	v_add_co_ci_u32_e64 v6, null, v37, v19, vcc_lo
	global_load_u16 v17, v[2:3], off
	v_add_co_u32 v2, vcc_lo, v24, v18
	s_wait_alu 0xfffd
	v_add_co_ci_u32_e64 v3, null, v25, v19, vcc_lo
	v_add_co_u32 v7, vcc_lo, v38, v18
	s_wait_alu 0xfffd
	v_add_co_ci_u32_e64 v8, null, v39, v19, vcc_lo
	;; [unrolled: 3-line block ×4, first 2 shown]
	global_load_u16 v84, v[5:6], off
	global_load_u16 v85, v[2:3], off
	;; [unrolled: 1-line block ×5, first 2 shown]
	v_add_co_u32 v2, vcc_lo, v28, v18
	s_wait_alu 0xfffd
	v_add_co_ci_u32_e64 v3, null, v29, v19, vcc_lo
	v_add_co_u32 v5, vcc_lo, v42, v18
	s_wait_alu 0xfffd
	v_add_co_ci_u32_e64 v6, null, v43, v19, vcc_lo
	;; [unrolled: 3-line block ×4, first 2 shown]
	global_load_u16 v12, v[2:3], off
	global_load_u16 v88, v[5:6], off
	;; [unrolled: 1-line block ×4, first 2 shown]
	v_add_co_u32 v2, vcc_lo, v46, v18
	s_wait_alu 0xfffd
	v_add_co_ci_u32_e64 v3, null, v47, v19, vcc_lo
	v_add_co_u32 v5, vcc_lo, v32, v18
	s_wait_alu 0xfffd
	v_add_co_ci_u32_e64 v6, null, v33, v19, vcc_lo
	global_load_u16 v2, v[2:3], off
	global_load_u16 v3, v[5:6], off
	s_wait_loadcnt 0x10
	ds_bpermute_b32 v5, v1, v4
	ds_bpermute_b32 v6, v1, v4 offset:4
	ds_bpermute_b32 v9, v1, v4 offset:8
	s_wait_loadcnt 0xd
	v_lshlrev_b32_e32 v15, 16, v15
	s_wait_loadcnt 0xc
	v_lshlrev_b32_e32 v16, 16, v16
	v_lshlrev_b32_e32 v10, 16, v14
	ds_bpermute_b32 v14, v1, v4 offset:12
	v_mul_f32_e32 v15, v15, v16
	s_wait_loadcnt 0x6
	v_lshlrev_b32_e32 v11, 16, v11
	v_lshlrev_b32_e32 v16, 16, v85
	;; [unrolled: 1-line block ×3, first 2 shown]
	s_delay_alu instid0(VALU_DEP_1)
	v_mul_f32_e32 v10, v13, v10
	ds_bpermute_b32 v13, v1, v4 offset:16
	s_wait_dscnt 0x4
	v_dual_fmac_f32 v83, v10, v5 :: v_dual_lshlrev_b32 v84, 16, v84
	ds_bpermute_b32 v5, v1, v4 offset:20
	s_wait_loadcnt 0x5
	v_lshlrev_b32_e32 v12, 16, v12
	s_wait_loadcnt 0x3
	v_lshlrev_b32_e32 v7, 16, v7
	s_wait_dscnt 0x4
	v_fmac_f32_e32 v83, v15, v6
	v_lshlrev_b32_e32 v15, 16, v87
	ds_bpermute_b32 v6, v1, v4 offset:24
	ds_bpermute_b32 v4, v1, v4 offset:28
	s_wait_loadcnt 0x2
	v_dual_mul_f32 v11, v15, v11 :: v_dual_lshlrev_b32 v8, 16, v8
	s_wait_loadcnt 0x1
	s_delay_alu instid0(VALU_DEP_1) | instskip(SKIP_2) | instid1(VALU_DEP_1)
	v_dual_mul_f32 v7, v7, v8 :: v_dual_lshlrev_b32 v2, 16, v2
	s_wait_loadcnt 0x0
	v_lshlrev_b32_e32 v3, 16, v3
	v_dual_mul_f32 v2, v3, v2 :: v_dual_lshlrev_b32 v17, 16, v17
	s_delay_alu instid0(VALU_DEP_1) | instskip(SKIP_1) | instid1(VALU_DEP_1)
	v_dual_mul_f32 v17, v17, v84 :: v_dual_lshlrev_b32 v10, 16, v86
	s_wait_dscnt 0x5
	v_dual_mul_f32 v10, v16, v10 :: v_dual_fmac_f32 v83, v17, v9
	v_lshlrev_b32_e32 v9, 16, v88
	s_wait_dscnt 0x4
	s_delay_alu instid0(VALU_DEP_2) | instskip(NEXT) | instid1(VALU_DEP_2)
	v_fmac_f32_e32 v83, v10, v14
	v_mul_f32_e32 v9, v12, v9
	s_wait_dscnt 0x3
	s_delay_alu instid0(VALU_DEP_2) | instskip(SKIP_1) | instid1(VALU_DEP_1)
	v_fmac_f32_e32 v83, v11, v13
	s_wait_dscnt 0x2
	v_fmac_f32_e32 v83, v9, v5
	s_wait_dscnt 0x1
	s_delay_alu instid0(VALU_DEP_1) | instskip(SKIP_1) | instid1(VALU_DEP_1)
	v_fmac_f32_e32 v83, v7, v6
	s_wait_dscnt 0x0
	v_fmac_f32_e32 v83, v2, v4
	s_delay_alu instid0(VALU_DEP_1)
	v_mov_b32_e32 v86, v83
.LBB203_81:                             ;   in Loop: Header=BB203_53 Depth=1
	v_add_co_u32 v51, vcc_lo, v51, s10
	s_wait_alu 0xfffd
	v_add_co_ci_u32_e64 v52, null, s11, v52, vcc_lo
	v_add_co_u32 v53, vcc_lo, v53, s10
	s_wait_alu 0xfffd
	v_add_co_ci_u32_e64 v54, null, s11, v54, vcc_lo
	;; [unrolled: 3-line block ×27, first 2 shown]
	v_add_co_u32 v77, vcc_lo, v77, s10
	s_add_nc_u64 s[14:15], s[14:15], s[16:17]
	s_wait_alu 0xfffd
	v_add_co_ci_u32_e64 v78, null, s11, v78, vcc_lo
	v_add_co_u32 v79, vcc_lo, v79, s10
	s_wait_alu 0xfffe
	v_cmp_ge_i64_e64 s2, s[14:15], s[4:5]
	s_wait_alu 0xfffd
	v_add_co_ci_u32_e64 v80, null, s11, v80, vcc_lo
	v_add_co_u32 v81, vcc_lo, v81, s10
	s_wait_alu 0xfffd
	v_add_co_ci_u32_e64 v82, null, s11, v82, vcc_lo
	s_and_b32 vcc_lo, exec_lo, s2
	s_add_nc_u64 s[18:19], s[18:19], s[16:17]
	s_wait_alu 0xfffe
	s_cbranch_vccnz .LBB203_83
; %bb.82:                               ;   in Loop: Header=BB203_53 Depth=1
	v_mov_b32_e32 v83, v86
	s_branch .LBB203_53
.LBB203_83:
	v_and_b32_e32 v7, 0x3ff, v0
	v_bfe_u32 v1, v0, 10, 10
	v_bfe_u32 v0, v0, 5, 5
	s_mov_b32 s2, exec_lo
	s_delay_alu instid0(VALU_DEP_2) | instskip(NEXT) | instid1(VALU_DEP_2)
	v_mad_u32_u24 v3, v1, 33, v7
	v_dual_mov_b32 v1, 0 :: v_dual_add_nc_u32 v2, v0, v1
	s_delay_alu instid0(VALU_DEP_2)
	v_lshl_add_u32 v0, v3, 2, 0
	ds_store_b32 v0, v86
	ds_store_b32 v0, v1 offset:1056
	s_wait_dscnt 0x0
	s_barrier_signal -1
	s_barrier_wait -1
	global_inv scope:SCOPE_SE
	v_cmpx_gt_u32_e32 32, v2
	s_cbranch_execz .LBB203_103
; %bb.84:
	s_load_b64 s[2:3], s[0:1], 0x30
	v_and_b32_e32 v0, 31, v7
	s_delay_alu instid0(VALU_DEP_1)
	v_cmp_gt_u32_e32 vcc_lo, 8, v0
	v_mul_u32_u24_e32 v3, 33, v0
                                        ; implicit-def: $vgpr0
	s_and_saveexec_b32 s0, vcc_lo
	s_cbranch_execz .LBB203_86
; %bb.85:
	v_lshlrev_b32_e32 v0, 2, v2
	s_delay_alu instid0(VALU_DEP_2) | instskip(NEXT) | instid1(VALU_DEP_1)
	v_lshlrev_b32_e32 v1, 2, v3
	v_add3_u32 v0, 0, v0, v1
	ds_load_b32 v0, v0
.LBB203_86:
	s_or_b32 exec_lo, exec_lo, s0
	v_mbcnt_lo_u32_b32 v1, -1, 0
	s_mov_b32 s4, ttmp9
	s_mov_b32 s5, 0
	s_wait_alu 0xfffe
	s_lshl_b64 s[4:5], s[4:5], 5
	v_xor_b32_e32 v4, 4, v1
	v_xor_b32_e32 v5, 2, v1
	;; [unrolled: 1-line block ×3, first 2 shown]
	s_wait_kmcnt 0x0
	s_cmp_eq_u64 s[2:3], 0
	s_cselect_b32 s8, -1, 0
	v_cmp_gt_i32_e64 s0, 32, v4
	s_delay_alu instid0(VALU_DEP_1) | instskip(SKIP_1) | instid1(VALU_DEP_2)
	v_cndmask_b32_e64 v4, v1, v4, s0
	v_cmp_gt_i32_e64 s0, 32, v5
	v_lshlrev_b32_e32 v4, 2, v4
	s_wait_alu 0xf1ff
	s_delay_alu instid0(VALU_DEP_2)
	v_cndmask_b32_e64 v5, v1, v5, s0
	v_cmp_gt_i32_e64 s0, 32, v8
	s_wait_dscnt 0x0
	ds_bpermute_b32 v6, v4, v0
	v_lshlrev_b32_e32 v5, 2, v5
	s_wait_alu 0xf1ff
	v_cndmask_b32_e64 v1, v1, v8, s0
	v_cmp_ne_u32_e64 s0, 0, v7
	s_wait_dscnt 0x0
	v_add_f32_e32 v0, v0, v6
	ds_bpermute_b32 v6, v5, v0
	s_wait_dscnt 0x0
	v_add_f32_e32 v8, v0, v6
	v_lshlrev_b32_e32 v6, 2, v1
	s_wait_alu 0xfffe
	v_or_b32_e32 v0, s4, v2
	v_mov_b32_e32 v1, s5
	ds_bpermute_b32 v9, v6, v8
	v_cmp_le_i64_e64 s1, s[6:7], v[0:1]
	s_or_b32 s1, s0, s1
	s_wait_alu 0xfffe
	s_nor_b32 s1, s8, s1
	s_wait_dscnt 0x0
	v_add_f32_e32 v7, v8, v9
	s_wait_alu 0xfffe
	s_and_saveexec_b32 s9, s1
	s_cbranch_execz .LBB203_88
; %bb.87:
	s_delay_alu instid0(VALU_DEP_1) | instskip(SKIP_2) | instid1(VALU_DEP_3)
	v_bfe_u32 v8, v7, 16, 1
	v_lshlrev_b64_e32 v[0:1], 1, v[0:1]
	v_cmp_o_f32_e64 s1, v7, v7
	v_add3_u32 v8, v7, v8, 0x7fff
	s_delay_alu instid0(VALU_DEP_1) | instskip(SKIP_1) | instid1(VALU_DEP_1)
	v_lshrrev_b32_e32 v8, 16, v8
	s_wait_alu 0xf1ff
	v_cndmask_b32_e64 v8, 0x7fc0, v8, s1
	v_add_co_u32 v0, s1, s2, v0
	s_wait_alu 0xf1ff
	v_add_co_ci_u32_e64 v1, null, s3, v1, s1
	global_store_b16 v[0:1], v8, off
.LBB203_88:
	s_wait_alu 0xfffe
	s_or_b32 exec_lo, exec_lo, s9
	v_cmp_gt_u32_e64 s1, 24, v2
	s_and_b32 exec_lo, exec_lo, s1
	s_cbranch_execz .LBB203_103
; %bb.89:
	s_and_saveexec_b32 s1, vcc_lo
	s_cbranch_execz .LBB203_91
; %bb.90:
	v_lshlrev_b32_e32 v0, 2, v2
	v_lshlrev_b32_e32 v1, 2, v3
	s_delay_alu instid0(VALU_DEP_1)
	v_add3_u32 v0, 0, v0, v1
	ds_load_b32 v7, v0 offset:32
.LBB203_91:
	s_wait_alu 0xfffe
	s_or_b32 exec_lo, exec_lo, s1
	s_wait_dscnt 0x0
	ds_bpermute_b32 v0, v4, v7
	s_wait_dscnt 0x0
	v_add_f32_e32 v0, v7, v0
	ds_bpermute_b32 v1, v5, v0
	s_wait_dscnt 0x0
	v_dual_add_f32 v7, v0, v1 :: v_dual_add_nc_u32 v0, 8, v2
	ds_bpermute_b32 v8, v6, v7
	v_add_co_u32 v0, s1, s4, v0
	s_wait_alu 0xf1ff
	v_add_co_ci_u32_e64 v1, null, s5, 0, s1
	s_delay_alu instid0(VALU_DEP_1)
	v_cmp_le_i64_e64 s1, s[6:7], v[0:1]
	s_or_b32 s1, s0, s1
	s_wait_alu 0xfffe
	s_nor_b32 s1, s8, s1
	s_wait_dscnt 0x0
	v_add_f32_e32 v0, v7, v8
	s_wait_alu 0xfffe
	s_and_saveexec_b32 s9, s1
	s_cbranch_execz .LBB203_93
; %bb.92:
	s_delay_alu instid0(VALU_DEP_1) | instskip(SKIP_3) | instid1(VALU_DEP_3)
	v_bfe_u32 v1, v0, 16, 1
	v_add_co_u32 v7, s1, s4, v2
	s_wait_alu 0xf1ff
	v_add_co_ci_u32_e64 v8, null, s5, 0, s1
	v_add3_u32 v1, v0, v1, 0x7fff
	v_cmp_o_f32_e64 s1, v0, v0
	s_delay_alu instid0(VALU_DEP_3) | instskip(NEXT) | instid1(VALU_DEP_3)
	v_lshlrev_b64_e32 v[7:8], 1, v[7:8]
	v_lshrrev_b32_e32 v1, 16, v1
	s_wait_alu 0xf1ff
	s_delay_alu instid0(VALU_DEP_1) | instskip(NEXT) | instid1(VALU_DEP_3)
	v_cndmask_b32_e64 v1, 0x7fc0, v1, s1
	v_add_co_u32 v7, s1, s2, v7
	s_wait_alu 0xf1ff
	v_add_co_ci_u32_e64 v8, null, s3, v8, s1
	global_store_b16 v[7:8], v1, off offset:16
.LBB203_93:
	s_wait_alu 0xfffe
	s_or_b32 exec_lo, exec_lo, s9
	v_cmp_gt_u32_e64 s1, 16, v2
	s_and_b32 exec_lo, exec_lo, s1
	s_cbranch_execz .LBB203_103
; %bb.94:
	s_and_saveexec_b32 s1, vcc_lo
	s_cbranch_execz .LBB203_96
; %bb.95:
	v_lshlrev_b32_e32 v0, 2, v2
	v_lshlrev_b32_e32 v1, 2, v3
	s_delay_alu instid0(VALU_DEP_1)
	v_add3_u32 v0, 0, v0, v1
	ds_load_b32 v0, v0 offset:64
.LBB203_96:
	s_wait_alu 0xfffe
	s_or_b32 exec_lo, exec_lo, s1
	s_wait_dscnt 0x0
	ds_bpermute_b32 v1, v4, v0
	s_wait_dscnt 0x0
	v_add_f32_e32 v0, v0, v1
	ds_bpermute_b32 v1, v5, v0
	s_wait_dscnt 0x0
	v_dual_add_f32 v7, v0, v1 :: v_dual_add_nc_u32 v0, 16, v2
	v_mov_b32_e32 v1, s5
	ds_bpermute_b32 v8, v6, v7
	v_or_b32_e32 v0, s4, v0
	s_delay_alu instid0(VALU_DEP_1)
	v_cmp_le_i64_e64 s1, s[6:7], v[0:1]
	s_or_b32 s1, s0, s1
	s_wait_alu 0xfffe
	s_nor_b32 s1, s8, s1
	s_wait_dscnt 0x0
	v_add_f32_e32 v0, v7, v8
	s_wait_alu 0xfffe
	s_and_saveexec_b32 s9, s1
	s_cbranch_execz .LBB203_98
; %bb.97:
	s_delay_alu instid0(VALU_DEP_1) | instskip(SKIP_3) | instid1(VALU_DEP_3)
	v_bfe_u32 v1, v0, 16, 1
	v_add_co_u32 v7, s1, s4, v2
	s_wait_alu 0xf1ff
	v_add_co_ci_u32_e64 v8, null, s5, 0, s1
	v_add3_u32 v1, v0, v1, 0x7fff
	v_cmp_o_f32_e64 s1, v0, v0
	s_delay_alu instid0(VALU_DEP_3) | instskip(NEXT) | instid1(VALU_DEP_3)
	v_lshlrev_b64_e32 v[7:8], 1, v[7:8]
	v_lshrrev_b32_e32 v1, 16, v1
	s_wait_alu 0xf1ff
	s_delay_alu instid0(VALU_DEP_1) | instskip(NEXT) | instid1(VALU_DEP_3)
	v_cndmask_b32_e64 v1, 0x7fc0, v1, s1
	v_add_co_u32 v7, s1, s2, v7
	s_wait_alu 0xf1ff
	v_add_co_ci_u32_e64 v8, null, s3, v8, s1
	global_store_b16 v[7:8], v1, off offset:32
.LBB203_98:
	s_wait_alu 0xfffe
	s_or_b32 exec_lo, exec_lo, s9
	v_cmp_gt_u32_e64 s1, 8, v2
	s_and_b32 exec_lo, exec_lo, s1
	s_cbranch_execz .LBB203_103
; %bb.99:
	s_and_saveexec_b32 s1, vcc_lo
	s_cbranch_execz .LBB203_101
; %bb.100:
	v_lshlrev_b32_e32 v0, 2, v2
	v_lshlrev_b32_e32 v1, 2, v3
	s_delay_alu instid0(VALU_DEP_1)
	v_add3_u32 v0, 0, v0, v1
	ds_load_b32 v0, v0 offset:96
.LBB203_101:
	s_wait_alu 0xfffe
	s_or_b32 exec_lo, exec_lo, s1
	s_wait_dscnt 0x0
	ds_bpermute_b32 v1, v4, v0
	v_dual_mov_b32 v4, s5 :: v_dual_add_nc_u32 v3, 24, v2
	s_delay_alu instid0(VALU_DEP_1) | instskip(NEXT) | instid1(VALU_DEP_1)
	v_or_b32_e32 v3, s4, v3
	v_cmp_le_i64_e32 vcc_lo, s[6:7], v[3:4]
	s_or_b32 s0, s0, vcc_lo
	s_wait_dscnt 0x0
	v_add_f32_e32 v0, v0, v1
	s_wait_alu 0xfffe
	s_nor_b32 s0, s8, s0
	ds_bpermute_b32 v1, v5, v0
	s_wait_dscnt 0x0
	v_add_f32_e32 v0, v0, v1
	ds_bpermute_b32 v1, v6, v0
	s_wait_alu 0xfffe
	s_and_saveexec_b32 s1, s0
	s_wait_alu 0xfffe
	s_xor_b32 s1, exec_lo, s1
	s_cbranch_execz .LBB203_103
; %bb.102:
	s_wait_dscnt 0x0
	v_add_f32_e32 v3, v0, v1
	s_delay_alu instid0(VALU_DEP_1) | instskip(SKIP_1) | instid1(VALU_DEP_2)
	v_bfe_u32 v0, v3, 16, 1
	v_cmp_o_f32_e32 vcc_lo, v3, v3
	v_add3_u32 v4, v3, v0, 0x7fff
	v_add_co_u32 v0, s0, s4, v2
	s_wait_alu 0xf1ff
	v_add_co_ci_u32_e64 v1, null, s5, 0, s0
	s_delay_alu instid0(VALU_DEP_3) | instskip(NEXT) | instid1(VALU_DEP_2)
	v_lshrrev_b32_e32 v2, 16, v4
	v_lshlrev_b64_e32 v[0:1], 1, v[0:1]
	s_wait_alu 0xfffd
	s_delay_alu instid0(VALU_DEP_2) | instskip(NEXT) | instid1(VALU_DEP_2)
	v_cndmask_b32_e32 v2, 0x7fc0, v2, vcc_lo
	v_add_co_u32 v0, vcc_lo, s2, v0
	s_wait_alu 0xfffd
	s_delay_alu instid0(VALU_DEP_3)
	v_add_co_ci_u32_e64 v1, null, s3, v1, vcc_lo
	global_store_b16 v[0:1], v2, off offset:48
.LBB203_103:
	s_endpgm
	.section	.rodata,"a",@progbits
	.p2align	6, 0x0
	.amdhsa_kernel _ZN2at6native12_GLOBAL__N_135GammaBetaBackwardCUDAKernelTemplateIN3c108BFloat16EfLj32ELj8ELj64ELb0ELb0ELb1EEEvllPKT_S7_PKT0_SA_PS5_SB_
		.amdhsa_group_segment_fixed_size 0
		.amdhsa_private_segment_fixed_size 0
		.amdhsa_kernarg_size 320
		.amdhsa_user_sgpr_count 2
		.amdhsa_user_sgpr_dispatch_ptr 0
		.amdhsa_user_sgpr_queue_ptr 0
		.amdhsa_user_sgpr_kernarg_segment_ptr 1
		.amdhsa_user_sgpr_dispatch_id 0
		.amdhsa_user_sgpr_private_segment_size 0
		.amdhsa_wavefront_size32 1
		.amdhsa_uses_dynamic_stack 0
		.amdhsa_enable_private_segment 0
		.amdhsa_system_sgpr_workgroup_id_x 1
		.amdhsa_system_sgpr_workgroup_id_y 1
		.amdhsa_system_sgpr_workgroup_id_z 0
		.amdhsa_system_sgpr_workgroup_info 0
		.amdhsa_system_vgpr_workitem_id 1
		.amdhsa_next_free_vgpr 92
		.amdhsa_next_free_sgpr 32
		.amdhsa_reserve_vcc 1
		.amdhsa_float_round_mode_32 0
		.amdhsa_float_round_mode_16_64 0
		.amdhsa_float_denorm_mode_32 3
		.amdhsa_float_denorm_mode_16_64 3
		.amdhsa_fp16_overflow 0
		.amdhsa_workgroup_processor_mode 1
		.amdhsa_memory_ordered 1
		.amdhsa_forward_progress 1
		.amdhsa_inst_pref_size 81
		.amdhsa_round_robin_scheduling 0
		.amdhsa_exception_fp_ieee_invalid_op 0
		.amdhsa_exception_fp_denorm_src 0
		.amdhsa_exception_fp_ieee_div_zero 0
		.amdhsa_exception_fp_ieee_overflow 0
		.amdhsa_exception_fp_ieee_underflow 0
		.amdhsa_exception_fp_ieee_inexact 0
		.amdhsa_exception_int_div_zero 0
	.end_amdhsa_kernel
	.section	.text._ZN2at6native12_GLOBAL__N_135GammaBetaBackwardCUDAKernelTemplateIN3c108BFloat16EfLj32ELj8ELj64ELb0ELb0ELb1EEEvllPKT_S7_PKT0_SA_PS5_SB_,"axG",@progbits,_ZN2at6native12_GLOBAL__N_135GammaBetaBackwardCUDAKernelTemplateIN3c108BFloat16EfLj32ELj8ELj64ELb0ELb0ELb1EEEvllPKT_S7_PKT0_SA_PS5_SB_,comdat
.Lfunc_end203:
	.size	_ZN2at6native12_GLOBAL__N_135GammaBetaBackwardCUDAKernelTemplateIN3c108BFloat16EfLj32ELj8ELj64ELb0ELb0ELb1EEEvllPKT_S7_PKT0_SA_PS5_SB_, .Lfunc_end203-_ZN2at6native12_GLOBAL__N_135GammaBetaBackwardCUDAKernelTemplateIN3c108BFloat16EfLj32ELj8ELj64ELb0ELb0ELb1EEEvllPKT_S7_PKT0_SA_PS5_SB_
                                        ; -- End function
	.set _ZN2at6native12_GLOBAL__N_135GammaBetaBackwardCUDAKernelTemplateIN3c108BFloat16EfLj32ELj8ELj64ELb0ELb0ELb1EEEvllPKT_S7_PKT0_SA_PS5_SB_.num_vgpr, 92
	.set _ZN2at6native12_GLOBAL__N_135GammaBetaBackwardCUDAKernelTemplateIN3c108BFloat16EfLj32ELj8ELj64ELb0ELb0ELb1EEEvllPKT_S7_PKT0_SA_PS5_SB_.num_agpr, 0
	.set _ZN2at6native12_GLOBAL__N_135GammaBetaBackwardCUDAKernelTemplateIN3c108BFloat16EfLj32ELj8ELj64ELb0ELb0ELb1EEEvllPKT_S7_PKT0_SA_PS5_SB_.numbered_sgpr, 32
	.set _ZN2at6native12_GLOBAL__N_135GammaBetaBackwardCUDAKernelTemplateIN3c108BFloat16EfLj32ELj8ELj64ELb0ELb0ELb1EEEvllPKT_S7_PKT0_SA_PS5_SB_.num_named_barrier, 0
	.set _ZN2at6native12_GLOBAL__N_135GammaBetaBackwardCUDAKernelTemplateIN3c108BFloat16EfLj32ELj8ELj64ELb0ELb0ELb1EEEvllPKT_S7_PKT0_SA_PS5_SB_.private_seg_size, 0
	.set _ZN2at6native12_GLOBAL__N_135GammaBetaBackwardCUDAKernelTemplateIN3c108BFloat16EfLj32ELj8ELj64ELb0ELb0ELb1EEEvllPKT_S7_PKT0_SA_PS5_SB_.uses_vcc, 1
	.set _ZN2at6native12_GLOBAL__N_135GammaBetaBackwardCUDAKernelTemplateIN3c108BFloat16EfLj32ELj8ELj64ELb0ELb0ELb1EEEvllPKT_S7_PKT0_SA_PS5_SB_.uses_flat_scratch, 0
	.set _ZN2at6native12_GLOBAL__N_135GammaBetaBackwardCUDAKernelTemplateIN3c108BFloat16EfLj32ELj8ELj64ELb0ELb0ELb1EEEvllPKT_S7_PKT0_SA_PS5_SB_.has_dyn_sized_stack, 0
	.set _ZN2at6native12_GLOBAL__N_135GammaBetaBackwardCUDAKernelTemplateIN3c108BFloat16EfLj32ELj8ELj64ELb0ELb0ELb1EEEvllPKT_S7_PKT0_SA_PS5_SB_.has_recursion, 0
	.set _ZN2at6native12_GLOBAL__N_135GammaBetaBackwardCUDAKernelTemplateIN3c108BFloat16EfLj32ELj8ELj64ELb0ELb0ELb1EEEvllPKT_S7_PKT0_SA_PS5_SB_.has_indirect_call, 0
	.section	.AMDGPU.csdata,"",@progbits
; Kernel info:
; codeLenInByte = 10352
; TotalNumSgprs: 34
; NumVgprs: 92
; ScratchSize: 0
; MemoryBound: 0
; FloatMode: 240
; IeeeMode: 1
; LDSByteSize: 0 bytes/workgroup (compile time only)
; SGPRBlocks: 0
; VGPRBlocks: 11
; NumSGPRsForWavesPerEU: 34
; NumVGPRsForWavesPerEU: 92
; Occupancy: 16
; WaveLimiterHint : 0
; COMPUTE_PGM_RSRC2:SCRATCH_EN: 0
; COMPUTE_PGM_RSRC2:USER_SGPR: 2
; COMPUTE_PGM_RSRC2:TRAP_HANDLER: 0
; COMPUTE_PGM_RSRC2:TGID_X_EN: 1
; COMPUTE_PGM_RSRC2:TGID_Y_EN: 1
; COMPUTE_PGM_RSRC2:TGID_Z_EN: 0
; COMPUTE_PGM_RSRC2:TIDIG_COMP_CNT: 1
	.section	.text._ZN2at6native12_GLOBAL__N_135GammaBetaBackwardCUDAKernelTemplateIN3c108BFloat16EfLj32ELj16ELj128ELb0ELb1ELb1EEEvllPKT_S7_PKT0_SA_PS5_SB_,"axG",@progbits,_ZN2at6native12_GLOBAL__N_135GammaBetaBackwardCUDAKernelTemplateIN3c108BFloat16EfLj32ELj16ELj128ELb0ELb1ELb1EEEvllPKT_S7_PKT0_SA_PS5_SB_,comdat
	.globl	_ZN2at6native12_GLOBAL__N_135GammaBetaBackwardCUDAKernelTemplateIN3c108BFloat16EfLj32ELj16ELj128ELb0ELb1ELb1EEEvllPKT_S7_PKT0_SA_PS5_SB_ ; -- Begin function _ZN2at6native12_GLOBAL__N_135GammaBetaBackwardCUDAKernelTemplateIN3c108BFloat16EfLj32ELj16ELj128ELb0ELb1ELb1EEEvllPKT_S7_PKT0_SA_PS5_SB_
	.p2align	8
	.type	_ZN2at6native12_GLOBAL__N_135GammaBetaBackwardCUDAKernelTemplateIN3c108BFloat16EfLj32ELj16ELj128ELb0ELb1ELb1EEEvllPKT_S7_PKT0_SA_PS5_SB_,@function
_ZN2at6native12_GLOBAL__N_135GammaBetaBackwardCUDAKernelTemplateIN3c108BFloat16EfLj32ELj16ELj128ELb0ELb1ELb1EEEvllPKT_S7_PKT0_SA_PS5_SB_: ; @_ZN2at6native12_GLOBAL__N_135GammaBetaBackwardCUDAKernelTemplateIN3c108BFloat16EfLj32ELj16ELj128ELb0ELb1ELb1EEEvllPKT_S7_PKT0_SA_PS5_SB_
; %bb.0:
	s_load_b128 s[4:7], s[0:1], 0x0
	s_lshl_b32 s12, ttmp7, 7
	s_mov_b32 s13, 0
	v_bfe_u32 v7, v0, 10, 10
	s_wait_kmcnt 0x0
	v_cmp_gt_i64_e64 s2, s[4:5], s[12:13]
	s_and_b32 vcc_lo, exec_lo, s2
	s_cbranch_vccnz .LBB204_2
; %bb.1:
	v_bfe_u32 v1, v0, 10, 10
	s_mov_b32 s2, s13
	v_and_b32_e32 v6, 0x3ff, v0
	v_mov_b32_e32 v12, 0
	s_and_not1_b32 vcc_lo, exec_lo, s2
	s_cbranch_vccz .LBB204_3
	s_branch .LBB204_10
.LBB204_2:
                                        ; implicit-def: $vgpr1
	v_and_b32_e32 v6, 0x3ff, v0
	v_mov_b32_e32 v12, 0
.LBB204_3:
	s_load_b32 s2, s[0:1], 0x4c
	v_dual_mov_b32 v1, 0 :: v_dual_lshlrev_b32 v0, 3, v7
	s_clause 0x2
	s_load_b32 s3, s[0:1], 0x44
	s_load_b128 s[8:11], s[0:1], 0x10
	s_load_b64 s[16:17], s[0:1], 0x28
	s_mov_b32 s15, 0
	v_dual_mov_b32 v8, 8 :: v_dual_mov_b32 v9, 4
	v_add_co_u32 v2, s14, v0, s12
	s_delay_alu instid0(VALU_DEP_1) | instskip(SKIP_1) | instid1(VALU_DEP_3)
	v_add_co_ci_u32_e64 v3, null, 0, 0, s14
	v_lshl_add_u32 v0, ttmp9, 5, v6
	v_mul_lo_u32 v12, s7, v2
	v_mad_co_u64_u32 v[4:5], null, s6, v2, 0
	s_delay_alu instid0(VALU_DEP_4) | instskip(NEXT) | instid1(VALU_DEP_4)
	v_mul_lo_u32 v14, s6, v3
	v_lshlrev_b64_e32 v[15:16], 1, v[0:1]
	v_dual_mov_b32 v10, 12 :: v_dual_mov_b32 v11, 16
	v_mov_b32_e32 v0, 24
	s_wait_kmcnt 0x0
	s_and_b32 s2, s2, 0xffff
	s_lshl_b32 s14, s3, 7
	v_mad_u32_u24 v13, v7, s2, v6
	v_add3_u32 v5, v5, v14, v12
	v_mov_b32_e32 v14, 28
	v_mov_b32_e32 v12, 0
	s_wait_alu 0xfffe
	s_mul_u64 s[18:19], s[6:7], s[14:15]
	v_and_b32_e32 v19, 31, v13
	v_lshlrev_b64_e32 v[4:5], 1, v[4:5]
	v_mov_b32_e32 v13, 20
	s_lshl_b64 s[18:19], s[18:19], 1
	s_lshl_b64 s[6:7], s[6:7], 1
	v_add_co_u32 v2, vcc_lo, v2, v19
	s_delay_alu instid0(VALU_DEP_1) | instskip(SKIP_3) | instid1(VALU_DEP_3)
	v_add_co_ci_u32_e64 v3, null, 0, v3, vcc_lo
	v_add_co_u32 v15, vcc_lo, v4, v15
	s_wait_alu 0xfffd
	v_add_co_ci_u32_e64 v16, null, v5, v16, vcc_lo
	v_lshlrev_b64_e32 v[17:18], 2, v[2:3]
	v_cmp_gt_u32_e64 s2, 8, v19
	s_delay_alu instid0(VALU_DEP_2) | instskip(SKIP_1) | instid1(VALU_DEP_3)
	v_add_co_u32 v4, vcc_lo, s16, v17
	s_wait_alu 0xfffd
	v_add_co_ci_u32_e64 v5, null, s17, v18, vcc_lo
	s_lshl_b64 s[16:17], s[14:15], 2
	s_branch .LBB204_6
.LBB204_4:                              ;   in Loop: Header=BB204_6 Depth=1
	s_or_b32 exec_lo, exec_lo, s20
.LBB204_5:                              ;   in Loop: Header=BB204_6 Depth=1
	s_wait_alu 0xfffe
	s_or_b32 exec_lo, exec_lo, s3
	v_add_co_u32 v18, vcc_lo, s8, v15
	s_wait_alu 0xfffd
	v_add_co_ci_u32_e64 v19, null, s9, v16, vcc_lo
	v_add_co_u32 v20, vcc_lo, s10, v15
	s_wait_alu 0xfffd
	v_add_co_ci_u32_e64 v21, null, s11, v16, vcc_lo
	global_load_u16 v28, v[18:19], off
	global_load_u16 v29, v[20:21], off
	v_add_co_u32 v18, vcc_lo, v18, s6
	s_wait_alu 0xfffd
	v_add_co_ci_u32_e64 v19, null, s7, v19, vcc_lo
	v_add_co_u32 v20, vcc_lo, v20, s6
	s_wait_alu 0xfffd
	v_add_co_ci_u32_e64 v21, null, s7, v21, vcc_lo
	global_load_u16 v30, v[18:19], off
	v_add_co_u32 v18, vcc_lo, v18, s6
	s_wait_alu 0xfffd
	v_add_co_ci_u32_e64 v19, null, s7, v19, vcc_lo
	v_add_co_u32 v22, vcc_lo, v20, s6
	s_wait_alu 0xfffd
	v_add_co_ci_u32_e64 v23, null, s7, v21, vcc_lo
	;; [unrolled: 3-line block ×4, first 2 shown]
	global_load_u16 v31, v[20:21], off
	global_load_u16 v32, v[18:19], off
	;; [unrolled: 1-line block ×5, first 2 shown]
	v_add_co_u32 v18, vcc_lo, v26, s6
	s_wait_alu 0xfffd
	v_add_co_ci_u32_e64 v19, null, s7, v27, vcc_lo
	v_add_co_u32 v20, vcc_lo, v24, s6
	s_wait_alu 0xfffd
	v_add_co_ci_u32_e64 v21, null, s7, v25, vcc_lo
	global_load_u16 v36, v[18:19], off
	v_add_co_u32 v22, vcc_lo, v20, s6
	s_wait_alu 0xfffd
	v_add_co_ci_u32_e64 v23, null, s7, v21, vcc_lo
	v_add_co_u32 v18, vcc_lo, v18, s6
	s_wait_alu 0xfffd
	v_add_co_ci_u32_e64 v19, null, s7, v19, vcc_lo
	;; [unrolled: 3-line block ×4, first 2 shown]
	s_clause 0x1
	global_load_u16 v37, v[20:21], off
	global_load_u16 v22, v[22:23], off
	;; [unrolled: 1-line block ×5, first 2 shown]
	v_add_co_u32 v18, vcc_lo, v26, s6
	s_wait_alu 0xfffd
	v_add_co_ci_u32_e64 v19, null, s7, v27, vcc_lo
	v_add_co_u32 v20, vcc_lo, v24, s6
	s_wait_alu 0xfffd
	v_add_co_ci_u32_e64 v21, null, s7, v25, vcc_lo
	global_load_u16 v18, v[18:19], off
	global_load_u16 v19, v[20:21], off
	s_wait_loadcnt 0x10
	ds_bpermute_b32 v20, v1, v17
	ds_bpermute_b32 v21, v9, v17
	;; [unrolled: 1-line block ×3, first 2 shown]
	v_add_co_u32 v4, vcc_lo, v4, s16
	s_add_nc_u64 s[12:13], s[12:13], s[14:15]
	s_wait_alu 0xfffd
	v_add_co_ci_u32_e64 v5, null, s17, v5, vcc_lo
	v_add_co_u32 v2, vcc_lo, v2, s14
	s_wait_alu 0xfffe
	v_cmp_lt_i64_e64 s3, s[12:13], s[4:5]
	s_wait_alu 0xfffd
	v_add_co_ci_u32_e64 v3, null, 0, v3, vcc_lo
	v_add_co_u32 v15, vcc_lo, v15, s18
	s_wait_alu 0xfffd
	v_add_co_ci_u32_e64 v16, null, s19, v16, vcc_lo
	s_and_b32 vcc_lo, exec_lo, s3
	s_wait_loadcnt 0xf
	v_lshlrev_b32_e32 v25, 16, v28
	s_wait_loadcnt 0xe
	v_lshlrev_b32_e32 v24, 16, v29
	ds_bpermute_b32 v28, v10, v17
	s_wait_loadcnt 0xd
	v_dual_mul_f32 v24, v25, v24 :: v_dual_lshlrev_b32 v25, 16, v30
	s_wait_loadcnt_dscnt 0xc03
	s_delay_alu instid0(VALU_DEP_1) | instskip(SKIP_3) | instid1(VALU_DEP_2)
	v_dual_fmac_f32 v12, v24, v20 :: v_dual_lshlrev_b32 v27, 16, v31
	s_wait_loadcnt 0xb
	v_lshlrev_b32_e32 v24, 16, v32
	s_wait_loadcnt 0xa
	v_dual_mul_f32 v20, v25, v27 :: v_dual_lshlrev_b32 v29, 16, v33
	ds_bpermute_b32 v25, v11, v17
	s_wait_loadcnt_dscnt 0x803
	v_dual_fmac_f32 v12, v20, v21 :: v_dual_lshlrev_b32 v27, 16, v35
	v_mul_f32_e32 v20, v24, v29
	ds_bpermute_b32 v24, v13, v17
	s_wait_loadcnt_dscnt 0x703
	v_dual_fmac_f32 v12, v20, v26 :: v_dual_lshlrev_b32 v29, 16, v36
	v_lshlrev_b32_e32 v21, 16, v34
	ds_bpermute_b32 v26, v0, v17
	ds_bpermute_b32 v17, v14, v17
	s_wait_loadcnt 0x6
	v_dual_mul_f32 v20, v21, v27 :: v_dual_lshlrev_b32 v21, 16, v37
	s_wait_loadcnt_dscnt 0x404
	s_delay_alu instid0(VALU_DEP_1) | instskip(NEXT) | instid1(VALU_DEP_2)
	v_dual_fmac_f32 v12, v20, v28 :: v_dual_lshlrev_b32 v23, 16, v23
	v_dual_mul_f32 v20, v21, v29 :: v_dual_lshlrev_b32 v21, 16, v22
	s_wait_loadcnt 0x2
	v_lshlrev_b32_e32 v22, 16, v39
	s_wait_dscnt 0x3
	s_delay_alu instid0(VALU_DEP_2) | instskip(SKIP_4) | instid1(VALU_DEP_2)
	v_dual_fmac_f32 v12, v20, v25 :: v_dual_lshlrev_b32 v27, 16, v38
	v_mul_f32_e32 v20, v21, v23
	s_wait_loadcnt 0x1
	v_lshlrev_b32_e32 v18, 16, v18
	s_wait_loadcnt_dscnt 0x2
	v_dual_fmac_f32 v12, v20, v24 :: v_dual_lshlrev_b32 v19, 16, v19
	v_mul_f32_e32 v20, v27, v22
	s_delay_alu instid0(VALU_DEP_2) | instskip(SKIP_1) | instid1(VALU_DEP_2)
	v_mul_f32_e32 v18, v19, v18
	s_wait_dscnt 0x1
	v_fmac_f32_e32 v12, v20, v26
	s_wait_dscnt 0x0
	s_delay_alu instid0(VALU_DEP_1)
	v_fmac_f32_e32 v12, v18, v17
	s_wait_alu 0xfffe
	s_cbranch_vccz .LBB204_9
.LBB204_6:                              ; =>This Inner Loop Header: Depth=1
	v_mov_b32_e32 v17, 0
	s_and_saveexec_b32 s3, s2
	s_cbranch_execz .LBB204_5
; %bb.7:                                ;   in Loop: Header=BB204_6 Depth=1
	v_mov_b32_e32 v17, 0
	s_mov_b32 s20, exec_lo
	v_cmpx_gt_i64_e64 s[4:5], v[2:3]
	s_cbranch_execz .LBB204_4
; %bb.8:                                ;   in Loop: Header=BB204_6 Depth=1
	global_load_b32 v17, v[4:5], off
	s_branch .LBB204_4
.LBB204_9:
	v_mov_b32_e32 v1, v7
.LBB204_10:
	s_load_b64 s[2:3], s[0:1], 0x30
	s_delay_alu instid0(VALU_DEP_1) | instskip(SKIP_3) | instid1(VALU_DEP_3)
	v_mad_u32_u24 v0, v1, 33, v6
	v_lshrrev_b32_e32 v2, 5, v6
	v_mov_b32_e32 v4, 0
	s_mov_b32 s0, exec_lo
	v_lshl_add_u32 v3, v0, 2, 0
	s_delay_alu instid0(VALU_DEP_3)
	v_add_nc_u32_e32 v0, v2, v1
	ds_store_b32 v3, v12
	ds_store_b32 v3, v4 offset:2112
	s_wait_dscnt 0x0
	s_barrier_signal -1
	s_barrier_wait -1
	global_inv scope:SCOPE_SE
	v_cmpx_gt_u32_e32 32, v0
	s_cbranch_execz .LBB204_20
; %bb.11:
	v_and_b32_e32 v1, 31, v6
	s_delay_alu instid0(VALU_DEP_1)
	v_cmp_gt_u32_e32 vcc_lo, 16, v1
	v_mul_u32_u24_e32 v2, 33, v1
                                        ; implicit-def: $vgpr1
	s_and_saveexec_b32 s0, vcc_lo
	s_cbranch_execz .LBB204_13
; %bb.12:
	v_lshlrev_b32_e32 v1, 2, v0
	s_delay_alu instid0(VALU_DEP_2) | instskip(NEXT) | instid1(VALU_DEP_1)
	v_lshlrev_b32_e32 v3, 2, v2
	v_add3_u32 v1, 0, v1, v3
	ds_load_b32 v1, v1
.LBB204_13:
	s_wait_alu 0xfffe
	s_or_b32 exec_lo, exec_lo, s0
	v_mbcnt_lo_u32_b32 v7, -1, 0
	s_mov_b32 s4, ttmp9
	s_wait_kmcnt 0x0
	s_cmp_lg_u64 s[2:3], 0
	s_mov_b32 s5, 0
	s_cselect_b32 s1, -1, 0
	v_xor_b32_e32 v3, 8, v7
	v_xor_b32_e32 v4, 4, v7
	;; [unrolled: 1-line block ×3, first 2 shown]
	s_wait_alu 0xfffe
	s_lshl_b64 s[4:5], s[4:5], 6
	s_wait_alu 0xfffe
	s_add_nc_u64 s[2:3], s[2:3], s[4:5]
	v_cmp_gt_i32_e64 s0, 32, v3
	s_wait_alu 0xf1ff
	s_delay_alu instid0(VALU_DEP_1) | instskip(SKIP_1) | instid1(VALU_DEP_2)
	v_cndmask_b32_e64 v3, v7, v3, s0
	v_cmp_gt_i32_e64 s0, 32, v4
	v_lshlrev_b32_e32 v3, 2, v3
	s_wait_alu 0xf1ff
	s_delay_alu instid0(VALU_DEP_2)
	v_cndmask_b32_e64 v4, v7, v4, s0
	s_wait_dscnt 0x0
	ds_bpermute_b32 v5, v3, v1
	s_wait_dscnt 0x0
	v_dual_add_f32 v1, v1, v5 :: v_dual_lshlrev_b32 v4, 2, v4
	v_xor_b32_e32 v5, 2, v7
	ds_bpermute_b32 v8, v4, v1
	v_cmp_gt_i32_e64 s0, 32, v5
	s_wait_alu 0xf1ff
	s_delay_alu instid0(VALU_DEP_1) | instskip(SKIP_1) | instid1(VALU_DEP_2)
	v_cndmask_b32_e64 v5, v7, v5, s0
	v_cmp_gt_i32_e64 s0, 32, v9
	v_lshlrev_b32_e32 v5, 2, v5
	s_wait_alu 0xf1ff
	s_delay_alu instid0(VALU_DEP_2) | instskip(SKIP_1) | instid1(VALU_DEP_2)
	v_cndmask_b32_e64 v7, v7, v9, s0
	v_cmp_eq_u32_e64 s0, 0, v6
	v_lshlrev_b32_e32 v7, 2, v7
	s_and_b32 s1, s0, s1
	s_wait_dscnt 0x0
	v_add_f32_e32 v1, v1, v8
	ds_bpermute_b32 v8, v5, v1
	s_wait_dscnt 0x0
	v_add_f32_e32 v1, v1, v8
	ds_bpermute_b32 v8, v7, v1
	s_wait_dscnt 0x0
	v_add_f32_e32 v6, v1, v8
	s_wait_alu 0xfffe
	s_and_saveexec_b32 s4, s1
	s_cbranch_execz .LBB204_15
; %bb.14:
	s_delay_alu instid0(VALU_DEP_1) | instskip(SKIP_1) | instid1(VALU_DEP_2)
	v_bfe_u32 v1, v6, 16, 1
	v_cmp_o_f32_e64 s0, v6, v6
	v_add3_u32 v8, v6, v1, 0x7fff
	v_mov_b32_e32 v1, 0
	s_delay_alu instid0(VALU_DEP_2) | instskip(NEXT) | instid1(VALU_DEP_2)
	v_lshrrev_b32_e32 v10, 16, v8
	v_lshlrev_b64_e32 v[8:9], 1, v[0:1]
	s_wait_alu 0xf1ff
	s_delay_alu instid0(VALU_DEP_2) | instskip(NEXT) | instid1(VALU_DEP_2)
	v_cndmask_b32_e64 v1, 0x7fc0, v10, s0
	v_add_co_u32 v8, s0, s2, v8
	s_wait_alu 0xf1ff
	s_delay_alu instid0(VALU_DEP_3)
	v_add_co_ci_u32_e64 v9, null, s3, v9, s0
	global_store_b16 v[8:9], v1, off
.LBB204_15:
	s_wait_alu 0xfffe
	s_or_b32 exec_lo, exec_lo, s4
	v_cmp_gt_u32_e64 s0, 16, v0
	s_and_b32 exec_lo, exec_lo, s0
	s_cbranch_execz .LBB204_20
; %bb.16:
	s_and_saveexec_b32 s0, vcc_lo
	s_cbranch_execz .LBB204_18
; %bb.17:
	v_lshlrev_b32_e32 v1, 2, v0
	v_lshlrev_b32_e32 v2, 2, v2
	s_delay_alu instid0(VALU_DEP_1)
	v_add3_u32 v1, 0, v1, v2
	ds_load_b32 v6, v1 offset:64
.LBB204_18:
	s_wait_alu 0xfffe
	s_or_b32 exec_lo, exec_lo, s0
	s_wait_dscnt 0x0
	ds_bpermute_b32 v1, v3, v6
	s_wait_dscnt 0x0
	v_add_f32_e32 v1, v6, v1
	ds_bpermute_b32 v2, v4, v1
	s_wait_dscnt 0x0
	v_add_f32_e32 v1, v1, v2
	;; [unrolled: 3-line block ×3, first 2 shown]
	ds_bpermute_b32 v2, v7, v1
	s_and_saveexec_b32 s0, s1
	s_wait_alu 0xfffe
	s_xor_b32 s0, exec_lo, s0
	s_cbranch_execz .LBB204_20
; %bb.19:
	s_wait_dscnt 0x0
	v_add_f32_e32 v2, v1, v2
	s_delay_alu instid0(VALU_DEP_1) | instskip(NEXT) | instid1(VALU_DEP_1)
	v_bfe_u32 v1, v2, 16, 1
	v_add3_u32 v3, v2, v1, 0x7fff
	v_mov_b32_e32 v1, 0
	v_cmp_o_f32_e32 vcc_lo, v2, v2
	s_delay_alu instid0(VALU_DEP_3) | instskip(NEXT) | instid1(VALU_DEP_3)
	v_lshrrev_b32_e32 v3, 16, v3
	v_lshlrev_b64_e32 v[0:1], 1, v[0:1]
	s_wait_alu 0xfffd
	s_delay_alu instid0(VALU_DEP_2) | instskip(NEXT) | instid1(VALU_DEP_2)
	v_cndmask_b32_e32 v2, 0x7fc0, v3, vcc_lo
	v_add_co_u32 v0, vcc_lo, s2, v0
	s_wait_alu 0xfffd
	s_delay_alu instid0(VALU_DEP_3)
	v_add_co_ci_u32_e64 v1, null, s3, v1, vcc_lo
	global_store_b16 v[0:1], v2, off offset:32
.LBB204_20:
	s_endpgm
	.section	.rodata,"a",@progbits
	.p2align	6, 0x0
	.amdhsa_kernel _ZN2at6native12_GLOBAL__N_135GammaBetaBackwardCUDAKernelTemplateIN3c108BFloat16EfLj32ELj16ELj128ELb0ELb1ELb1EEEvllPKT_S7_PKT0_SA_PS5_SB_
		.amdhsa_group_segment_fixed_size 0
		.amdhsa_private_segment_fixed_size 0
		.amdhsa_kernarg_size 320
		.amdhsa_user_sgpr_count 2
		.amdhsa_user_sgpr_dispatch_ptr 0
		.amdhsa_user_sgpr_queue_ptr 0
		.amdhsa_user_sgpr_kernarg_segment_ptr 1
		.amdhsa_user_sgpr_dispatch_id 0
		.amdhsa_user_sgpr_private_segment_size 0
		.amdhsa_wavefront_size32 1
		.amdhsa_uses_dynamic_stack 0
		.amdhsa_enable_private_segment 0
		.amdhsa_system_sgpr_workgroup_id_x 1
		.amdhsa_system_sgpr_workgroup_id_y 1
		.amdhsa_system_sgpr_workgroup_id_z 0
		.amdhsa_system_sgpr_workgroup_info 0
		.amdhsa_system_vgpr_workitem_id 1
		.amdhsa_next_free_vgpr 40
		.amdhsa_next_free_sgpr 21
		.amdhsa_reserve_vcc 1
		.amdhsa_float_round_mode_32 0
		.amdhsa_float_round_mode_16_64 0
		.amdhsa_float_denorm_mode_32 3
		.amdhsa_float_denorm_mode_16_64 3
		.amdhsa_fp16_overflow 0
		.amdhsa_workgroup_processor_mode 1
		.amdhsa_memory_ordered 1
		.amdhsa_forward_progress 1
		.amdhsa_inst_pref_size 17
		.amdhsa_round_robin_scheduling 0
		.amdhsa_exception_fp_ieee_invalid_op 0
		.amdhsa_exception_fp_denorm_src 0
		.amdhsa_exception_fp_ieee_div_zero 0
		.amdhsa_exception_fp_ieee_overflow 0
		.amdhsa_exception_fp_ieee_underflow 0
		.amdhsa_exception_fp_ieee_inexact 0
		.amdhsa_exception_int_div_zero 0
	.end_amdhsa_kernel
	.section	.text._ZN2at6native12_GLOBAL__N_135GammaBetaBackwardCUDAKernelTemplateIN3c108BFloat16EfLj32ELj16ELj128ELb0ELb1ELb1EEEvllPKT_S7_PKT0_SA_PS5_SB_,"axG",@progbits,_ZN2at6native12_GLOBAL__N_135GammaBetaBackwardCUDAKernelTemplateIN3c108BFloat16EfLj32ELj16ELj128ELb0ELb1ELb1EEEvllPKT_S7_PKT0_SA_PS5_SB_,comdat
.Lfunc_end204:
	.size	_ZN2at6native12_GLOBAL__N_135GammaBetaBackwardCUDAKernelTemplateIN3c108BFloat16EfLj32ELj16ELj128ELb0ELb1ELb1EEEvllPKT_S7_PKT0_SA_PS5_SB_, .Lfunc_end204-_ZN2at6native12_GLOBAL__N_135GammaBetaBackwardCUDAKernelTemplateIN3c108BFloat16EfLj32ELj16ELj128ELb0ELb1ELb1EEEvllPKT_S7_PKT0_SA_PS5_SB_
                                        ; -- End function
	.set _ZN2at6native12_GLOBAL__N_135GammaBetaBackwardCUDAKernelTemplateIN3c108BFloat16EfLj32ELj16ELj128ELb0ELb1ELb1EEEvllPKT_S7_PKT0_SA_PS5_SB_.num_vgpr, 40
	.set _ZN2at6native12_GLOBAL__N_135GammaBetaBackwardCUDAKernelTemplateIN3c108BFloat16EfLj32ELj16ELj128ELb0ELb1ELb1EEEvllPKT_S7_PKT0_SA_PS5_SB_.num_agpr, 0
	.set _ZN2at6native12_GLOBAL__N_135GammaBetaBackwardCUDAKernelTemplateIN3c108BFloat16EfLj32ELj16ELj128ELb0ELb1ELb1EEEvllPKT_S7_PKT0_SA_PS5_SB_.numbered_sgpr, 21
	.set _ZN2at6native12_GLOBAL__N_135GammaBetaBackwardCUDAKernelTemplateIN3c108BFloat16EfLj32ELj16ELj128ELb0ELb1ELb1EEEvllPKT_S7_PKT0_SA_PS5_SB_.num_named_barrier, 0
	.set _ZN2at6native12_GLOBAL__N_135GammaBetaBackwardCUDAKernelTemplateIN3c108BFloat16EfLj32ELj16ELj128ELb0ELb1ELb1EEEvllPKT_S7_PKT0_SA_PS5_SB_.private_seg_size, 0
	.set _ZN2at6native12_GLOBAL__N_135GammaBetaBackwardCUDAKernelTemplateIN3c108BFloat16EfLj32ELj16ELj128ELb0ELb1ELb1EEEvllPKT_S7_PKT0_SA_PS5_SB_.uses_vcc, 1
	.set _ZN2at6native12_GLOBAL__N_135GammaBetaBackwardCUDAKernelTemplateIN3c108BFloat16EfLj32ELj16ELj128ELb0ELb1ELb1EEEvllPKT_S7_PKT0_SA_PS5_SB_.uses_flat_scratch, 0
	.set _ZN2at6native12_GLOBAL__N_135GammaBetaBackwardCUDAKernelTemplateIN3c108BFloat16EfLj32ELj16ELj128ELb0ELb1ELb1EEEvllPKT_S7_PKT0_SA_PS5_SB_.has_dyn_sized_stack, 0
	.set _ZN2at6native12_GLOBAL__N_135GammaBetaBackwardCUDAKernelTemplateIN3c108BFloat16EfLj32ELj16ELj128ELb0ELb1ELb1EEEvllPKT_S7_PKT0_SA_PS5_SB_.has_recursion, 0
	.set _ZN2at6native12_GLOBAL__N_135GammaBetaBackwardCUDAKernelTemplateIN3c108BFloat16EfLj32ELj16ELj128ELb0ELb1ELb1EEEvllPKT_S7_PKT0_SA_PS5_SB_.has_indirect_call, 0
	.section	.AMDGPU.csdata,"",@progbits
; Kernel info:
; codeLenInByte = 2096
; TotalNumSgprs: 23
; NumVgprs: 40
; ScratchSize: 0
; MemoryBound: 0
; FloatMode: 240
; IeeeMode: 1
; LDSByteSize: 0 bytes/workgroup (compile time only)
; SGPRBlocks: 0
; VGPRBlocks: 4
; NumSGPRsForWavesPerEU: 23
; NumVGPRsForWavesPerEU: 40
; Occupancy: 16
; WaveLimiterHint : 0
; COMPUTE_PGM_RSRC2:SCRATCH_EN: 0
; COMPUTE_PGM_RSRC2:USER_SGPR: 2
; COMPUTE_PGM_RSRC2:TRAP_HANDLER: 0
; COMPUTE_PGM_RSRC2:TGID_X_EN: 1
; COMPUTE_PGM_RSRC2:TGID_Y_EN: 1
; COMPUTE_PGM_RSRC2:TGID_Z_EN: 0
; COMPUTE_PGM_RSRC2:TIDIG_COMP_CNT: 1
	.section	.text._ZN2at6native12_GLOBAL__N_135GammaBetaBackwardCUDAKernelTemplateIN3c108BFloat16EfLj32ELj16ELj128ELb0ELb0ELb1EEEvllPKT_S7_PKT0_SA_PS5_SB_,"axG",@progbits,_ZN2at6native12_GLOBAL__N_135GammaBetaBackwardCUDAKernelTemplateIN3c108BFloat16EfLj32ELj16ELj128ELb0ELb0ELb1EEEvllPKT_S7_PKT0_SA_PS5_SB_,comdat
	.globl	_ZN2at6native12_GLOBAL__N_135GammaBetaBackwardCUDAKernelTemplateIN3c108BFloat16EfLj32ELj16ELj128ELb0ELb0ELb1EEEvllPKT_S7_PKT0_SA_PS5_SB_ ; -- Begin function _ZN2at6native12_GLOBAL__N_135GammaBetaBackwardCUDAKernelTemplateIN3c108BFloat16EfLj32ELj16ELj128ELb0ELb0ELb1EEEvllPKT_S7_PKT0_SA_PS5_SB_
	.p2align	8
	.type	_ZN2at6native12_GLOBAL__N_135GammaBetaBackwardCUDAKernelTemplateIN3c108BFloat16EfLj32ELj16ELj128ELb0ELb0ELb1EEEvllPKT_S7_PKT0_SA_PS5_SB_,@function
_ZN2at6native12_GLOBAL__N_135GammaBetaBackwardCUDAKernelTemplateIN3c108BFloat16EfLj32ELj16ELj128ELb0ELb0ELb1EEEvllPKT_S7_PKT0_SA_PS5_SB_: ; @_ZN2at6native12_GLOBAL__N_135GammaBetaBackwardCUDAKernelTemplateIN3c108BFloat16EfLj32ELj16ELj128ELb0ELb0ELb1EEEvllPKT_S7_PKT0_SA_PS5_SB_
; %bb.0:
	s_clause 0x1
	s_load_b256 s[4:11], s[0:1], 0x0
	s_load_b64 s[12:13], s[0:1], 0x28
	s_lshl_b32 s28, ttmp9, 5
	s_mov_b32 s15, 0
	s_or_b32 s14, s28, 31
	s_wait_kmcnt 0x0
	v_cmp_le_i64_e64 s2, s[6:7], s[14:15]
	s_lshl_b32 s14, ttmp7, 7
	s_wait_alu 0xfffe
	v_cmp_gt_i64_e64 s29, s[4:5], s[14:15]
	s_and_b32 vcc_lo, exec_lo, s2
	v_cndmask_b32_e64 v1, 0, 1, s29
	s_delay_alu instid0(VALU_DEP_1)
	v_cmp_ne_u32_e64 s2, 1, v1
	s_cbranch_vccz .LBB205_49
; %bb.1:
	v_mov_b32_e32 v86, 0
	s_and_b32 vcc_lo, exec_lo, s2
	s_cbranch_vccnz .LBB205_50
; %bb.2:
	v_bfe_u32 v20, v0, 10, 10
	v_dual_mov_b32 v1, 0 :: v_dual_and_b32 v22, 0x3ff, v0
	s_load_b32 s3, s[0:1], 0x44
	s_mov_b32 s17, 0
	s_delay_alu instid0(VALU_DEP_2) | instskip(NEXT) | instid1(VALU_DEP_2)
	v_lshlrev_b32_e32 v21, 3, v20
	v_dual_mov_b32 v3, v1 :: v_dual_add_nc_u32 v2, s28, v22
	s_mov_b32 s21, s17
	v_mov_b32_e32 v55, 0
	s_delay_alu instid0(VALU_DEP_3) | instskip(NEXT) | instid1(VALU_DEP_1)
	v_add_co_u32 v10, s2, v21, s14
	v_add_co_ci_u32_e64 v11, null, 0, 0, s2
	v_cmp_gt_i64_e64 s2, s[6:7], v[2:3]
	s_delay_alu instid0(VALU_DEP_3) | instskip(SKIP_1) | instid1(VALU_DEP_4)
	v_mul_lo_u32 v6, s7, v10
	v_mad_co_u64_u32 v[4:5], null, s6, v10, 0
	v_mul_lo_u32 v7, s6, v11
	v_add_co_u32 v8, vcc_lo, v10, 7
	s_delay_alu instid0(VALU_DEP_1) | instskip(SKIP_1) | instid1(VALU_DEP_3)
	v_add_co_ci_u32_e64 v9, null, 0, v11, vcc_lo
	v_lshlrev_b64_e32 v[18:19], 1, v[2:3]
	v_mul_lo_u32 v12, s7, v8
	s_wait_kmcnt 0x0
	s_lshl_b32 s20, s3, 7
	v_add3_u32 v5, v5, v7, v6
	v_mad_co_u64_u32 v[6:7], null, s6, v8, 0
	v_add_co_u32 v8, vcc_lo, v10, 6
	v_mul_lo_u32 v13, s6, v9
	s_wait_alu 0xfffd
	v_add_co_ci_u32_e64 v9, null, 0, v11, vcc_lo
	v_lshlrev_b64_e32 v[2:3], 1, v[4:5]
	v_mul_lo_u32 v14, s7, v8
	s_mul_u64 s[22:23], s[6:7], s[20:21]
	s_delay_alu instid0(VALU_DEP_3) | instskip(SKIP_1) | instid1(VALU_DEP_4)
	v_mul_lo_u32 v15, s6, v9
	v_mad_co_u64_u32 v[8:9], null, s6, v8, 0
	v_add_co_u32 v23, vcc_lo, s8, v2
	s_wait_alu 0xfffd
	v_add_co_ci_u32_e64 v24, null, s9, v3, vcc_lo
	v_add_co_u32 v25, vcc_lo, s10, v2
	v_add3_u32 v7, v7, v13, v12
	s_wait_alu 0xfffd
	v_add_co_ci_u32_e64 v26, null, s11, v3, vcc_lo
	v_add_co_u32 v12, vcc_lo, v10, 5
	v_add3_u32 v9, v9, v15, v14
	s_wait_alu 0xfffd
	v_add_co_ci_u32_e64 v13, null, 0, v11, vcc_lo
	v_lshlrev_b64_e32 v[2:3], 1, v[6:7]
	v_mul_lo_u32 v14, s7, v12
	v_lshlrev_b64_e32 v[6:7], 1, v[8:9]
	s_delay_alu instid0(VALU_DEP_4)
	v_mul_lo_u32 v13, s6, v13
	v_mad_co_u64_u32 v[8:9], null, s6, v12, 0
	v_add_co_u32 v27, vcc_lo, s8, v2
	s_wait_alu 0xfffd
	v_add_co_ci_u32_e64 v28, null, s9, v3, vcc_lo
	v_add_co_u32 v29, vcc_lo, s10, v2
	s_wait_alu 0xfffd
	v_add_co_ci_u32_e64 v30, null, s11, v3, vcc_lo
	v_add_co_u32 v31, vcc_lo, s8, v6
	v_add3_u32 v9, v9, v13, v14
	s_wait_alu 0xfffd
	v_add_co_ci_u32_e64 v32, null, s9, v7, vcc_lo
	v_add_co_u32 v12, vcc_lo, v10, 4
	v_add_co_u32 v33, s3, s10, v6
	s_wait_alu 0xfffd
	v_add_co_ci_u32_e64 v6, null, 0, v11, vcc_lo
	v_lshlrev_b64_e32 v[2:3], 1, v[8:9]
	v_add_co_u32 v8, vcc_lo, v10, 3
	s_wait_alu 0xfffd
	v_add_co_ci_u32_e64 v9, null, 0, v11, vcc_lo
	s_wait_alu 0xf1ff
	v_add_co_ci_u32_e64 v34, null, s11, v7, s3
	v_mul_lo_u32 v13, s7, v12
	v_mul_lo_u32 v14, s6, v6
	v_mad_co_u64_u32 v[6:7], null, s6, v12, 0
	v_mul_lo_u32 v12, s7, v8
	v_mul_lo_u32 v15, s6, v9
	v_mad_co_u64_u32 v[8:9], null, s6, v8, 0
	v_add_co_u32 v35, vcc_lo, s8, v2
	s_wait_alu 0xfffd
	v_add_co_ci_u32_e64 v36, null, s9, v3, vcc_lo
	v_add3_u32 v7, v7, v14, v13
	v_add_co_u32 v37, vcc_lo, s10, v2
	s_wait_alu 0xfffd
	v_add_co_ci_u32_e64 v38, null, s11, v3, vcc_lo
	v_add_co_u32 v10, vcc_lo, v10, 2
	v_add3_u32 v9, v9, v15, v12
	s_wait_alu 0xfffd
	v_add_co_ci_u32_e64 v11, null, 0, v11, vcc_lo
	v_lshlrev_b64_e32 v[2:3], 1, v[6:7]
	v_mul_lo_u32 v12, s7, v10
	v_lshlrev_b64_e32 v[6:7], 1, v[8:9]
	s_delay_alu instid0(VALU_DEP_4)
	v_mul_lo_u32 v11, s6, v11
	v_mad_co_u64_u32 v[8:9], null, s6, v10, 0
	v_add_co_u32 v39, vcc_lo, s8, v2
	s_wait_alu 0xfffd
	v_add_co_ci_u32_e64 v40, null, s9, v3, vcc_lo
	v_add_co_u32 v41, vcc_lo, s10, v2
	s_wait_alu 0xfffd
	v_add_co_ci_u32_e64 v42, null, s11, v3, vcc_lo
	v_add_co_u32 v43, vcc_lo, s8, v6
	s_wait_alu 0xfffd
	v_add_co_ci_u32_e64 v44, null, s9, v7, vcc_lo
	v_add3_u32 v9, v9, v11, v12
	v_add_co_u32 v45, vcc_lo, s10, v6
	s_wait_alu 0xfffd
	v_add_co_ci_u32_e64 v46, null, s11, v7, vcc_lo
	v_add_co_u32 v4, vcc_lo, v4, s6
	s_wait_alu 0xfffd
	v_add_co_ci_u32_e64 v5, null, s7, v5, vcc_lo
	v_lshlrev_b64_e32 v[2:3], 1, v[8:9]
	s_add_nc_u64 s[18:19], s[0:1], 64
	s_lshl_b64 s[22:23], s[22:23], 1
	s_delay_alu instid0(VALU_DEP_2)
	v_lshlrev_b64_e32 v[4:5], 1, v[4:5]
	s_add_nc_u64 s[24:25], s[14:15], 0x7f
	s_mov_b64 s[26:27], s[14:15]
	v_add_co_u32 v47, vcc_lo, s8, v2
	s_wait_alu 0xfffd
	v_add_co_ci_u32_e64 v48, null, s9, v3, vcc_lo
	v_add_co_u32 v49, vcc_lo, s10, v2
	s_wait_alu 0xfffd
	v_add_co_ci_u32_e64 v50, null, s11, v3, vcc_lo
	;; [unrolled: 3-line block ×4, first 2 shown]
.LBB205_3:                              ; =>This Inner Loop Header: Depth=1
	v_cmp_ge_i64_e64 s3, s[24:25], s[4:5]
	v_add_co_u32 v56, s16, v21, s24
	s_wait_alu 0xf1ff
	v_add_co_ci_u32_e64 v57, null, 0, s25, s16
                                        ; implicit-def: $vgpr2_vgpr3_vgpr4_vgpr5_vgpr6_vgpr7_vgpr8_vgpr9
                                        ; implicit-def: $vgpr86
                                        ; implicit-def: $vgpr10_vgpr11_vgpr12_vgpr13_vgpr14_vgpr15_vgpr16_vgpr17
                                        ; implicit-def: $vgpr2
	s_and_b32 vcc_lo, exec_lo, s3
	s_mov_b32 s3, -1
	s_wait_alu 0xfffe
	s_cbranch_vccz .LBB205_25
; %bb.4:                                ;   in Loop: Header=BB205_3 Depth=1
	s_load_b32 s3, s[18:19], 0xc
	v_mov_b32_e32 v58, 0
	s_wait_kmcnt 0x0
	s_and_b32 s3, s3, 0xffff
	s_wait_alu 0xfffe
	v_mad_u32_u24 v2, v20, s3, v22
	s_mov_b32 s3, exec_lo
	s_delay_alu instid0(VALU_DEP_1) | instskip(NEXT) | instid1(VALU_DEP_1)
	v_and_b32_e32 v2, 31, v2
	v_cmpx_gt_u32_e32 8, v2
	s_cbranch_execz .LBB205_8
; %bb.5:                                ;   in Loop: Header=BB205_3 Depth=1
	v_add_co_u32 v2, vcc_lo, v56, v2
	s_wait_alu 0xfffd
	v_add_co_ci_u32_e64 v3, null, 0, v57, vcc_lo
	v_mov_b32_e32 v58, 0
	s_delay_alu instid0(VALU_DEP_3) | instskip(SKIP_1) | instid1(VALU_DEP_3)
	v_add_co_u32 v2, vcc_lo, 0xffffff81, v2
	s_wait_alu 0xfffd
	v_add_co_ci_u32_e64 v3, null, -1, v3, vcc_lo
	s_mov_b32 s16, exec_lo
	v_cmpx_gt_i64_e64 s[4:5], v[2:3]
	s_cbranch_execz .LBB205_7
; %bb.6:                                ;   in Loop: Header=BB205_3 Depth=1
	v_lshlrev_b64_e32 v[2:3], 2, v[2:3]
	s_delay_alu instid0(VALU_DEP_1) | instskip(SKIP_1) | instid1(VALU_DEP_2)
	v_add_co_u32 v2, vcc_lo, s12, v2
	s_wait_alu 0xfffd
	v_add_co_ci_u32_e64 v3, null, s13, v3, vcc_lo
	global_load_b32 v58, v[2:3], off
.LBB205_7:                              ;   in Loop: Header=BB205_3 Depth=1
	s_wait_alu 0xfffe
	s_or_b32 exec_lo, exec_lo, s16
.LBB205_8:                              ;   in Loop: Header=BB205_3 Depth=1
	s_wait_alu 0xfffe
	s_or_b32 exec_lo, exec_lo, s3
	v_add_co_u32 v9, vcc_lo, 0xffffff81, v56
	s_wait_alu 0xfffd
	v_add_co_ci_u32_e64 v10, null, -1, v57, vcc_lo
	v_mov_b32_e32 v8, v1
	v_dual_mov_b32 v2, v1 :: v_dual_mov_b32 v3, v1
	v_dual_mov_b32 v4, v1 :: v_dual_mov_b32 v5, v1
	;; [unrolled: 1-line block ×3, first 2 shown]
	v_cmp_gt_i64_e32 vcc_lo, s[4:5], v[9:10]
	s_delay_alu instid0(VALU_DEP_3) | instskip(NEXT) | instid1(VALU_DEP_3)
	v_dual_mov_b32 v17, v8 :: v_dual_mov_b32 v14, v5
	v_dual_mov_b32 v15, v6 :: v_dual_mov_b32 v16, v7
	;; [unrolled: 1-line block ×4, first 2 shown]
	v_mov_b32_e32 v9, v8
	v_mov_b32_e32 v8, v7
	;; [unrolled: 1-line block ×8, first 2 shown]
	s_and_b32 s16, s2, vcc_lo
	s_wait_alu 0xfffe
	s_and_saveexec_b32 s3, s16
	s_cbranch_execz .LBB205_10
; %bb.9:                                ;   in Loop: Header=BB205_3 Depth=1
	v_add_co_u32 v2, vcc_lo, v23, v18
	s_wait_alu 0xfffd
	v_add_co_ci_u32_e64 v3, null, v24, v19, vcc_lo
	v_add_co_u32 v4, vcc_lo, v25, v18
	s_wait_alu 0xfffd
	v_add_co_ci_u32_e64 v5, null, v26, v19, vcc_lo
	global_load_u16 v2, v[2:3], off
	global_load_u16 v10, v[4:5], off
	v_dual_mov_b32 v3, v1 :: v_dual_mov_b32 v4, v1
	v_dual_mov_b32 v5, v1 :: v_dual_mov_b32 v6, v1
	;; [unrolled: 1-line block ×6, first 2 shown]
	v_mov_b32_e32 v15, v1
	s_wait_loadcnt 0x1
	v_dual_mov_b32 v17, v1 :: v_dual_lshlrev_b32 v2, 16, v2
	s_wait_loadcnt 0x0
	v_lshlrev_b32_e32 v10, 16, v10
.LBB205_10:                             ;   in Loop: Header=BB205_3 Depth=1
	s_wait_alu 0xfffe
	s_or_b32 exec_lo, exec_lo, s3
	v_add_co_u32 v59, vcc_lo, 0xffffff82, v56
	s_wait_alu 0xfffd
	v_add_co_ci_u32_e64 v60, null, -1, v57, vcc_lo
	s_delay_alu instid0(VALU_DEP_1)
	v_cmp_gt_i64_e32 vcc_lo, s[4:5], v[59:60]
	s_and_b32 s16, s2, vcc_lo
	s_wait_alu 0xfffe
	s_and_saveexec_b32 s3, s16
	s_cbranch_execz .LBB205_12
; %bb.11:                               ;   in Loop: Header=BB205_3 Depth=1
	v_add_co_u32 v59, vcc_lo, v51, v18
	s_wait_alu 0xfffd
	v_add_co_ci_u32_e64 v60, null, v52, v19, vcc_lo
	v_add_co_u32 v61, vcc_lo, v53, v18
	s_wait_alu 0xfffd
	v_add_co_ci_u32_e64 v62, null, v54, v19, vcc_lo
	global_load_u16 v3, v[59:60], off
	global_load_u16 v11, v[61:62], off
	s_wait_loadcnt 0x1
	v_lshlrev_b32_e32 v3, 16, v3
	s_wait_loadcnt 0x0
	v_lshlrev_b32_e32 v11, 16, v11
.LBB205_12:                             ;   in Loop: Header=BB205_3 Depth=1
	s_wait_alu 0xfffe
	s_or_b32 exec_lo, exec_lo, s3
	v_add_co_u32 v59, vcc_lo, 0xffffff83, v56
	s_wait_alu 0xfffd
	v_add_co_ci_u32_e64 v60, null, -1, v57, vcc_lo
	s_delay_alu instid0(VALU_DEP_1)
	v_cmp_gt_i64_e32 vcc_lo, s[4:5], v[59:60]
	s_and_b32 s16, s2, vcc_lo
	s_wait_alu 0xfffe
	s_and_saveexec_b32 s3, s16
	s_cbranch_execz .LBB205_14
; %bb.13:                               ;   in Loop: Header=BB205_3 Depth=1
	v_add_co_u32 v59, vcc_lo, v47, v18
	s_wait_alu 0xfffd
	v_add_co_ci_u32_e64 v60, null, v48, v19, vcc_lo
	v_add_co_u32 v61, vcc_lo, v49, v18
	s_wait_alu 0xfffd
	v_add_co_ci_u32_e64 v62, null, v50, v19, vcc_lo
	global_load_u16 v4, v[59:60], off
	global_load_u16 v12, v[61:62], off
	s_wait_loadcnt 0x1
	v_lshlrev_b32_e32 v4, 16, v4
	s_wait_loadcnt 0x0
	v_lshlrev_b32_e32 v12, 16, v12
.LBB205_14:                             ;   in Loop: Header=BB205_3 Depth=1
	;; [unrolled: 25-line block ×7, first 2 shown]
	s_wait_alu 0xfffe
	s_or_b32 exec_lo, exec_lo, s3
	s_wait_loadcnt 0x0
	ds_bpermute_b32 v59, v1, v58
	ds_bpermute_b32 v60, v1, v58 offset:4
	ds_bpermute_b32 v61, v1, v58 offset:8
	v_dual_mul_f32 v2, v10, v2 :: v_dual_mul_f32 v3, v11, v3
	ds_bpermute_b32 v10, v1, v58 offset:12
	ds_bpermute_b32 v11, v1, v58 offset:16
	v_mul_f32_e32 v6, v14, v6
	s_mov_b32 s3, 0
	s_wait_dscnt 0x4
	v_fma_f32 v86, v2, v59, v55
	v_mul_f32_e32 v2, v12, v4
	ds_bpermute_b32 v4, v1, v58 offset:20
	s_wait_dscnt 0x4
	v_dual_fmac_f32 v86, v3, v60 :: v_dual_mul_f32 v3, v13, v5
	ds_bpermute_b32 v5, v1, v58 offset:24
	s_wait_dscnt 0x4
	v_fmac_f32_e32 v86, v2, v61
	ds_bpermute_b32 v2, v1, v58 offset:28
	s_wait_dscnt 0x4
	v_fmac_f32_e32 v86, v3, v10
	v_mul_f32_e32 v3, v15, v7
	s_wait_dscnt 0x3
	s_delay_alu instid0(VALU_DEP_2) | instskip(SKIP_1) | instid1(VALU_DEP_1)
	v_fmac_f32_e32 v86, v6, v11
	s_wait_dscnt 0x2
	v_fmac_f32_e32 v86, v3, v4
	v_mul_f32_e32 v3, v16, v8
	s_wait_dscnt 0x1
	s_delay_alu instid0(VALU_DEP_1)
	v_fmac_f32_e32 v86, v3, v5
.LBB205_25:                             ;   in Loop: Header=BB205_3 Depth=1
	s_wait_alu 0xfffe
	s_and_b32 vcc_lo, exec_lo, s3
	s_wait_alu 0xfffe
	s_cbranch_vccz .LBB205_40
; %bb.26:                               ;   in Loop: Header=BB205_3 Depth=1
	s_load_b32 s3, s[18:19], 0x0
	v_mov_b32_e32 v58, 0
	s_wait_kmcnt 0x0
	s_cmp_lt_u32 ttmp9, s3
	s_cselect_b32 s16, 12, 18
	s_wait_alu 0xfffe
	s_add_nc_u64 s[30:31], s[18:19], s[16:17]
	s_load_u16 s3, s[30:31], 0x0
	s_wait_dscnt 0x0
	s_wait_kmcnt 0x0
	v_mad_u32_u24 v2, v20, s3, v22
	s_mov_b32 s3, exec_lo
	s_delay_alu instid0(VALU_DEP_1) | instskip(NEXT) | instid1(VALU_DEP_1)
	v_and_b32_e32 v2, 31, v2
	v_cmpx_gt_u32_e32 8, v2
	s_cbranch_execz .LBB205_30
; %bb.27:                               ;   in Loop: Header=BB205_3 Depth=1
	v_add_co_u32 v2, vcc_lo, v56, v2
	s_wait_alu 0xfffd
	v_add_co_ci_u32_e64 v3, null, 0, v57, vcc_lo
	v_mov_b32_e32 v58, 0
	s_delay_alu instid0(VALU_DEP_3) | instskip(SKIP_1) | instid1(VALU_DEP_3)
	v_add_co_u32 v2, vcc_lo, 0xffffff81, v2
	s_wait_alu 0xfffd
	v_add_co_ci_u32_e64 v3, null, -1, v3, vcc_lo
	s_mov_b32 s16, exec_lo
	v_cmpx_gt_i64_e64 s[4:5], v[2:3]
	s_cbranch_execz .LBB205_29
; %bb.28:                               ;   in Loop: Header=BB205_3 Depth=1
	v_lshlrev_b64_e32 v[2:3], 2, v[2:3]
	s_delay_alu instid0(VALU_DEP_1) | instskip(SKIP_1) | instid1(VALU_DEP_2)
	v_add_co_u32 v2, vcc_lo, s12, v2
	s_wait_alu 0xfffd
	v_add_co_ci_u32_e64 v3, null, s13, v3, vcc_lo
	global_load_b32 v58, v[2:3], off
.LBB205_29:                             ;   in Loop: Header=BB205_3 Depth=1
	s_wait_alu 0xfffe
	s_or_b32 exec_lo, exec_lo, s16
.LBB205_30:                             ;   in Loop: Header=BB205_3 Depth=1
	s_wait_alu 0xfffe
	s_or_b32 exec_lo, exec_lo, s3
	v_mov_b32_e32 v8, v1
	v_dual_mov_b32 v2, v1 :: v_dual_mov_b32 v3, v1
	v_dual_mov_b32 v4, v1 :: v_dual_mov_b32 v5, v1
	;; [unrolled: 1-line block ×3, first 2 shown]
	s_delay_alu instid0(VALU_DEP_4) | instskip(NEXT) | instid1(VALU_DEP_3)
	v_mov_b32_e32 v17, v8
	v_dual_mov_b32 v13, v4 :: v_dual_mov_b32 v12, v3
	s_delay_alu instid0(VALU_DEP_3) | instskip(NEXT) | instid1(VALU_DEP_4)
	v_dual_mov_b32 v15, v6 :: v_dual_mov_b32 v14, v5
	v_dual_mov_b32 v16, v7 :: v_dual_mov_b32 v11, v2
	;; [unrolled: 1-line block ×3, first 2 shown]
	v_mov_b32_e32 v8, v7
	v_mov_b32_e32 v7, v6
	;; [unrolled: 1-line block ×7, first 2 shown]
	s_and_saveexec_b32 s3, s2
	s_cbranch_execnz .LBB205_42
; %bb.31:                               ;   in Loop: Header=BB205_3 Depth=1
	s_wait_alu 0xfffe
	s_or_b32 exec_lo, exec_lo, s3
	s_and_saveexec_b32 s3, s2
	s_cbranch_execnz .LBB205_43
.LBB205_32:                             ;   in Loop: Header=BB205_3 Depth=1
	s_wait_alu 0xfffe
	s_or_b32 exec_lo, exec_lo, s3
	s_and_saveexec_b32 s3, s2
	s_cbranch_execnz .LBB205_44
.LBB205_33:                             ;   in Loop: Header=BB205_3 Depth=1
	s_wait_alu 0xfffe
	s_or_b32 exec_lo, exec_lo, s3
	s_and_saveexec_b32 s3, s2
	s_cbranch_execnz .LBB205_45
.LBB205_34:                             ;   in Loop: Header=BB205_3 Depth=1
	s_wait_alu 0xfffe
	s_or_b32 exec_lo, exec_lo, s3
	s_and_saveexec_b32 s3, s2
	s_cbranch_execnz .LBB205_46
.LBB205_35:                             ;   in Loop: Header=BB205_3 Depth=1
	s_wait_alu 0xfffe
	s_or_b32 exec_lo, exec_lo, s3
	s_and_saveexec_b32 s3, s2
	s_cbranch_execnz .LBB205_47
.LBB205_36:                             ;   in Loop: Header=BB205_3 Depth=1
	s_wait_alu 0xfffe
	s_or_b32 exec_lo, exec_lo, s3
	s_and_saveexec_b32 s3, s2
	s_cbranch_execnz .LBB205_48
.LBB205_37:                             ;   in Loop: Header=BB205_3 Depth=1
	s_wait_alu 0xfffe
	s_or_b32 exec_lo, exec_lo, s3
	s_and_saveexec_b32 s3, s2
	s_cbranch_execz .LBB205_39
.LBB205_38:                             ;   in Loop: Header=BB205_3 Depth=1
	v_add_co_u32 v56, vcc_lo, v27, v18
	s_wait_alu 0xfffd
	v_add_co_ci_u32_e64 v57, null, v28, v19, vcc_lo
	v_add_co_u32 v59, vcc_lo, v29, v18
	s_wait_alu 0xfffd
	v_add_co_ci_u32_e64 v60, null, v30, v19, vcc_lo
	global_load_u16 v9, v[56:57], off
	global_load_u16 v17, v[59:60], off
	s_wait_loadcnt 0x1
	v_lshlrev_b32_e32 v9, 16, v9
	s_wait_loadcnt 0x0
	v_lshlrev_b32_e32 v17, 16, v17
.LBB205_39:                             ;   in Loop: Header=BB205_3 Depth=1
	s_wait_alu 0xfffe
	s_or_b32 exec_lo, exec_lo, s3
	s_wait_loadcnt 0x0
	ds_bpermute_b32 v56, v1, v58
	ds_bpermute_b32 v57, v1, v58 offset:4
	ds_bpermute_b32 v59, v1, v58 offset:8
	v_dual_mul_f32 v2, v10, v2 :: v_dual_mul_f32 v3, v11, v3
	ds_bpermute_b32 v10, v1, v58 offset:12
	ds_bpermute_b32 v11, v1, v58 offset:16
	s_wait_dscnt 0x4
	v_fmac_f32_e32 v55, v2, v56
	v_mul_f32_e32 v2, v12, v4
	ds_bpermute_b32 v4, v1, v58 offset:20
	s_wait_dscnt 0x4
	v_fmac_f32_e32 v55, v3, v57
	v_mul_f32_e32 v3, v13, v5
	;; [unrolled: 4-line block ×3, first 2 shown]
	s_wait_dscnt 0x3
	s_delay_alu instid0(VALU_DEP_2) | instskip(SKIP_2) | instid1(VALU_DEP_2)
	v_fmac_f32_e32 v55, v3, v10
	v_mul_f32_e32 v3, v15, v7
	s_wait_dscnt 0x2
	v_fmac_f32_e32 v55, v2, v11
	ds_bpermute_b32 v2, v1, v58 offset:28
	s_wait_dscnt 0x2
	v_fmac_f32_e32 v55, v3, v4
	v_mul_f32_e32 v3, v16, v8
	s_wait_dscnt 0x1
	s_delay_alu instid0(VALU_DEP_1) | instskip(NEXT) | instid1(VALU_DEP_1)
	v_fmac_f32_e32 v55, v3, v5
	v_mov_b32_e32 v86, v55
.LBB205_40:                             ;   in Loop: Header=BB205_3 Depth=1
	v_add_co_u32 v23, vcc_lo, v23, s22
	s_wait_alu 0xfffd
	v_add_co_ci_u32_e64 v24, null, s23, v24, vcc_lo
	v_add_co_u32 v25, vcc_lo, v25, s22
	s_wait_alu 0xfffd
	v_add_co_ci_u32_e64 v26, null, s23, v26, vcc_lo
	;; [unrolled: 3-line block ×13, first 2 shown]
	v_add_co_u32 v49, vcc_lo, v49, s22
	v_mul_f32_e32 v3, v9, v17
	s_add_nc_u64 s[26:27], s[26:27], s[20:21]
	s_wait_alu 0xfffd
	v_add_co_ci_u32_e64 v50, null, s23, v50, vcc_lo
	v_add_co_u32 v51, vcc_lo, v51, s22
	s_wait_alu 0xfffe
	v_cmp_lt_i64_e64 s3, s[26:27], s[4:5]
	s_wait_alu 0xfffd
	v_add_co_ci_u32_e64 v52, null, s23, v52, vcc_lo
	v_add_co_u32 v53, vcc_lo, v53, s22
	s_wait_dscnt 0x0
	v_fmac_f32_e32 v86, v3, v2
	s_wait_alu 0xfffd
	v_add_co_ci_u32_e64 v54, null, s23, v54, vcc_lo
	s_and_b32 vcc_lo, exec_lo, s3
	s_add_nc_u64 s[24:25], s[24:25], s[20:21]
	s_wait_alu 0xfffe
	s_cbranch_vccz .LBB205_50
; %bb.41:                               ;   in Loop: Header=BB205_3 Depth=1
	v_mov_b32_e32 v55, v86
	s_branch .LBB205_3
.LBB205_42:                             ;   in Loop: Header=BB205_3 Depth=1
	v_add_co_u32 v2, vcc_lo, v23, v18
	s_wait_alu 0xfffd
	v_add_co_ci_u32_e64 v3, null, v24, v19, vcc_lo
	v_add_co_u32 v4, vcc_lo, v25, v18
	s_wait_alu 0xfffd
	v_add_co_ci_u32_e64 v5, null, v26, v19, vcc_lo
	global_load_u16 v2, v[2:3], off
	global_load_u16 v10, v[4:5], off
	v_dual_mov_b32 v3, v1 :: v_dual_mov_b32 v4, v1
	v_dual_mov_b32 v5, v1 :: v_dual_mov_b32 v6, v1
	;; [unrolled: 1-line block ×6, first 2 shown]
	v_mov_b32_e32 v15, v1
	s_wait_loadcnt 0x1
	v_dual_mov_b32 v17, v1 :: v_dual_lshlrev_b32 v2, 16, v2
	s_wait_loadcnt 0x0
	v_lshlrev_b32_e32 v10, 16, v10
	s_wait_alu 0xfffe
	s_or_b32 exec_lo, exec_lo, s3
	s_and_saveexec_b32 s3, s2
	s_cbranch_execz .LBB205_32
.LBB205_43:                             ;   in Loop: Header=BB205_3 Depth=1
	v_add_co_u32 v56, vcc_lo, v51, v18
	s_wait_alu 0xfffd
	v_add_co_ci_u32_e64 v57, null, v52, v19, vcc_lo
	v_add_co_u32 v59, vcc_lo, v53, v18
	s_wait_alu 0xfffd
	v_add_co_ci_u32_e64 v60, null, v54, v19, vcc_lo
	global_load_u16 v3, v[56:57], off
	global_load_u16 v11, v[59:60], off
	s_wait_loadcnt 0x1
	v_lshlrev_b32_e32 v3, 16, v3
	s_wait_loadcnt 0x0
	v_lshlrev_b32_e32 v11, 16, v11
	s_wait_alu 0xfffe
	s_or_b32 exec_lo, exec_lo, s3
	s_and_saveexec_b32 s3, s2
	s_cbranch_execz .LBB205_33
.LBB205_44:                             ;   in Loop: Header=BB205_3 Depth=1
	v_add_co_u32 v56, vcc_lo, v47, v18
	s_wait_alu 0xfffd
	v_add_co_ci_u32_e64 v57, null, v48, v19, vcc_lo
	v_add_co_u32 v59, vcc_lo, v49, v18
	s_wait_alu 0xfffd
	v_add_co_ci_u32_e64 v60, null, v50, v19, vcc_lo
	global_load_u16 v4, v[56:57], off
	global_load_u16 v12, v[59:60], off
	s_wait_loadcnt 0x1
	v_lshlrev_b32_e32 v4, 16, v4
	s_wait_loadcnt 0x0
	v_lshlrev_b32_e32 v12, 16, v12
	s_wait_alu 0xfffe
	s_or_b32 exec_lo, exec_lo, s3
	s_and_saveexec_b32 s3, s2
	s_cbranch_execz .LBB205_34
.LBB205_45:                             ;   in Loop: Header=BB205_3 Depth=1
	v_add_co_u32 v56, vcc_lo, v43, v18
	s_wait_alu 0xfffd
	v_add_co_ci_u32_e64 v57, null, v44, v19, vcc_lo
	v_add_co_u32 v59, vcc_lo, v45, v18
	s_wait_alu 0xfffd
	v_add_co_ci_u32_e64 v60, null, v46, v19, vcc_lo
	global_load_u16 v5, v[56:57], off
	global_load_u16 v13, v[59:60], off
	s_wait_loadcnt 0x1
	v_lshlrev_b32_e32 v5, 16, v5
	s_wait_loadcnt 0x0
	v_lshlrev_b32_e32 v13, 16, v13
	s_wait_alu 0xfffe
	s_or_b32 exec_lo, exec_lo, s3
	s_and_saveexec_b32 s3, s2
	s_cbranch_execz .LBB205_35
.LBB205_46:                             ;   in Loop: Header=BB205_3 Depth=1
	v_add_co_u32 v56, vcc_lo, v39, v18
	s_wait_alu 0xfffd
	v_add_co_ci_u32_e64 v57, null, v40, v19, vcc_lo
	v_add_co_u32 v59, vcc_lo, v41, v18
	s_wait_alu 0xfffd
	v_add_co_ci_u32_e64 v60, null, v42, v19, vcc_lo
	global_load_u16 v6, v[56:57], off
	global_load_u16 v14, v[59:60], off
	s_wait_loadcnt 0x1
	v_lshlrev_b32_e32 v6, 16, v6
	s_wait_loadcnt 0x0
	v_lshlrev_b32_e32 v14, 16, v14
	s_wait_alu 0xfffe
	s_or_b32 exec_lo, exec_lo, s3
	s_and_saveexec_b32 s3, s2
	s_cbranch_execz .LBB205_36
.LBB205_47:                             ;   in Loop: Header=BB205_3 Depth=1
	v_add_co_u32 v56, vcc_lo, v35, v18
	s_wait_alu 0xfffd
	v_add_co_ci_u32_e64 v57, null, v36, v19, vcc_lo
	v_add_co_u32 v59, vcc_lo, v37, v18
	s_wait_alu 0xfffd
	v_add_co_ci_u32_e64 v60, null, v38, v19, vcc_lo
	global_load_u16 v7, v[56:57], off
	global_load_u16 v15, v[59:60], off
	s_wait_loadcnt 0x1
	v_lshlrev_b32_e32 v7, 16, v7
	s_wait_loadcnt 0x0
	v_lshlrev_b32_e32 v15, 16, v15
	s_wait_alu 0xfffe
	s_or_b32 exec_lo, exec_lo, s3
	s_and_saveexec_b32 s3, s2
	s_cbranch_execz .LBB205_37
.LBB205_48:                             ;   in Loop: Header=BB205_3 Depth=1
	v_add_co_u32 v56, vcc_lo, v31, v18
	s_wait_alu 0xfffd
	v_add_co_ci_u32_e64 v57, null, v32, v19, vcc_lo
	v_add_co_u32 v59, vcc_lo, v33, v18
	s_wait_alu 0xfffd
	v_add_co_ci_u32_e64 v60, null, v34, v19, vcc_lo
	global_load_u16 v8, v[56:57], off
	global_load_u16 v16, v[59:60], off
	s_wait_loadcnt 0x1
	v_lshlrev_b32_e32 v8, 16, v8
	s_wait_loadcnt 0x0
	v_lshlrev_b32_e32 v16, 16, v16
	s_wait_alu 0xfffe
	s_or_b32 exec_lo, exec_lo, s3
	s_and_saveexec_b32 s3, s2
	s_cbranch_execnz .LBB205_38
	s_branch .LBB205_39
.LBB205_49:
                                        ; implicit-def: $vgpr86
	s_branch .LBB205_51
.LBB205_50:
	s_cbranch_execnz .LBB205_83
.LBB205_51:
	v_mov_b32_e32 v86, 0
	s_and_not1_b32 vcc_lo, exec_lo, s29
	s_wait_alu 0xfffe
	s_cbranch_vccnz .LBB205_83
; %bb.52:
	v_bfe_u32 v48, v0, 10, 10
	v_dual_mov_b32 v1, 0 :: v_dual_and_b32 v50, 0x3ff, v0
	s_lshl_b64 s[18:19], s[14:15], 1
	s_mov_b32 s3, 0
	s_delay_alu instid0(VALU_DEP_2) | instskip(SKIP_2) | instid1(VALU_DEP_3)
	v_lshlrev_b32_e32 v49, 3, v48
	v_dual_mov_b32 v83, 0 :: v_dual_lshlrev_b32 v8, 4, v48
	v_dual_mov_b32 v5, v1 :: v_dual_add_nc_u32 v4, s28, v50
	v_add_co_u32 v10, s2, v49, s14
	s_wait_alu 0xf1ff
	v_add_co_ci_u32_e64 v11, null, 0, 0, s2
	s_delay_alu instid0(VALU_DEP_3) | instskip(NEXT) | instid1(VALU_DEP_3)
	v_lshlrev_b64_e32 v[18:19], 1, v[4:5]
	v_mul_lo_u32 v6, s7, v10
	v_mad_co_u64_u32 v[2:3], null, s6, v10, 0
	s_delay_alu instid0(VALU_DEP_4) | instskip(SKIP_2) | instid1(VALU_DEP_1)
	v_mul_lo_u32 v7, s6, v11
	s_load_b32 s2, s[0:1], 0x44
	s_mov_b32 s17, s3
	v_add3_u32 v3, v3, v7, v6
	v_add_co_u32 v6, s16, v8, s18
	s_wait_alu 0xf1ff
	v_add_co_ci_u32_e64 v7, null, 0, s19, s16
	s_delay_alu instid0(VALU_DEP_3) | instskip(NEXT) | instid1(VALU_DEP_3)
	v_lshlrev_b64_e32 v[4:5], 1, v[2:3]
	v_add_co_u32 v8, vcc_lo, v6, 2
	s_wait_alu 0xfffd
	s_delay_alu instid0(VALU_DEP_3) | instskip(NEXT) | instid1(VALU_DEP_3)
	v_add_co_ci_u32_e64 v9, null, 0, v7, vcc_lo
	v_add_co_u32 v51, vcc_lo, s8, v4
	s_wait_alu 0xfffd
	v_add_co_ci_u32_e64 v52, null, s9, v5, vcc_lo
	v_add_co_u32 v53, vcc_lo, s10, v4
	s_wait_alu 0xfffd
	;; [unrolled: 3-line block ×5, first 2 shown]
	v_add_co_ci_u32_e64 v28, null, 0, v7, vcc_lo
	v_add_co_u32 v42, vcc_lo, v6, 10
	v_mad_co_u64_u32 v[22:23], null, s6, v4, s[8:9]
	v_mul_lo_u32 v5, s6, v5
	v_mul_lo_u32 v15, s7, v4
	v_mad_co_u64_u32 v[36:37], null, s6, v4, s[10:11]
	s_wait_alu 0xfffd
	v_add_co_ci_u32_e64 v30, null, 0, v7, vcc_lo
	v_add_co_u32 v44, vcc_lo, v6, 12
	s_wait_alu 0xfffd
	v_add_co_ci_u32_e64 v32, null, 0, v7, vcc_lo
	v_add_co_u32 v6, vcc_lo, v6, 14
	v_mad_co_u64_u32 v[20:21], null, s6, v8, s[8:9]
	v_mul_lo_u32 v9, s6, v9
	v_mul_lo_u32 v12, s7, v8
	v_mad_co_u64_u32 v[34:35], null, s6, v8, s[10:11]
	s_wait_alu 0xfffd
	v_add_co_ci_u32_e64 v7, null, 0, v7, vcc_lo
	v_add_co_u32 v4, vcc_lo, v10, 7
	v_add3_u32 v23, v15, v23, v5
	v_add3_u32 v37, v15, v37, v5
	s_wait_alu 0xfffd
	v_add_co_ci_u32_e64 v5, null, 0, v11, vcc_lo
	v_mul_lo_u32 v61, s6, v7
	v_add_co_u32 v7, vcc_lo, v10, 6
	v_add3_u32 v21, v12, v21, v9
	v_add3_u32 v35, v12, v35, v9
	s_wait_alu 0xfffd
	v_add_co_ci_u32_e64 v12, null, 0, v11, vcc_lo
	v_mul_lo_u32 v8, s7, v4
	v_mul_lo_u32 v9, s6, v5
	v_mad_co_u64_u32 v[4:5], null, s6, v4, 0
	v_mad_co_u64_u32 v[24:25], null, s6, v13, s[8:9]
	v_mul_lo_u32 v17, s7, v13
	v_mul_lo_u32 v59, s6, v32
	v_mad_co_u64_u32 v[32:33], null, s6, v6, s[8:9]
	v_mul_lo_u32 v62, s7, v6
	v_mad_co_u64_u32 v[38:39], null, s6, v13, s[10:11]
	v_mad_co_u64_u32 v[46:47], null, s6, v6, s[10:11]
	v_mul_lo_u32 v13, s7, v7
	v_mul_lo_u32 v12, s6, v12
	v_mad_co_u64_u32 v[6:7], null, s6, v7, 0
	v_add3_u32 v5, v5, v9, v8
	v_add_co_u32 v8, vcc_lo, v10, 5
	v_mad_co_u64_u32 v[26:27], null, s6, v16, s[8:9]
	v_mul_lo_u32 v55, s6, v28
	v_mul_lo_u32 v56, s7, v16
	v_mad_co_u64_u32 v[40:41], null, s6, v16, s[10:11]
	s_wait_alu 0xfffd
	v_add_co_ci_u32_e64 v9, null, 0, v11, vcc_lo
	v_add3_u32 v7, v7, v12, v13
	v_mad_co_u64_u32 v[28:29], null, s6, v42, s[8:9]
	v_mul_lo_u32 v57, s6, v30
	v_mul_lo_u32 v58, s7, v42
	v_mad_co_u64_u32 v[42:43], null, s6, v42, s[10:11]
	v_lshlrev_b64_e32 v[4:5], 1, v[4:5]
	v_mad_co_u64_u32 v[30:31], null, s6, v44, s[8:9]
	v_mul_lo_u32 v60, s7, v44
	v_mad_co_u64_u32 v[44:45], null, s6, v44, s[10:11]
	v_mul_lo_u32 v12, s7, v8
	v_mul_lo_u32 v13, s6, v9
	v_mad_co_u64_u32 v[8:9], null, s6, v8, 0
	v_lshlrev_b64_e32 v[6:7], 1, v[6:7]
	v_add3_u32 v27, v56, v27, v55
	v_add3_u32 v41, v56, v41, v55
	v_add_co_u32 v55, vcc_lo, s8, v4
	v_add3_u32 v29, v58, v29, v57
	v_add3_u32 v43, v58, v43, v57
	s_wait_alu 0xfffd
	v_add_co_ci_u32_e64 v56, null, s9, v5, vcc_lo
	v_add_co_u32 v57, vcc_lo, s10, v4
	v_add3_u32 v31, v60, v31, v59
	v_add3_u32 v45, v60, v45, v59
	s_wait_alu 0xfffd
	v_add_co_ci_u32_e64 v58, null, s11, v5, vcc_lo
	v_add_co_u32 v59, vcc_lo, s8, v6
	v_mul_lo_u32 v14, s6, v14
	v_add3_u32 v9, v9, v13, v12
	s_wait_alu 0xfffd
	v_add_co_ci_u32_e64 v60, null, s9, v7, vcc_lo
	v_add_co_u32 v12, vcc_lo, v10, 4
	s_wait_kmcnt 0x0
	s_lshl_b32 s16, s2, 7
	v_add3_u32 v33, v62, v33, v61
	v_add3_u32 v47, v62, v47, v61
	v_add_co_u32 v61, s2, s10, v6
	s_wait_alu 0xfffd
	v_add_co_ci_u32_e64 v6, null, 0, v11, vcc_lo
	v_lshlrev_b64_e32 v[4:5], 1, v[8:9]
	v_add_co_u32 v8, vcc_lo, v10, 3
	s_wait_alu 0xfffd
	v_add_co_ci_u32_e64 v9, null, 0, v11, vcc_lo
	v_add3_u32 v25, v17, v25, v14
	v_add3_u32 v39, v17, v39, v14
	s_wait_alu 0xf1ff
	v_add_co_ci_u32_e64 v62, null, s11, v7, s2
	v_mul_lo_u32 v13, s7, v12
	v_mul_lo_u32 v14, s6, v6
	v_mad_co_u64_u32 v[6:7], null, s6, v12, 0
	v_mul_lo_u32 v12, s7, v8
	v_mul_lo_u32 v15, s6, v9
	v_mad_co_u64_u32 v[8:9], null, s6, v8, 0
	v_add_co_u32 v63, vcc_lo, s8, v4
	s_wait_alu 0xfffd
	v_add_co_ci_u32_e64 v64, null, s9, v5, vcc_lo
	v_add3_u32 v7, v7, v14, v13
	v_add_co_u32 v65, vcc_lo, s10, v4
	s_wait_alu 0xfffd
	v_add_co_ci_u32_e64 v66, null, s11, v5, vcc_lo
	v_add_co_u32 v10, vcc_lo, v10, 2
	v_add3_u32 v9, v9, v15, v12
	s_wait_alu 0xfffd
	v_add_co_ci_u32_e64 v11, null, 0, v11, vcc_lo
	v_lshlrev_b64_e32 v[4:5], 1, v[6:7]
	v_mul_lo_u32 v12, s7, v10
	v_lshlrev_b64_e32 v[6:7], 1, v[8:9]
	s_delay_alu instid0(VALU_DEP_4)
	v_mul_lo_u32 v11, s6, v11
	v_mad_co_u64_u32 v[8:9], null, s6, v10, 0
	v_add_co_u32 v67, vcc_lo, s8, v4
	s_wait_alu 0xfffd
	v_add_co_ci_u32_e64 v68, null, s9, v5, vcc_lo
	v_add_co_u32 v69, vcc_lo, s10, v4
	s_wait_alu 0xfffd
	v_add_co_ci_u32_e64 v70, null, s11, v5, vcc_lo
	;; [unrolled: 3-line block ×3, first 2 shown]
	v_add3_u32 v9, v9, v11, v12
	v_add_co_u32 v73, vcc_lo, s10, v6
	s_wait_alu 0xfffd
	v_add_co_ci_u32_e64 v74, null, s11, v7, vcc_lo
	v_add_co_u32 v2, vcc_lo, v2, s6
	s_wait_alu 0xfffd
	v_add_co_ci_u32_e64 v3, null, s7, v3, vcc_lo
	v_lshlrev_b64_e32 v[4:5], 1, v[8:9]
	s_wait_alu 0xfffe
	s_mul_u64 s[18:19], s[6:7], s[16:17]
	s_delay_alu instid0(VALU_DEP_2) | instskip(NEXT) | instid1(VALU_DEP_2)
	v_lshlrev_b64_e32 v[2:3], 1, v[2:3]
	v_add_co_u32 v75, vcc_lo, s8, v4
	s_wait_alu 0xfffd
	v_add_co_ci_u32_e64 v76, null, s9, v5, vcc_lo
	v_add_co_u32 v77, vcc_lo, s10, v4
	s_wait_alu 0xfffd
	v_add_co_ci_u32_e64 v78, null, s11, v5, vcc_lo
	;; [unrolled: 3-line block ×4, first 2 shown]
	s_add_nc_u64 s[8:9], s[0:1], 64
	s_wait_alu 0xfffe
	s_lshl_b64 s[10:11], s[18:19], 1
	s_add_nc_u64 s[18:19], s[14:15], 0x7f
.LBB205_53:                             ; =>This Inner Loop Header: Depth=1
	s_wait_alu 0xfffe
	v_cmp_ge_i64_e64 s2, s[18:19], s[4:5]
	v_add_co_u32 v84, s20, v49, s18
	s_wait_alu 0xf1ff
	v_add_co_ci_u32_e64 v85, null, 0, s19, s20
                                        ; implicit-def: $vgpr86
	s_and_b32 vcc_lo, exec_lo, s2
	s_mov_b32 s2, -1
	s_wait_alu 0xfffe
	s_cbranch_vccz .LBB205_75
; %bb.54:                               ;   in Loop: Header=BB205_53 Depth=1
	s_load_b32 s2, s[8:9], 0xc
	v_mov_b32_e32 v87, 0
	s_wait_kmcnt 0x0
	s_and_b32 s2, s2, 0xffff
	s_wait_alu 0xfffe
	v_mad_u32_u24 v2, v48, s2, v50
	s_mov_b32 s2, exec_lo
	s_delay_alu instid0(VALU_DEP_1) | instskip(NEXT) | instid1(VALU_DEP_1)
	v_and_b32_e32 v2, 31, v2
	v_cmpx_gt_u32_e32 8, v2
	s_cbranch_execz .LBB205_58
; %bb.55:                               ;   in Loop: Header=BB205_53 Depth=1
	v_add_co_u32 v2, vcc_lo, v84, v2
	s_wait_alu 0xfffd
	v_add_co_ci_u32_e64 v3, null, 0, v85, vcc_lo
	v_mov_b32_e32 v87, 0
	s_delay_alu instid0(VALU_DEP_3) | instskip(SKIP_1) | instid1(VALU_DEP_3)
	v_add_co_u32 v2, vcc_lo, 0xffffff81, v2
	s_wait_alu 0xfffd
	v_add_co_ci_u32_e64 v3, null, -1, v3, vcc_lo
	s_mov_b32 s20, exec_lo
	v_cmpx_gt_i64_e64 s[4:5], v[2:3]
	s_cbranch_execz .LBB205_57
; %bb.56:                               ;   in Loop: Header=BB205_53 Depth=1
	v_lshlrev_b64_e32 v[2:3], 2, v[2:3]
	s_delay_alu instid0(VALU_DEP_1) | instskip(SKIP_1) | instid1(VALU_DEP_2)
	v_add_co_u32 v2, vcc_lo, s12, v2
	s_wait_alu 0xfffd
	v_add_co_ci_u32_e64 v3, null, s13, v3, vcc_lo
	global_load_b32 v87, v[2:3], off
.LBB205_57:                             ;   in Loop: Header=BB205_53 Depth=1
	s_wait_alu 0xfffe
	s_or_b32 exec_lo, exec_lo, s20
.LBB205_58:                             ;   in Loop: Header=BB205_53 Depth=1
	s_wait_alu 0xfffe
	s_or_b32 exec_lo, exec_lo, s2
	v_add_co_u32 v9, vcc_lo, 0xffffff81, v84
	s_wait_alu 0xfffd
	v_add_co_ci_u32_e64 v10, null, -1, v85, vcc_lo
	v_mov_b32_e32 v8, v1
	v_dual_mov_b32 v2, v1 :: v_dual_mov_b32 v3, v1
	v_dual_mov_b32 v4, v1 :: v_dual_mov_b32 v5, v1
	;; [unrolled: 1-line block ×3, first 2 shown]
	v_cmp_gt_i64_e32 vcc_lo, s[4:5], v[9:10]
	s_delay_alu instid0(VALU_DEP_3) | instskip(NEXT) | instid1(VALU_DEP_3)
	v_dual_mov_b32 v17, v8 :: v_dual_mov_b32 v14, v5
	v_dual_mov_b32 v15, v6 :: v_dual_mov_b32 v16, v7
	v_dual_mov_b32 v13, v4 :: v_dual_mov_b32 v12, v3
	v_dual_mov_b32 v11, v2 :: v_dual_mov_b32 v10, v1
	v_mov_b32_e32 v9, v8
	v_mov_b32_e32 v8, v7
	v_mov_b32_e32 v7, v6
	v_mov_b32_e32 v6, v5
	v_mov_b32_e32 v5, v4
	v_mov_b32_e32 v4, v3
	v_mov_b32_e32 v3, v2
	v_mov_b32_e32 v2, v1
	s_and_saveexec_b32 s2, vcc_lo
	s_cbranch_execz .LBB205_60
; %bb.59:                               ;   in Loop: Header=BB205_53 Depth=1
	v_add_co_u32 v2, vcc_lo, v51, v18
	s_wait_alu 0xfffd
	v_add_co_ci_u32_e64 v3, null, v52, v19, vcc_lo
	v_add_co_u32 v4, vcc_lo, v53, v18
	s_wait_alu 0xfffd
	v_add_co_ci_u32_e64 v5, null, v54, v19, vcc_lo
	global_load_u16 v2, v[2:3], off
	global_load_u16 v10, v[4:5], off
	v_dual_mov_b32 v3, v1 :: v_dual_mov_b32 v4, v1
	v_dual_mov_b32 v5, v1 :: v_dual_mov_b32 v6, v1
	;; [unrolled: 1-line block ×6, first 2 shown]
	v_mov_b32_e32 v15, v1
	s_wait_loadcnt 0x1
	v_dual_mov_b32 v17, v1 :: v_dual_lshlrev_b32 v2, 16, v2
	s_wait_loadcnt 0x0
	v_lshlrev_b32_e32 v10, 16, v10
.LBB205_60:                             ;   in Loop: Header=BB205_53 Depth=1
	s_wait_alu 0xfffe
	s_or_b32 exec_lo, exec_lo, s2
	v_add_co_u32 v88, vcc_lo, 0xffffff82, v84
	s_wait_alu 0xfffd
	v_add_co_ci_u32_e64 v89, null, -1, v85, vcc_lo
	s_mov_b32 s2, exec_lo
	v_cmpx_gt_i64_e64 s[4:5], v[88:89]
	s_cbranch_execz .LBB205_62
; %bb.61:                               ;   in Loop: Header=BB205_53 Depth=1
	v_add_co_u32 v88, vcc_lo, v79, v18
	s_wait_alu 0xfffd
	v_add_co_ci_u32_e64 v89, null, v80, v19, vcc_lo
	v_add_co_u32 v90, vcc_lo, v81, v18
	s_wait_alu 0xfffd
	v_add_co_ci_u32_e64 v91, null, v82, v19, vcc_lo
	global_load_u16 v3, v[88:89], off
	global_load_u16 v11, v[90:91], off
	s_wait_loadcnt 0x1
	v_lshlrev_b32_e32 v3, 16, v3
	s_wait_loadcnt 0x0
	v_lshlrev_b32_e32 v11, 16, v11
.LBB205_62:                             ;   in Loop: Header=BB205_53 Depth=1
	s_wait_alu 0xfffe
	s_or_b32 exec_lo, exec_lo, s2
	v_add_co_u32 v88, vcc_lo, 0xffffff83, v84
	s_wait_alu 0xfffd
	v_add_co_ci_u32_e64 v89, null, -1, v85, vcc_lo
	s_mov_b32 s2, exec_lo
	v_cmpx_gt_i64_e64 s[4:5], v[88:89]
	s_cbranch_execz .LBB205_64
; %bb.63:                               ;   in Loop: Header=BB205_53 Depth=1
	v_add_co_u32 v88, vcc_lo, v75, v18
	s_wait_alu 0xfffd
	v_add_co_ci_u32_e64 v89, null, v76, v19, vcc_lo
	v_add_co_u32 v90, vcc_lo, v77, v18
	s_wait_alu 0xfffd
	v_add_co_ci_u32_e64 v91, null, v78, v19, vcc_lo
	global_load_u16 v4, v[88:89], off
	global_load_u16 v12, v[90:91], off
	s_wait_loadcnt 0x1
	v_lshlrev_b32_e32 v4, 16, v4
	s_wait_loadcnt 0x0
	v_lshlrev_b32_e32 v12, 16, v12
.LBB205_64:                             ;   in Loop: Header=BB205_53 Depth=1
	s_wait_alu 0xfffe
	s_or_b32 exec_lo, exec_lo, s2
	v_add_co_u32 v88, vcc_lo, 0xffffff84, v84
	s_wait_alu 0xfffd
	v_add_co_ci_u32_e64 v89, null, -1, v85, vcc_lo
	s_mov_b32 s2, exec_lo
	v_cmpx_gt_i64_e64 s[4:5], v[88:89]
	s_cbranch_execz .LBB205_66
; %bb.65:                               ;   in Loop: Header=BB205_53 Depth=1
	v_add_co_u32 v88, vcc_lo, v71, v18
	s_wait_alu 0xfffd
	v_add_co_ci_u32_e64 v89, null, v72, v19, vcc_lo
	v_add_co_u32 v90, vcc_lo, v73, v18
	s_wait_alu 0xfffd
	v_add_co_ci_u32_e64 v91, null, v74, v19, vcc_lo
	global_load_u16 v5, v[88:89], off
	global_load_u16 v13, v[90:91], off
	s_wait_loadcnt 0x1
	v_lshlrev_b32_e32 v5, 16, v5
	s_wait_loadcnt 0x0
	v_lshlrev_b32_e32 v13, 16, v13
.LBB205_66:                             ;   in Loop: Header=BB205_53 Depth=1
	s_wait_alu 0xfffe
	s_or_b32 exec_lo, exec_lo, s2
	v_add_co_u32 v88, vcc_lo, 0xffffff85, v84
	s_wait_alu 0xfffd
	v_add_co_ci_u32_e64 v89, null, -1, v85, vcc_lo
	s_mov_b32 s2, exec_lo
	v_cmpx_gt_i64_e64 s[4:5], v[88:89]
	s_cbranch_execz .LBB205_68
; %bb.67:                               ;   in Loop: Header=BB205_53 Depth=1
	v_add_co_u32 v88, vcc_lo, v67, v18
	s_wait_alu 0xfffd
	v_add_co_ci_u32_e64 v89, null, v68, v19, vcc_lo
	v_add_co_u32 v90, vcc_lo, v69, v18
	s_wait_alu 0xfffd
	v_add_co_ci_u32_e64 v91, null, v70, v19, vcc_lo
	global_load_u16 v6, v[88:89], off
	global_load_u16 v14, v[90:91], off
	s_wait_loadcnt 0x1
	v_lshlrev_b32_e32 v6, 16, v6
	s_wait_loadcnt 0x0
	v_lshlrev_b32_e32 v14, 16, v14
.LBB205_68:                             ;   in Loop: Header=BB205_53 Depth=1
	s_wait_alu 0xfffe
	s_or_b32 exec_lo, exec_lo, s2
	v_add_co_u32 v88, vcc_lo, 0xffffff86, v84
	s_wait_alu 0xfffd
	v_add_co_ci_u32_e64 v89, null, -1, v85, vcc_lo
	s_mov_b32 s2, exec_lo
	v_cmpx_gt_i64_e64 s[4:5], v[88:89]
	s_cbranch_execz .LBB205_70
; %bb.69:                               ;   in Loop: Header=BB205_53 Depth=1
	v_add_co_u32 v88, vcc_lo, v63, v18
	s_wait_alu 0xfffd
	v_add_co_ci_u32_e64 v89, null, v64, v19, vcc_lo
	v_add_co_u32 v90, vcc_lo, v65, v18
	s_wait_alu 0xfffd
	v_add_co_ci_u32_e64 v91, null, v66, v19, vcc_lo
	global_load_u16 v7, v[88:89], off
	global_load_u16 v15, v[90:91], off
	s_wait_loadcnt 0x1
	v_lshlrev_b32_e32 v7, 16, v7
	s_wait_loadcnt 0x0
	v_lshlrev_b32_e32 v15, 16, v15
.LBB205_70:                             ;   in Loop: Header=BB205_53 Depth=1
	s_wait_alu 0xfffe
	s_or_b32 exec_lo, exec_lo, s2
	v_add_co_u32 v88, vcc_lo, 0xffffff87, v84
	s_wait_alu 0xfffd
	v_add_co_ci_u32_e64 v89, null, -1, v85, vcc_lo
	s_mov_b32 s2, exec_lo
	v_cmpx_gt_i64_e64 s[4:5], v[88:89]
	s_cbranch_execz .LBB205_72
; %bb.71:                               ;   in Loop: Header=BB205_53 Depth=1
	v_add_co_u32 v88, vcc_lo, v59, v18
	s_wait_alu 0xfffd
	v_add_co_ci_u32_e64 v89, null, v60, v19, vcc_lo
	v_add_co_u32 v90, vcc_lo, v61, v18
	s_wait_alu 0xfffd
	v_add_co_ci_u32_e64 v91, null, v62, v19, vcc_lo
	global_load_u16 v8, v[88:89], off
	global_load_u16 v16, v[90:91], off
	s_wait_loadcnt 0x1
	v_lshlrev_b32_e32 v8, 16, v8
	s_wait_loadcnt 0x0
	v_lshlrev_b32_e32 v16, 16, v16
.LBB205_72:                             ;   in Loop: Header=BB205_53 Depth=1
	s_wait_alu 0xfffe
	s_or_b32 exec_lo, exec_lo, s2
	v_add_co_u32 v88, vcc_lo, 0xffffff88, v84
	s_wait_alu 0xfffd
	v_add_co_ci_u32_e64 v89, null, -1, v85, vcc_lo
	s_mov_b32 s2, exec_lo
	v_cmpx_gt_i64_e64 s[4:5], v[88:89]
	s_cbranch_execz .LBB205_74
; %bb.73:                               ;   in Loop: Header=BB205_53 Depth=1
	v_add_co_u32 v88, vcc_lo, v55, v18
	s_wait_alu 0xfffd
	v_add_co_ci_u32_e64 v89, null, v56, v19, vcc_lo
	v_add_co_u32 v90, vcc_lo, v57, v18
	s_wait_alu 0xfffd
	v_add_co_ci_u32_e64 v91, null, v58, v19, vcc_lo
	global_load_u16 v9, v[88:89], off
	global_load_u16 v17, v[90:91], off
	s_wait_loadcnt 0x1
	v_lshlrev_b32_e32 v9, 16, v9
	s_wait_loadcnt 0x0
	v_lshlrev_b32_e32 v17, 16, v17
.LBB205_74:                             ;   in Loop: Header=BB205_53 Depth=1
	s_wait_alu 0xfffe
	s_or_b32 exec_lo, exec_lo, s2
	s_wait_loadcnt 0x0
	ds_bpermute_b32 v86, v1, v87
	ds_bpermute_b32 v88, v1, v87 offset:4
	ds_bpermute_b32 v89, v1, v87 offset:8
	v_dual_mul_f32 v2, v10, v2 :: v_dual_mul_f32 v3, v11, v3
	ds_bpermute_b32 v10, v1, v87 offset:12
	ds_bpermute_b32 v11, v1, v87 offset:16
	s_mov_b32 s2, 0
	s_wait_dscnt 0x4
	v_fma_f32 v86, v2, v86, v83
	v_mul_f32_e32 v2, v12, v4
	ds_bpermute_b32 v4, v1, v87 offset:20
	s_wait_dscnt 0x4
	v_dual_fmac_f32 v86, v3, v88 :: v_dual_mul_f32 v3, v13, v5
	ds_bpermute_b32 v5, v1, v87 offset:24
	s_wait_dscnt 0x4
	v_fmac_f32_e32 v86, v2, v89
	v_mul_f32_e32 v2, v14, v6
	v_mul_f32_e32 v6, v15, v7
	s_wait_dscnt 0x3
	s_delay_alu instid0(VALU_DEP_3)
	v_fmac_f32_e32 v86, v3, v10
	ds_bpermute_b32 v3, v1, v87 offset:28
	s_wait_dscnt 0x3
	v_fmac_f32_e32 v86, v2, v11
	v_mul_f32_e32 v2, v16, v8
	s_wait_dscnt 0x2
	s_delay_alu instid0(VALU_DEP_2) | instskip(SKIP_1) | instid1(VALU_DEP_1)
	v_fmac_f32_e32 v86, v6, v4
	s_wait_dscnt 0x1
	v_fmac_f32_e32 v86, v2, v5
	v_mul_f32_e32 v2, v17, v9
	s_wait_dscnt 0x0
	s_delay_alu instid0(VALU_DEP_1)
	v_fmac_f32_e32 v86, v2, v3
.LBB205_75:                             ;   in Loop: Header=BB205_53 Depth=1
	s_wait_alu 0xfffe
	s_and_b32 vcc_lo, exec_lo, s2
	s_wait_alu 0xfffe
	s_cbranch_vccz .LBB205_81
; %bb.76:                               ;   in Loop: Header=BB205_53 Depth=1
	s_load_b32 s2, s[8:9], 0x0
	v_mov_b32_e32 v4, 0
	s_wait_kmcnt 0x0
	s_cmp_lt_u32 ttmp9, s2
	s_cselect_b32 s2, 12, 18
	s_wait_alu 0xfffe
	s_add_nc_u64 s[20:21], s[8:9], s[2:3]
	s_load_u16 s2, s[20:21], 0x0
	s_wait_kmcnt 0x0
	v_mad_u32_u24 v2, v48, s2, v50
	s_mov_b32 s2, exec_lo
	s_delay_alu instid0(VALU_DEP_1) | instskip(NEXT) | instid1(VALU_DEP_1)
	v_and_b32_e32 v2, 31, v2
	v_cmpx_gt_u32_e32 8, v2
	s_cbranch_execz .LBB205_80
; %bb.77:                               ;   in Loop: Header=BB205_53 Depth=1
	v_add_co_u32 v2, vcc_lo, v84, v2
	s_wait_alu 0xfffd
	v_add_co_ci_u32_e64 v3, null, 0, v85, vcc_lo
	v_mov_b32_e32 v4, 0
	s_delay_alu instid0(VALU_DEP_3) | instskip(SKIP_1) | instid1(VALU_DEP_3)
	v_add_co_u32 v2, vcc_lo, 0xffffff81, v2
	s_wait_alu 0xfffd
	v_add_co_ci_u32_e64 v3, null, -1, v3, vcc_lo
	s_mov_b32 s20, exec_lo
	v_cmpx_gt_i64_e64 s[4:5], v[2:3]
	s_cbranch_execz .LBB205_79
; %bb.78:                               ;   in Loop: Header=BB205_53 Depth=1
	v_lshlrev_b64_e32 v[2:3], 2, v[2:3]
	s_delay_alu instid0(VALU_DEP_1) | instskip(SKIP_1) | instid1(VALU_DEP_2)
	v_add_co_u32 v2, vcc_lo, s12, v2
	s_wait_alu 0xfffd
	v_add_co_ci_u32_e64 v3, null, s13, v3, vcc_lo
	global_load_b32 v4, v[2:3], off
.LBB205_79:                             ;   in Loop: Header=BB205_53 Depth=1
	s_wait_alu 0xfffe
	s_or_b32 exec_lo, exec_lo, s20
.LBB205_80:                             ;   in Loop: Header=BB205_53 Depth=1
	s_wait_alu 0xfffe
	s_or_b32 exec_lo, exec_lo, s2
	v_add_co_u32 v2, vcc_lo, v51, v18
	s_wait_alu 0xfffd
	v_add_co_ci_u32_e64 v3, null, v52, v19, vcc_lo
	v_add_co_u32 v5, vcc_lo, v53, v18
	s_wait_alu 0xfffd
	v_add_co_ci_u32_e64 v6, null, v54, v19, vcc_lo
	;; [unrolled: 3-line block ×4, first 2 shown]
	global_load_u16 v13, v[2:3], off
	global_load_u16 v14, v[5:6], off
	;; [unrolled: 1-line block ×4, first 2 shown]
	v_add_co_u32 v2, vcc_lo, v22, v18
	s_wait_alu 0xfffd
	v_add_co_ci_u32_e64 v3, null, v23, v19, vcc_lo
	v_add_co_u32 v5, vcc_lo, v36, v18
	s_wait_alu 0xfffd
	v_add_co_ci_u32_e64 v6, null, v37, v19, vcc_lo
	global_load_u16 v17, v[2:3], off
	v_add_co_u32 v2, vcc_lo, v24, v18
	s_wait_alu 0xfffd
	v_add_co_ci_u32_e64 v3, null, v25, v19, vcc_lo
	v_add_co_u32 v7, vcc_lo, v38, v18
	s_wait_alu 0xfffd
	v_add_co_ci_u32_e64 v8, null, v39, v19, vcc_lo
	;; [unrolled: 3-line block ×4, first 2 shown]
	global_load_u16 v84, v[5:6], off
	global_load_u16 v85, v[2:3], off
	;; [unrolled: 1-line block ×5, first 2 shown]
	v_add_co_u32 v2, vcc_lo, v28, v18
	s_wait_alu 0xfffd
	v_add_co_ci_u32_e64 v3, null, v29, v19, vcc_lo
	v_add_co_u32 v5, vcc_lo, v42, v18
	s_wait_alu 0xfffd
	v_add_co_ci_u32_e64 v6, null, v43, v19, vcc_lo
	;; [unrolled: 3-line block ×4, first 2 shown]
	global_load_u16 v12, v[2:3], off
	global_load_u16 v88, v[5:6], off
	;; [unrolled: 1-line block ×4, first 2 shown]
	v_add_co_u32 v2, vcc_lo, v46, v18
	s_wait_alu 0xfffd
	v_add_co_ci_u32_e64 v3, null, v47, v19, vcc_lo
	v_add_co_u32 v5, vcc_lo, v32, v18
	s_wait_alu 0xfffd
	v_add_co_ci_u32_e64 v6, null, v33, v19, vcc_lo
	global_load_u16 v2, v[2:3], off
	global_load_u16 v3, v[5:6], off
	s_wait_loadcnt 0x10
	ds_bpermute_b32 v5, v1, v4
	ds_bpermute_b32 v6, v1, v4 offset:4
	ds_bpermute_b32 v9, v1, v4 offset:8
	s_wait_loadcnt 0xd
	v_lshlrev_b32_e32 v15, 16, v15
	s_wait_loadcnt 0xc
	v_lshlrev_b32_e32 v16, 16, v16
	v_lshlrev_b32_e32 v10, 16, v14
	ds_bpermute_b32 v14, v1, v4 offset:12
	v_mul_f32_e32 v15, v15, v16
	s_wait_loadcnt 0x6
	v_lshlrev_b32_e32 v11, 16, v11
	v_lshlrev_b32_e32 v16, 16, v85
	;; [unrolled: 1-line block ×3, first 2 shown]
	s_delay_alu instid0(VALU_DEP_1)
	v_mul_f32_e32 v10, v13, v10
	ds_bpermute_b32 v13, v1, v4 offset:16
	s_wait_dscnt 0x4
	v_dual_fmac_f32 v83, v10, v5 :: v_dual_lshlrev_b32 v84, 16, v84
	ds_bpermute_b32 v5, v1, v4 offset:20
	s_wait_loadcnt 0x5
	v_lshlrev_b32_e32 v12, 16, v12
	s_wait_loadcnt 0x3
	v_lshlrev_b32_e32 v7, 16, v7
	s_wait_dscnt 0x4
	v_fmac_f32_e32 v83, v15, v6
	v_lshlrev_b32_e32 v15, 16, v87
	ds_bpermute_b32 v6, v1, v4 offset:24
	ds_bpermute_b32 v4, v1, v4 offset:28
	s_wait_loadcnt 0x2
	v_dual_mul_f32 v11, v15, v11 :: v_dual_lshlrev_b32 v8, 16, v8
	s_wait_loadcnt 0x1
	s_delay_alu instid0(VALU_DEP_1) | instskip(SKIP_2) | instid1(VALU_DEP_1)
	v_dual_mul_f32 v7, v7, v8 :: v_dual_lshlrev_b32 v2, 16, v2
	s_wait_loadcnt 0x0
	v_lshlrev_b32_e32 v3, 16, v3
	v_dual_mul_f32 v2, v3, v2 :: v_dual_lshlrev_b32 v17, 16, v17
	s_delay_alu instid0(VALU_DEP_1) | instskip(SKIP_1) | instid1(VALU_DEP_1)
	v_dual_mul_f32 v17, v17, v84 :: v_dual_lshlrev_b32 v10, 16, v86
	s_wait_dscnt 0x5
	v_dual_mul_f32 v10, v16, v10 :: v_dual_fmac_f32 v83, v17, v9
	v_lshlrev_b32_e32 v9, 16, v88
	s_wait_dscnt 0x4
	s_delay_alu instid0(VALU_DEP_2) | instskip(NEXT) | instid1(VALU_DEP_2)
	v_fmac_f32_e32 v83, v10, v14
	v_mul_f32_e32 v9, v12, v9
	s_wait_dscnt 0x3
	s_delay_alu instid0(VALU_DEP_2) | instskip(SKIP_1) | instid1(VALU_DEP_1)
	v_fmac_f32_e32 v83, v11, v13
	s_wait_dscnt 0x2
	v_fmac_f32_e32 v83, v9, v5
	s_wait_dscnt 0x1
	s_delay_alu instid0(VALU_DEP_1) | instskip(SKIP_1) | instid1(VALU_DEP_1)
	v_fmac_f32_e32 v83, v7, v6
	s_wait_dscnt 0x0
	v_fmac_f32_e32 v83, v2, v4
	s_delay_alu instid0(VALU_DEP_1)
	v_mov_b32_e32 v86, v83
.LBB205_81:                             ;   in Loop: Header=BB205_53 Depth=1
	v_add_co_u32 v51, vcc_lo, v51, s10
	s_wait_alu 0xfffd
	v_add_co_ci_u32_e64 v52, null, s11, v52, vcc_lo
	v_add_co_u32 v53, vcc_lo, v53, s10
	s_wait_alu 0xfffd
	v_add_co_ci_u32_e64 v54, null, s11, v54, vcc_lo
	;; [unrolled: 3-line block ×27, first 2 shown]
	v_add_co_u32 v77, vcc_lo, v77, s10
	s_add_nc_u64 s[14:15], s[14:15], s[16:17]
	s_wait_alu 0xfffd
	v_add_co_ci_u32_e64 v78, null, s11, v78, vcc_lo
	v_add_co_u32 v79, vcc_lo, v79, s10
	s_wait_alu 0xfffe
	v_cmp_ge_i64_e64 s2, s[14:15], s[4:5]
	s_wait_alu 0xfffd
	v_add_co_ci_u32_e64 v80, null, s11, v80, vcc_lo
	v_add_co_u32 v81, vcc_lo, v81, s10
	s_wait_alu 0xfffd
	v_add_co_ci_u32_e64 v82, null, s11, v82, vcc_lo
	s_and_b32 vcc_lo, exec_lo, s2
	s_add_nc_u64 s[18:19], s[18:19], s[16:17]
	s_wait_alu 0xfffe
	s_cbranch_vccnz .LBB205_83
; %bb.82:                               ;   in Loop: Header=BB205_53 Depth=1
	v_mov_b32_e32 v83, v86
	s_branch .LBB205_53
.LBB205_83:
	v_and_b32_e32 v4, 0x3ff, v0
	v_bfe_u32 v1, v0, 10, 10
	v_bfe_u32 v0, v0, 5, 5
	s_mov_b32 s2, exec_lo
	s_delay_alu instid0(VALU_DEP_2) | instskip(NEXT) | instid1(VALU_DEP_2)
	v_mad_u32_u24 v3, v1, 33, v4
	v_dual_mov_b32 v1, 0 :: v_dual_add_nc_u32 v2, v0, v1
	s_delay_alu instid0(VALU_DEP_2)
	v_lshl_add_u32 v0, v3, 2, 0
	ds_store_b32 v0, v86
	ds_store_b32 v0, v1 offset:2112
	s_wait_dscnt 0x0
	s_barrier_signal -1
	s_barrier_wait -1
	global_inv scope:SCOPE_SE
	v_cmpx_gt_u32_e32 32, v2
	s_cbranch_execz .LBB205_93
; %bb.84:
	s_load_b64 s[2:3], s[0:1], 0x30
	v_and_b32_e32 v0, 31, v4
	s_delay_alu instid0(VALU_DEP_1)
	v_cmp_gt_u32_e32 vcc_lo, 16, v0
	v_mul_u32_u24_e32 v3, 33, v0
                                        ; implicit-def: $vgpr0
	s_and_saveexec_b32 s0, vcc_lo
	s_cbranch_execz .LBB205_86
; %bb.85:
	v_lshlrev_b32_e32 v0, 2, v2
	s_delay_alu instid0(VALU_DEP_2) | instskip(NEXT) | instid1(VALU_DEP_1)
	v_lshlrev_b32_e32 v1, 2, v3
	v_add3_u32 v0, 0, v0, v1
	ds_load_b32 v0, v0
.LBB205_86:
	s_or_b32 exec_lo, exec_lo, s0
	v_mbcnt_lo_u32_b32 v1, -1, 0
	s_mov_b32 s4, ttmp9
	s_mov_b32 s5, 0
	s_wait_alu 0xfffe
	s_lshl_b64 s[4:5], s[4:5], 5
	v_xor_b32_e32 v5, 8, v1
	v_xor_b32_e32 v6, 4, v1
	;; [unrolled: 1-line block ×3, first 2 shown]
	s_wait_kmcnt 0x0
	s_cmp_eq_u64 s[2:3], 0
	s_cselect_b32 s8, -1, 0
	v_cmp_gt_i32_e64 s0, 32, v5
	s_delay_alu instid0(VALU_DEP_1) | instskip(SKIP_1) | instid1(VALU_DEP_2)
	v_cndmask_b32_e64 v5, v1, v5, s0
	v_cmp_gt_i32_e64 s0, 32, v6
	v_lshlrev_b32_e32 v5, 2, v5
	s_wait_alu 0xf1ff
	s_delay_alu instid0(VALU_DEP_2)
	v_cndmask_b32_e64 v6, v1, v6, s0
	s_wait_dscnt 0x0
	ds_bpermute_b32 v7, v5, v0
	v_lshlrev_b32_e32 v6, 2, v6
	s_wait_dscnt 0x0
	v_add_f32_e32 v0, v0, v7
	v_xor_b32_e32 v7, 2, v1
	ds_bpermute_b32 v8, v6, v0
	v_cmp_gt_i32_e64 s0, 32, v7
	s_wait_alu 0xf1ff
	s_delay_alu instid0(VALU_DEP_1) | instskip(SKIP_1) | instid1(VALU_DEP_2)
	v_cndmask_b32_e64 v7, v1, v7, s0
	v_cmp_gt_i32_e64 s0, 32, v9
	v_lshlrev_b32_e32 v7, 2, v7
	s_wait_alu 0xf1ff
	s_delay_alu instid0(VALU_DEP_2)
	v_cndmask_b32_e64 v1, v1, v9, s0
	v_cmp_ne_u32_e64 s0, 0, v4
	s_wait_dscnt 0x0
	v_add_f32_e32 v0, v0, v8
	ds_bpermute_b32 v8, v7, v0
	s_wait_dscnt 0x0
	v_dual_add_f32 v9, v0, v8 :: v_dual_lshlrev_b32 v8, 2, v1
	s_wait_alu 0xfffe
	v_mov_b32_e32 v1, s5
	v_or_b32_e32 v0, s4, v2
	ds_bpermute_b32 v10, v8, v9
	v_cmp_le_i64_e64 s1, s[6:7], v[0:1]
	s_or_b32 s1, s0, s1
	s_wait_alu 0xfffe
	s_nor_b32 s1, s8, s1
	s_wait_dscnt 0x0
	v_add_f32_e32 v4, v9, v10
	s_wait_alu 0xfffe
	s_and_saveexec_b32 s9, s1
	s_cbranch_execz .LBB205_88
; %bb.87:
	s_delay_alu instid0(VALU_DEP_1) | instskip(SKIP_2) | instid1(VALU_DEP_3)
	v_bfe_u32 v9, v4, 16, 1
	v_lshlrev_b64_e32 v[0:1], 1, v[0:1]
	v_cmp_o_f32_e64 s1, v4, v4
	v_add3_u32 v9, v4, v9, 0x7fff
	s_delay_alu instid0(VALU_DEP_1) | instskip(SKIP_1) | instid1(VALU_DEP_1)
	v_lshrrev_b32_e32 v9, 16, v9
	s_wait_alu 0xf1ff
	v_cndmask_b32_e64 v9, 0x7fc0, v9, s1
	v_add_co_u32 v0, s1, s2, v0
	s_wait_alu 0xf1ff
	v_add_co_ci_u32_e64 v1, null, s3, v1, s1
	global_store_b16 v[0:1], v9, off
.LBB205_88:
	s_wait_alu 0xfffe
	s_or_b32 exec_lo, exec_lo, s9
	v_cmp_gt_u32_e64 s1, 16, v2
	s_and_b32 exec_lo, exec_lo, s1
	s_cbranch_execz .LBB205_93
; %bb.89:
	s_and_saveexec_b32 s1, vcc_lo
	s_cbranch_execz .LBB205_91
; %bb.90:
	v_lshlrev_b32_e32 v0, 2, v2
	v_lshlrev_b32_e32 v1, 2, v3
	s_delay_alu instid0(VALU_DEP_1)
	v_add3_u32 v0, 0, v0, v1
	ds_load_b32 v4, v0 offset:64
.LBB205_91:
	s_wait_alu 0xfffe
	s_or_b32 exec_lo, exec_lo, s1
	s_wait_dscnt 0x0
	ds_bpermute_b32 v0, v5, v4
	v_add_nc_u32_e32 v3, 16, v2
	s_delay_alu instid0(VALU_DEP_1)
	v_or_b32_e32 v3, s4, v3
	s_wait_dscnt 0x0
	v_add_f32_e32 v0, v4, v0
	v_mov_b32_e32 v4, s5
	ds_bpermute_b32 v1, v6, v0
	v_cmp_le_i64_e32 vcc_lo, s[6:7], v[3:4]
	s_or_b32 s0, s0, vcc_lo
	s_wait_alu 0xfffe
	s_nor_b32 s0, s8, s0
	s_wait_dscnt 0x0
	v_add_f32_e32 v0, v0, v1
	ds_bpermute_b32 v1, v7, v0
	s_wait_dscnt 0x0
	v_add_f32_e32 v0, v0, v1
	ds_bpermute_b32 v1, v8, v0
	s_wait_alu 0xfffe
	s_and_saveexec_b32 s1, s0
	s_wait_alu 0xfffe
	s_xor_b32 s1, exec_lo, s1
	s_cbranch_execz .LBB205_93
; %bb.92:
	s_wait_dscnt 0x0
	v_add_f32_e32 v3, v0, v1
	s_delay_alu instid0(VALU_DEP_1) | instskip(SKIP_1) | instid1(VALU_DEP_2)
	v_bfe_u32 v0, v3, 16, 1
	v_cmp_o_f32_e32 vcc_lo, v3, v3
	v_add3_u32 v4, v3, v0, 0x7fff
	v_add_co_u32 v0, s0, s4, v2
	s_wait_alu 0xf1ff
	v_add_co_ci_u32_e64 v1, null, s5, 0, s0
	s_delay_alu instid0(VALU_DEP_3) | instskip(NEXT) | instid1(VALU_DEP_2)
	v_lshrrev_b32_e32 v2, 16, v4
	v_lshlrev_b64_e32 v[0:1], 1, v[0:1]
	s_wait_alu 0xfffd
	s_delay_alu instid0(VALU_DEP_2) | instskip(NEXT) | instid1(VALU_DEP_2)
	v_cndmask_b32_e32 v2, 0x7fc0, v2, vcc_lo
	v_add_co_u32 v0, vcc_lo, s2, v0
	s_wait_alu 0xfffd
	s_delay_alu instid0(VALU_DEP_3)
	v_add_co_ci_u32_e64 v1, null, s3, v1, vcc_lo
	global_store_b16 v[0:1], v2, off offset:32
.LBB205_93:
	s_endpgm
	.section	.rodata,"a",@progbits
	.p2align	6, 0x0
	.amdhsa_kernel _ZN2at6native12_GLOBAL__N_135GammaBetaBackwardCUDAKernelTemplateIN3c108BFloat16EfLj32ELj16ELj128ELb0ELb0ELb1EEEvllPKT_S7_PKT0_SA_PS5_SB_
		.amdhsa_group_segment_fixed_size 0
		.amdhsa_private_segment_fixed_size 0
		.amdhsa_kernarg_size 320
		.amdhsa_user_sgpr_count 2
		.amdhsa_user_sgpr_dispatch_ptr 0
		.amdhsa_user_sgpr_queue_ptr 0
		.amdhsa_user_sgpr_kernarg_segment_ptr 1
		.amdhsa_user_sgpr_dispatch_id 0
		.amdhsa_user_sgpr_private_segment_size 0
		.amdhsa_wavefront_size32 1
		.amdhsa_uses_dynamic_stack 0
		.amdhsa_enable_private_segment 0
		.amdhsa_system_sgpr_workgroup_id_x 1
		.amdhsa_system_sgpr_workgroup_id_y 1
		.amdhsa_system_sgpr_workgroup_id_z 0
		.amdhsa_system_sgpr_workgroup_info 0
		.amdhsa_system_vgpr_workitem_id 1
		.amdhsa_next_free_vgpr 92
		.amdhsa_next_free_sgpr 32
		.amdhsa_reserve_vcc 1
		.amdhsa_float_round_mode_32 0
		.amdhsa_float_round_mode_16_64 0
		.amdhsa_float_denorm_mode_32 3
		.amdhsa_float_denorm_mode_16_64 3
		.amdhsa_fp16_overflow 0
		.amdhsa_workgroup_processor_mode 1
		.amdhsa_memory_ordered 1
		.amdhsa_forward_progress 1
		.amdhsa_inst_pref_size 77
		.amdhsa_round_robin_scheduling 0
		.amdhsa_exception_fp_ieee_invalid_op 0
		.amdhsa_exception_fp_denorm_src 0
		.amdhsa_exception_fp_ieee_div_zero 0
		.amdhsa_exception_fp_ieee_overflow 0
		.amdhsa_exception_fp_ieee_underflow 0
		.amdhsa_exception_fp_ieee_inexact 0
		.amdhsa_exception_int_div_zero 0
	.end_amdhsa_kernel
	.section	.text._ZN2at6native12_GLOBAL__N_135GammaBetaBackwardCUDAKernelTemplateIN3c108BFloat16EfLj32ELj16ELj128ELb0ELb0ELb1EEEvllPKT_S7_PKT0_SA_PS5_SB_,"axG",@progbits,_ZN2at6native12_GLOBAL__N_135GammaBetaBackwardCUDAKernelTemplateIN3c108BFloat16EfLj32ELj16ELj128ELb0ELb0ELb1EEEvllPKT_S7_PKT0_SA_PS5_SB_,comdat
.Lfunc_end205:
	.size	_ZN2at6native12_GLOBAL__N_135GammaBetaBackwardCUDAKernelTemplateIN3c108BFloat16EfLj32ELj16ELj128ELb0ELb0ELb1EEEvllPKT_S7_PKT0_SA_PS5_SB_, .Lfunc_end205-_ZN2at6native12_GLOBAL__N_135GammaBetaBackwardCUDAKernelTemplateIN3c108BFloat16EfLj32ELj16ELj128ELb0ELb0ELb1EEEvllPKT_S7_PKT0_SA_PS5_SB_
                                        ; -- End function
	.set _ZN2at6native12_GLOBAL__N_135GammaBetaBackwardCUDAKernelTemplateIN3c108BFloat16EfLj32ELj16ELj128ELb0ELb0ELb1EEEvllPKT_S7_PKT0_SA_PS5_SB_.num_vgpr, 92
	.set _ZN2at6native12_GLOBAL__N_135GammaBetaBackwardCUDAKernelTemplateIN3c108BFloat16EfLj32ELj16ELj128ELb0ELb0ELb1EEEvllPKT_S7_PKT0_SA_PS5_SB_.num_agpr, 0
	.set _ZN2at6native12_GLOBAL__N_135GammaBetaBackwardCUDAKernelTemplateIN3c108BFloat16EfLj32ELj16ELj128ELb0ELb0ELb1EEEvllPKT_S7_PKT0_SA_PS5_SB_.numbered_sgpr, 32
	.set _ZN2at6native12_GLOBAL__N_135GammaBetaBackwardCUDAKernelTemplateIN3c108BFloat16EfLj32ELj16ELj128ELb0ELb0ELb1EEEvllPKT_S7_PKT0_SA_PS5_SB_.num_named_barrier, 0
	.set _ZN2at6native12_GLOBAL__N_135GammaBetaBackwardCUDAKernelTemplateIN3c108BFloat16EfLj32ELj16ELj128ELb0ELb0ELb1EEEvllPKT_S7_PKT0_SA_PS5_SB_.private_seg_size, 0
	.set _ZN2at6native12_GLOBAL__N_135GammaBetaBackwardCUDAKernelTemplateIN3c108BFloat16EfLj32ELj16ELj128ELb0ELb0ELb1EEEvllPKT_S7_PKT0_SA_PS5_SB_.uses_vcc, 1
	.set _ZN2at6native12_GLOBAL__N_135GammaBetaBackwardCUDAKernelTemplateIN3c108BFloat16EfLj32ELj16ELj128ELb0ELb0ELb1EEEvllPKT_S7_PKT0_SA_PS5_SB_.uses_flat_scratch, 0
	.set _ZN2at6native12_GLOBAL__N_135GammaBetaBackwardCUDAKernelTemplateIN3c108BFloat16EfLj32ELj16ELj128ELb0ELb0ELb1EEEvllPKT_S7_PKT0_SA_PS5_SB_.has_dyn_sized_stack, 0
	.set _ZN2at6native12_GLOBAL__N_135GammaBetaBackwardCUDAKernelTemplateIN3c108BFloat16EfLj32ELj16ELj128ELb0ELb0ELb1EEEvllPKT_S7_PKT0_SA_PS5_SB_.has_recursion, 0
	.set _ZN2at6native12_GLOBAL__N_135GammaBetaBackwardCUDAKernelTemplateIN3c108BFloat16EfLj32ELj16ELj128ELb0ELb0ELb1EEEvllPKT_S7_PKT0_SA_PS5_SB_.has_indirect_call, 0
	.section	.AMDGPU.csdata,"",@progbits
; Kernel info:
; codeLenInByte = 9848
; TotalNumSgprs: 34
; NumVgprs: 92
; ScratchSize: 0
; MemoryBound: 0
; FloatMode: 240
; IeeeMode: 1
; LDSByteSize: 0 bytes/workgroup (compile time only)
; SGPRBlocks: 0
; VGPRBlocks: 11
; NumSGPRsForWavesPerEU: 34
; NumVGPRsForWavesPerEU: 92
; Occupancy: 16
; WaveLimiterHint : 0
; COMPUTE_PGM_RSRC2:SCRATCH_EN: 0
; COMPUTE_PGM_RSRC2:USER_SGPR: 2
; COMPUTE_PGM_RSRC2:TRAP_HANDLER: 0
; COMPUTE_PGM_RSRC2:TGID_X_EN: 1
; COMPUTE_PGM_RSRC2:TGID_Y_EN: 1
; COMPUTE_PGM_RSRC2:TGID_Z_EN: 0
; COMPUTE_PGM_RSRC2:TIDIG_COMP_CNT: 1
	.section	.text._ZN2at6native12_GLOBAL__N_135GammaBetaBackwardCUDAKernelTemplateIN3c108BFloat16EfLj32ELj32ELj256ELb0ELb1ELb1EEEvllPKT_S7_PKT0_SA_PS5_SB_,"axG",@progbits,_ZN2at6native12_GLOBAL__N_135GammaBetaBackwardCUDAKernelTemplateIN3c108BFloat16EfLj32ELj32ELj256ELb0ELb1ELb1EEEvllPKT_S7_PKT0_SA_PS5_SB_,comdat
	.globl	_ZN2at6native12_GLOBAL__N_135GammaBetaBackwardCUDAKernelTemplateIN3c108BFloat16EfLj32ELj32ELj256ELb0ELb1ELb1EEEvllPKT_S7_PKT0_SA_PS5_SB_ ; -- Begin function _ZN2at6native12_GLOBAL__N_135GammaBetaBackwardCUDAKernelTemplateIN3c108BFloat16EfLj32ELj32ELj256ELb0ELb1ELb1EEEvllPKT_S7_PKT0_SA_PS5_SB_
	.p2align	8
	.type	_ZN2at6native12_GLOBAL__N_135GammaBetaBackwardCUDAKernelTemplateIN3c108BFloat16EfLj32ELj32ELj256ELb0ELb1ELb1EEEvllPKT_S7_PKT0_SA_PS5_SB_,@function
_ZN2at6native12_GLOBAL__N_135GammaBetaBackwardCUDAKernelTemplateIN3c108BFloat16EfLj32ELj32ELj256ELb0ELb1ELb1EEEvllPKT_S7_PKT0_SA_PS5_SB_: ; @_ZN2at6native12_GLOBAL__N_135GammaBetaBackwardCUDAKernelTemplateIN3c108BFloat16EfLj32ELj32ELj256ELb0ELb1ELb1EEEvllPKT_S7_PKT0_SA_PS5_SB_
; %bb.0:
	s_load_b128 s[4:7], s[0:1], 0x0
	s_lshl_b32 s12, ttmp7, 8
	s_mov_b32 s13, 0
	v_bfe_u32 v7, v0, 10, 10
	s_wait_kmcnt 0x0
	v_cmp_gt_i64_e64 s2, s[4:5], s[12:13]
	s_and_b32 vcc_lo, exec_lo, s2
	s_cbranch_vccnz .LBB206_2
; %bb.1:
	v_bfe_u32 v1, v0, 10, 10
	s_mov_b32 s2, s13
	v_and_b32_e32 v6, 0x3ff, v0
	v_mov_b32_e32 v12, 0
	s_and_not1_b32 vcc_lo, exec_lo, s2
	s_cbranch_vccz .LBB206_3
	s_branch .LBB206_10
.LBB206_2:
                                        ; implicit-def: $vgpr1
	v_and_b32_e32 v6, 0x3ff, v0
	v_mov_b32_e32 v12, 0
.LBB206_3:
	s_load_b32 s2, s[0:1], 0x4c
	v_dual_mov_b32 v1, 0 :: v_dual_lshlrev_b32 v0, 3, v7
	s_clause 0x2
	s_load_b32 s3, s[0:1], 0x44
	s_load_b128 s[8:11], s[0:1], 0x10
	s_load_b64 s[16:17], s[0:1], 0x28
	s_mov_b32 s15, 0
	v_dual_mov_b32 v8, 4 :: v_dual_mov_b32 v9, 8
	v_add_co_u32 v2, s14, v0, s12
	s_delay_alu instid0(VALU_DEP_1) | instskip(SKIP_1) | instid1(VALU_DEP_3)
	v_add_co_ci_u32_e64 v3, null, 0, 0, s14
	v_lshl_add_u32 v0, ttmp9, 5, v6
	v_mul_lo_u32 v12, s7, v2
	v_mad_co_u64_u32 v[4:5], null, s6, v2, 0
	s_delay_alu instid0(VALU_DEP_4) | instskip(NEXT) | instid1(VALU_DEP_4)
	v_mul_lo_u32 v14, s6, v3
	v_lshlrev_b64_e32 v[15:16], 1, v[0:1]
	v_dual_mov_b32 v10, 12 :: v_dual_mov_b32 v11, 16
	v_mov_b32_e32 v0, 24
	s_wait_kmcnt 0x0
	s_and_b32 s2, s2, 0xffff
	s_lshl_b32 s14, s3, 8
	v_mad_u32_u24 v13, v7, s2, v6
	v_add3_u32 v5, v5, v14, v12
	v_mov_b32_e32 v14, 28
	v_mov_b32_e32 v12, 0
	s_wait_alu 0xfffe
	s_mul_u64 s[18:19], s[6:7], s[14:15]
	v_and_b32_e32 v19, 31, v13
	v_lshlrev_b64_e32 v[4:5], 1, v[4:5]
	v_mov_b32_e32 v13, 20
	s_lshl_b64 s[18:19], s[18:19], 1
	s_lshl_b64 s[6:7], s[6:7], 1
	v_add_co_u32 v2, vcc_lo, v2, v19
	s_delay_alu instid0(VALU_DEP_1) | instskip(SKIP_3) | instid1(VALU_DEP_3)
	v_add_co_ci_u32_e64 v3, null, 0, v3, vcc_lo
	v_add_co_u32 v15, vcc_lo, v4, v15
	s_wait_alu 0xfffd
	v_add_co_ci_u32_e64 v16, null, v5, v16, vcc_lo
	v_lshlrev_b64_e32 v[17:18], 2, v[2:3]
	v_cmp_gt_u32_e64 s2, 8, v19
	s_delay_alu instid0(VALU_DEP_2) | instskip(SKIP_1) | instid1(VALU_DEP_3)
	v_add_co_u32 v4, vcc_lo, s16, v17
	s_wait_alu 0xfffd
	v_add_co_ci_u32_e64 v5, null, s17, v18, vcc_lo
	s_lshl_b64 s[16:17], s[14:15], 2
	s_branch .LBB206_6
.LBB206_4:                              ;   in Loop: Header=BB206_6 Depth=1
	s_or_b32 exec_lo, exec_lo, s20
.LBB206_5:                              ;   in Loop: Header=BB206_6 Depth=1
	s_wait_alu 0xfffe
	s_or_b32 exec_lo, exec_lo, s3
	v_add_co_u32 v18, vcc_lo, s8, v15
	s_wait_alu 0xfffd
	v_add_co_ci_u32_e64 v19, null, s9, v16, vcc_lo
	v_add_co_u32 v20, vcc_lo, s10, v15
	s_wait_alu 0xfffd
	v_add_co_ci_u32_e64 v21, null, s11, v16, vcc_lo
	global_load_u16 v28, v[18:19], off
	global_load_u16 v29, v[20:21], off
	v_add_co_u32 v18, vcc_lo, v18, s6
	s_wait_alu 0xfffd
	v_add_co_ci_u32_e64 v19, null, s7, v19, vcc_lo
	v_add_co_u32 v20, vcc_lo, v20, s6
	s_wait_alu 0xfffd
	v_add_co_ci_u32_e64 v21, null, s7, v21, vcc_lo
	global_load_u16 v30, v[18:19], off
	v_add_co_u32 v18, vcc_lo, v18, s6
	s_wait_alu 0xfffd
	v_add_co_ci_u32_e64 v19, null, s7, v19, vcc_lo
	v_add_co_u32 v22, vcc_lo, v20, s6
	s_wait_alu 0xfffd
	v_add_co_ci_u32_e64 v23, null, s7, v21, vcc_lo
	;; [unrolled: 3-line block ×4, first 2 shown]
	global_load_u16 v31, v[20:21], off
	global_load_u16 v32, v[18:19], off
	;; [unrolled: 1-line block ×5, first 2 shown]
	v_add_co_u32 v18, vcc_lo, v26, s6
	s_wait_alu 0xfffd
	v_add_co_ci_u32_e64 v19, null, s7, v27, vcc_lo
	v_add_co_u32 v20, vcc_lo, v24, s6
	s_wait_alu 0xfffd
	v_add_co_ci_u32_e64 v21, null, s7, v25, vcc_lo
	global_load_u16 v36, v[18:19], off
	v_add_co_u32 v22, vcc_lo, v20, s6
	s_wait_alu 0xfffd
	v_add_co_ci_u32_e64 v23, null, s7, v21, vcc_lo
	v_add_co_u32 v18, vcc_lo, v18, s6
	s_wait_alu 0xfffd
	v_add_co_ci_u32_e64 v19, null, s7, v19, vcc_lo
	;; [unrolled: 3-line block ×4, first 2 shown]
	s_clause 0x1
	global_load_u16 v37, v[20:21], off
	global_load_u16 v22, v[22:23], off
	global_load_u16 v23, v[18:19], off
	global_load_u16 v38, v[24:25], off
	global_load_u16 v39, v[26:27], off
	v_add_co_u32 v18, vcc_lo, v26, s6
	s_wait_alu 0xfffd
	v_add_co_ci_u32_e64 v19, null, s7, v27, vcc_lo
	v_add_co_u32 v20, vcc_lo, v24, s6
	s_wait_alu 0xfffd
	v_add_co_ci_u32_e64 v21, null, s7, v25, vcc_lo
	global_load_u16 v18, v[18:19], off
	global_load_u16 v19, v[20:21], off
	s_wait_loadcnt 0x10
	ds_bpermute_b32 v20, v1, v17
	ds_bpermute_b32 v21, v8, v17
	;; [unrolled: 1-line block ×3, first 2 shown]
	v_add_co_u32 v4, vcc_lo, v4, s16
	s_add_nc_u64 s[12:13], s[12:13], s[14:15]
	s_wait_alu 0xfffd
	v_add_co_ci_u32_e64 v5, null, s17, v5, vcc_lo
	v_add_co_u32 v2, vcc_lo, v2, s14
	s_wait_alu 0xfffe
	v_cmp_lt_i64_e64 s3, s[12:13], s[4:5]
	s_wait_alu 0xfffd
	v_add_co_ci_u32_e64 v3, null, 0, v3, vcc_lo
	v_add_co_u32 v15, vcc_lo, v15, s18
	s_wait_alu 0xfffd
	v_add_co_ci_u32_e64 v16, null, s19, v16, vcc_lo
	s_and_b32 vcc_lo, exec_lo, s3
	s_wait_loadcnt 0xf
	v_lshlrev_b32_e32 v25, 16, v28
	s_wait_loadcnt 0xe
	v_lshlrev_b32_e32 v24, 16, v29
	ds_bpermute_b32 v28, v10, v17
	s_wait_loadcnt 0xd
	v_dual_mul_f32 v24, v25, v24 :: v_dual_lshlrev_b32 v25, 16, v30
	s_wait_loadcnt_dscnt 0xc03
	s_delay_alu instid0(VALU_DEP_1) | instskip(SKIP_3) | instid1(VALU_DEP_2)
	v_dual_fmac_f32 v12, v24, v20 :: v_dual_lshlrev_b32 v27, 16, v31
	s_wait_loadcnt 0xb
	v_lshlrev_b32_e32 v24, 16, v32
	s_wait_loadcnt 0xa
	v_dual_mul_f32 v20, v25, v27 :: v_dual_lshlrev_b32 v29, 16, v33
	ds_bpermute_b32 v25, v11, v17
	s_wait_loadcnt_dscnt 0x803
	v_dual_fmac_f32 v12, v20, v21 :: v_dual_lshlrev_b32 v27, 16, v35
	v_mul_f32_e32 v20, v24, v29
	ds_bpermute_b32 v24, v13, v17
	s_wait_loadcnt_dscnt 0x703
	v_dual_fmac_f32 v12, v20, v26 :: v_dual_lshlrev_b32 v29, 16, v36
	v_lshlrev_b32_e32 v21, 16, v34
	ds_bpermute_b32 v26, v0, v17
	ds_bpermute_b32 v17, v14, v17
	s_wait_loadcnt 0x6
	v_dual_mul_f32 v20, v21, v27 :: v_dual_lshlrev_b32 v21, 16, v37
	s_wait_loadcnt_dscnt 0x404
	s_delay_alu instid0(VALU_DEP_1) | instskip(NEXT) | instid1(VALU_DEP_2)
	v_dual_fmac_f32 v12, v20, v28 :: v_dual_lshlrev_b32 v23, 16, v23
	v_dual_mul_f32 v20, v21, v29 :: v_dual_lshlrev_b32 v21, 16, v22
	s_wait_loadcnt 0x2
	v_lshlrev_b32_e32 v22, 16, v39
	s_wait_dscnt 0x3
	s_delay_alu instid0(VALU_DEP_2) | instskip(SKIP_4) | instid1(VALU_DEP_2)
	v_dual_fmac_f32 v12, v20, v25 :: v_dual_lshlrev_b32 v27, 16, v38
	v_mul_f32_e32 v20, v21, v23
	s_wait_loadcnt 0x1
	v_lshlrev_b32_e32 v18, 16, v18
	s_wait_loadcnt_dscnt 0x2
	v_dual_fmac_f32 v12, v20, v24 :: v_dual_lshlrev_b32 v19, 16, v19
	v_mul_f32_e32 v20, v27, v22
	s_delay_alu instid0(VALU_DEP_2) | instskip(SKIP_1) | instid1(VALU_DEP_2)
	v_mul_f32_e32 v18, v19, v18
	s_wait_dscnt 0x1
	v_fmac_f32_e32 v12, v20, v26
	s_wait_dscnt 0x0
	s_delay_alu instid0(VALU_DEP_1)
	v_fmac_f32_e32 v12, v18, v17
	s_wait_alu 0xfffe
	s_cbranch_vccz .LBB206_9
.LBB206_6:                              ; =>This Inner Loop Header: Depth=1
	v_mov_b32_e32 v17, 0
	s_and_saveexec_b32 s3, s2
	s_cbranch_execz .LBB206_5
; %bb.7:                                ;   in Loop: Header=BB206_6 Depth=1
	v_mov_b32_e32 v17, 0
	s_mov_b32 s20, exec_lo
	v_cmpx_gt_i64_e64 s[4:5], v[2:3]
	s_cbranch_execz .LBB206_4
; %bb.8:                                ;   in Loop: Header=BB206_6 Depth=1
	global_load_b32 v17, v[4:5], off
	s_branch .LBB206_4
.LBB206_9:
	v_mov_b32_e32 v1, v7
.LBB206_10:
	s_load_b64 s[0:1], s[0:1], 0x30
	s_delay_alu instid0(VALU_DEP_1) | instskip(SKIP_3) | instid1(VALU_DEP_3)
	v_mad_u32_u24 v0, v1, 33, v6
	v_lshrrev_b32_e32 v2, 5, v6
	v_mov_b32_e32 v4, 0
	s_mov_b32 s2, exec_lo
	v_lshl_add_u32 v3, v0, 2, 0
	s_delay_alu instid0(VALU_DEP_3)
	v_add_nc_u32_e32 v0, v2, v1
	ds_store_b32 v3, v12
	ds_store_b32 v3, v4 offset:4224
	s_wait_dscnt 0x0
	s_barrier_signal -1
	s_barrier_wait -1
	global_inv scope:SCOPE_SE
	v_cmpx_gt_u32_e32 32, v0
	s_cbranch_execz .LBB206_13
; %bb.11:
	v_and_b32_e32 v1, 31, v6
	v_lshlrev_b32_e32 v2, 2, v0
	s_wait_kmcnt 0x0
	s_cmp_lg_u64 s[0:1], 0
	s_cselect_b32 s2, -1, 0
	v_mul_u32_u24_e32 v1, 0x84, v1
	s_delay_alu instid0(VALU_DEP_1) | instskip(SKIP_4) | instid1(VALU_DEP_2)
	v_add3_u32 v1, 0, v2, v1
	v_mbcnt_lo_u32_b32 v2, -1, 0
	ds_load_b32 v1, v1
	v_xor_b32_e32 v3, 16, v2
	v_xor_b32_e32 v4, 8, v2
	v_cmp_gt_i32_e32 vcc_lo, 32, v3
	s_wait_alu 0xfffd
	v_cndmask_b32_e32 v3, v2, v3, vcc_lo
	s_delay_alu instid0(VALU_DEP_3) | instskip(SKIP_2) | instid1(VALU_DEP_1)
	v_cmp_gt_i32_e32 vcc_lo, 32, v4
	s_wait_alu 0xfffd
	v_cndmask_b32_e32 v4, v2, v4, vcc_lo
	v_lshlrev_b32_e32 v4, 2, v4
	v_lshlrev_b32_e32 v3, 2, v3
	s_wait_dscnt 0x0
	ds_bpermute_b32 v3, v3, v1
	s_wait_dscnt 0x0
	v_add_f32_e32 v1, v1, v3
	ds_bpermute_b32 v3, v4, v1
	v_xor_b32_e32 v4, 4, v2
	s_delay_alu instid0(VALU_DEP_1) | instskip(SKIP_3) | instid1(VALU_DEP_1)
	v_cmp_gt_i32_e32 vcc_lo, 32, v4
	s_wait_alu 0xfffd
	v_cndmask_b32_e32 v4, v2, v4, vcc_lo
	s_wait_dscnt 0x0
	v_dual_add_f32 v1, v1, v3 :: v_dual_lshlrev_b32 v4, 2, v4
	ds_bpermute_b32 v3, v4, v1
	v_xor_b32_e32 v4, 2, v2
	s_delay_alu instid0(VALU_DEP_1) | instskip(SKIP_3) | instid1(VALU_DEP_1)
	v_cmp_gt_i32_e32 vcc_lo, 32, v4
	s_wait_dscnt 0x0
	s_wait_alu 0xfffd
	v_dual_cndmask_b32 v4, v2, v4 :: v_dual_add_f32 v1, v1, v3
	v_lshlrev_b32_e32 v4, 2, v4
	ds_bpermute_b32 v3, v4, v1
	v_xor_b32_e32 v4, 1, v2
	s_delay_alu instid0(VALU_DEP_1) | instskip(SKIP_3) | instid1(VALU_DEP_2)
	v_cmp_gt_i32_e32 vcc_lo, 32, v4
	s_wait_alu 0xfffd
	v_cndmask_b32_e32 v2, v2, v4, vcc_lo
	v_cmp_eq_u32_e32 vcc_lo, 0, v6
	v_lshlrev_b32_e32 v2, 2, v2
	s_wait_alu 0xfffe
	s_and_b32 s2, vcc_lo, s2
	s_wait_dscnt 0x0
	v_add_f32_e32 v1, v1, v3
	ds_bpermute_b32 v2, v2, v1
	s_wait_alu 0xfffe
	s_and_b32 exec_lo, exec_lo, s2
	s_cbranch_execz .LBB206_13
; %bb.12:
	s_wait_dscnt 0x0
	v_add_f32_e32 v2, v1, v2
	s_mov_b32 s2, ttmp9
	s_mov_b32 s3, 0
	s_wait_alu 0xfffe
	s_lshl_b64 s[2:3], s[2:3], 6
	v_bfe_u32 v1, v2, 16, 1
	s_wait_alu 0xfffe
	s_add_nc_u64 s[0:1], s[0:1], s[2:3]
	s_delay_alu instid0(VALU_DEP_1) | instskip(SKIP_2) | instid1(VALU_DEP_3)
	v_add3_u32 v3, v2, v1, 0x7fff
	v_mov_b32_e32 v1, 0
	v_cmp_o_f32_e32 vcc_lo, v2, v2
	v_lshrrev_b32_e32 v3, 16, v3
	s_delay_alu instid0(VALU_DEP_3) | instskip(SKIP_1) | instid1(VALU_DEP_2)
	v_lshlrev_b64_e32 v[0:1], 1, v[0:1]
	s_wait_alu 0xfffd
	v_cndmask_b32_e32 v2, 0x7fc0, v3, vcc_lo
	s_wait_alu 0xfffe
	s_delay_alu instid0(VALU_DEP_2)
	v_add_co_u32 v0, vcc_lo, s0, v0
	s_wait_alu 0xfffd
	v_add_co_ci_u32_e64 v1, null, s1, v1, vcc_lo
	global_store_b16 v[0:1], v2, off
.LBB206_13:
	s_endpgm
	.section	.rodata,"a",@progbits
	.p2align	6, 0x0
	.amdhsa_kernel _ZN2at6native12_GLOBAL__N_135GammaBetaBackwardCUDAKernelTemplateIN3c108BFloat16EfLj32ELj32ELj256ELb0ELb1ELb1EEEvllPKT_S7_PKT0_SA_PS5_SB_
		.amdhsa_group_segment_fixed_size 0
		.amdhsa_private_segment_fixed_size 0
		.amdhsa_kernarg_size 320
		.amdhsa_user_sgpr_count 2
		.amdhsa_user_sgpr_dispatch_ptr 0
		.amdhsa_user_sgpr_queue_ptr 0
		.amdhsa_user_sgpr_kernarg_segment_ptr 1
		.amdhsa_user_sgpr_dispatch_id 0
		.amdhsa_user_sgpr_private_segment_size 0
		.amdhsa_wavefront_size32 1
		.amdhsa_uses_dynamic_stack 0
		.amdhsa_enable_private_segment 0
		.amdhsa_system_sgpr_workgroup_id_x 1
		.amdhsa_system_sgpr_workgroup_id_y 1
		.amdhsa_system_sgpr_workgroup_id_z 0
		.amdhsa_system_sgpr_workgroup_info 0
		.amdhsa_system_vgpr_workitem_id 1
		.amdhsa_next_free_vgpr 40
		.amdhsa_next_free_sgpr 21
		.amdhsa_reserve_vcc 1
		.amdhsa_float_round_mode_32 0
		.amdhsa_float_round_mode_16_64 0
		.amdhsa_float_denorm_mode_32 3
		.amdhsa_float_denorm_mode_16_64 3
		.amdhsa_fp16_overflow 0
		.amdhsa_workgroup_processor_mode 1
		.amdhsa_memory_ordered 1
		.amdhsa_forward_progress 1
		.amdhsa_inst_pref_size 15
		.amdhsa_round_robin_scheduling 0
		.amdhsa_exception_fp_ieee_invalid_op 0
		.amdhsa_exception_fp_denorm_src 0
		.amdhsa_exception_fp_ieee_div_zero 0
		.amdhsa_exception_fp_ieee_overflow 0
		.amdhsa_exception_fp_ieee_underflow 0
		.amdhsa_exception_fp_ieee_inexact 0
		.amdhsa_exception_int_div_zero 0
	.end_amdhsa_kernel
	.section	.text._ZN2at6native12_GLOBAL__N_135GammaBetaBackwardCUDAKernelTemplateIN3c108BFloat16EfLj32ELj32ELj256ELb0ELb1ELb1EEEvllPKT_S7_PKT0_SA_PS5_SB_,"axG",@progbits,_ZN2at6native12_GLOBAL__N_135GammaBetaBackwardCUDAKernelTemplateIN3c108BFloat16EfLj32ELj32ELj256ELb0ELb1ELb1EEEvllPKT_S7_PKT0_SA_PS5_SB_,comdat
.Lfunc_end206:
	.size	_ZN2at6native12_GLOBAL__N_135GammaBetaBackwardCUDAKernelTemplateIN3c108BFloat16EfLj32ELj32ELj256ELb0ELb1ELb1EEEvllPKT_S7_PKT0_SA_PS5_SB_, .Lfunc_end206-_ZN2at6native12_GLOBAL__N_135GammaBetaBackwardCUDAKernelTemplateIN3c108BFloat16EfLj32ELj32ELj256ELb0ELb1ELb1EEEvllPKT_S7_PKT0_SA_PS5_SB_
                                        ; -- End function
	.set _ZN2at6native12_GLOBAL__N_135GammaBetaBackwardCUDAKernelTemplateIN3c108BFloat16EfLj32ELj32ELj256ELb0ELb1ELb1EEEvllPKT_S7_PKT0_SA_PS5_SB_.num_vgpr, 40
	.set _ZN2at6native12_GLOBAL__N_135GammaBetaBackwardCUDAKernelTemplateIN3c108BFloat16EfLj32ELj32ELj256ELb0ELb1ELb1EEEvllPKT_S7_PKT0_SA_PS5_SB_.num_agpr, 0
	.set _ZN2at6native12_GLOBAL__N_135GammaBetaBackwardCUDAKernelTemplateIN3c108BFloat16EfLj32ELj32ELj256ELb0ELb1ELb1EEEvllPKT_S7_PKT0_SA_PS5_SB_.numbered_sgpr, 21
	.set _ZN2at6native12_GLOBAL__N_135GammaBetaBackwardCUDAKernelTemplateIN3c108BFloat16EfLj32ELj32ELj256ELb0ELb1ELb1EEEvllPKT_S7_PKT0_SA_PS5_SB_.num_named_barrier, 0
	.set _ZN2at6native12_GLOBAL__N_135GammaBetaBackwardCUDAKernelTemplateIN3c108BFloat16EfLj32ELj32ELj256ELb0ELb1ELb1EEEvllPKT_S7_PKT0_SA_PS5_SB_.private_seg_size, 0
	.set _ZN2at6native12_GLOBAL__N_135GammaBetaBackwardCUDAKernelTemplateIN3c108BFloat16EfLj32ELj32ELj256ELb0ELb1ELb1EEEvllPKT_S7_PKT0_SA_PS5_SB_.uses_vcc, 1
	.set _ZN2at6native12_GLOBAL__N_135GammaBetaBackwardCUDAKernelTemplateIN3c108BFloat16EfLj32ELj32ELj256ELb0ELb1ELb1EEEvllPKT_S7_PKT0_SA_PS5_SB_.uses_flat_scratch, 0
	.set _ZN2at6native12_GLOBAL__N_135GammaBetaBackwardCUDAKernelTemplateIN3c108BFloat16EfLj32ELj32ELj256ELb0ELb1ELb1EEEvllPKT_S7_PKT0_SA_PS5_SB_.has_dyn_sized_stack, 0
	.set _ZN2at6native12_GLOBAL__N_135GammaBetaBackwardCUDAKernelTemplateIN3c108BFloat16EfLj32ELj32ELj256ELb0ELb1ELb1EEEvllPKT_S7_PKT0_SA_PS5_SB_.has_recursion, 0
	.set _ZN2at6native12_GLOBAL__N_135GammaBetaBackwardCUDAKernelTemplateIN3c108BFloat16EfLj32ELj32ELj256ELb0ELb1ELb1EEEvllPKT_S7_PKT0_SA_PS5_SB_.has_indirect_call, 0
	.section	.AMDGPU.csdata,"",@progbits
; Kernel info:
; codeLenInByte = 1820
; TotalNumSgprs: 23
; NumVgprs: 40
; ScratchSize: 0
; MemoryBound: 0
; FloatMode: 240
; IeeeMode: 1
; LDSByteSize: 0 bytes/workgroup (compile time only)
; SGPRBlocks: 0
; VGPRBlocks: 4
; NumSGPRsForWavesPerEU: 23
; NumVGPRsForWavesPerEU: 40
; Occupancy: 16
; WaveLimiterHint : 0
; COMPUTE_PGM_RSRC2:SCRATCH_EN: 0
; COMPUTE_PGM_RSRC2:USER_SGPR: 2
; COMPUTE_PGM_RSRC2:TRAP_HANDLER: 0
; COMPUTE_PGM_RSRC2:TGID_X_EN: 1
; COMPUTE_PGM_RSRC2:TGID_Y_EN: 1
; COMPUTE_PGM_RSRC2:TGID_Z_EN: 0
; COMPUTE_PGM_RSRC2:TIDIG_COMP_CNT: 1
	.section	.text._ZN2at6native12_GLOBAL__N_135GammaBetaBackwardCUDAKernelTemplateIN3c108BFloat16EfLj32ELj32ELj256ELb0ELb0ELb1EEEvllPKT_S7_PKT0_SA_PS5_SB_,"axG",@progbits,_ZN2at6native12_GLOBAL__N_135GammaBetaBackwardCUDAKernelTemplateIN3c108BFloat16EfLj32ELj32ELj256ELb0ELb0ELb1EEEvllPKT_S7_PKT0_SA_PS5_SB_,comdat
	.globl	_ZN2at6native12_GLOBAL__N_135GammaBetaBackwardCUDAKernelTemplateIN3c108BFloat16EfLj32ELj32ELj256ELb0ELb0ELb1EEEvllPKT_S7_PKT0_SA_PS5_SB_ ; -- Begin function _ZN2at6native12_GLOBAL__N_135GammaBetaBackwardCUDAKernelTemplateIN3c108BFloat16EfLj32ELj32ELj256ELb0ELb0ELb1EEEvllPKT_S7_PKT0_SA_PS5_SB_
	.p2align	8
	.type	_ZN2at6native12_GLOBAL__N_135GammaBetaBackwardCUDAKernelTemplateIN3c108BFloat16EfLj32ELj32ELj256ELb0ELb0ELb1EEEvllPKT_S7_PKT0_SA_PS5_SB_,@function
_ZN2at6native12_GLOBAL__N_135GammaBetaBackwardCUDAKernelTemplateIN3c108BFloat16EfLj32ELj32ELj256ELb0ELb0ELb1EEEvllPKT_S7_PKT0_SA_PS5_SB_: ; @_ZN2at6native12_GLOBAL__N_135GammaBetaBackwardCUDAKernelTemplateIN3c108BFloat16EfLj32ELj32ELj256ELb0ELb0ELb1EEEvllPKT_S7_PKT0_SA_PS5_SB_
; %bb.0:
	s_clause 0x1
	s_load_b256 s[4:11], s[0:1], 0x0
	s_load_b64 s[12:13], s[0:1], 0x28
	s_lshl_b32 s28, ttmp9, 5
	s_mov_b32 s15, 0
	s_or_b32 s14, s28, 31
	s_wait_kmcnt 0x0
	v_cmp_le_i64_e64 s2, s[6:7], s[14:15]
	s_lshl_b32 s14, ttmp7, 8
	s_wait_alu 0xfffe
	v_cmp_gt_i64_e64 s29, s[4:5], s[14:15]
	s_and_b32 vcc_lo, exec_lo, s2
	v_cndmask_b32_e64 v1, 0, 1, s29
	s_delay_alu instid0(VALU_DEP_1)
	v_cmp_ne_u32_e64 s2, 1, v1
	s_cbranch_vccz .LBB207_49
; %bb.1:
	v_mov_b32_e32 v86, 0
	s_and_b32 vcc_lo, exec_lo, s2
	s_cbranch_vccnz .LBB207_50
; %bb.2:
	v_bfe_u32 v20, v0, 10, 10
	v_dual_mov_b32 v1, 0 :: v_dual_and_b32 v22, 0x3ff, v0
	s_load_b32 s3, s[0:1], 0x44
	s_mov_b32 s17, 0
	s_delay_alu instid0(VALU_DEP_2) | instskip(NEXT) | instid1(VALU_DEP_2)
	v_lshlrev_b32_e32 v21, 3, v20
	v_dual_mov_b32 v3, v1 :: v_dual_add_nc_u32 v2, s28, v22
	s_mov_b32 s21, s17
	v_mov_b32_e32 v55, 0
	s_delay_alu instid0(VALU_DEP_3) | instskip(NEXT) | instid1(VALU_DEP_1)
	v_add_co_u32 v10, s2, v21, s14
	v_add_co_ci_u32_e64 v11, null, 0, 0, s2
	v_cmp_gt_i64_e64 s2, s[6:7], v[2:3]
	s_delay_alu instid0(VALU_DEP_3) | instskip(SKIP_1) | instid1(VALU_DEP_4)
	v_mul_lo_u32 v6, s7, v10
	v_mad_co_u64_u32 v[4:5], null, s6, v10, 0
	v_mul_lo_u32 v7, s6, v11
	v_add_co_u32 v8, vcc_lo, v10, 7
	s_delay_alu instid0(VALU_DEP_1) | instskip(SKIP_1) | instid1(VALU_DEP_3)
	v_add_co_ci_u32_e64 v9, null, 0, v11, vcc_lo
	v_lshlrev_b64_e32 v[18:19], 1, v[2:3]
	v_mul_lo_u32 v12, s7, v8
	s_wait_kmcnt 0x0
	s_lshl_b32 s20, s3, 8
	v_add3_u32 v5, v5, v7, v6
	v_mad_co_u64_u32 v[6:7], null, s6, v8, 0
	v_add_co_u32 v8, vcc_lo, v10, 6
	v_mul_lo_u32 v13, s6, v9
	s_wait_alu 0xfffd
	v_add_co_ci_u32_e64 v9, null, 0, v11, vcc_lo
	v_lshlrev_b64_e32 v[2:3], 1, v[4:5]
	v_mul_lo_u32 v14, s7, v8
	s_mul_u64 s[22:23], s[6:7], s[20:21]
	s_delay_alu instid0(VALU_DEP_3) | instskip(SKIP_1) | instid1(VALU_DEP_4)
	v_mul_lo_u32 v15, s6, v9
	v_mad_co_u64_u32 v[8:9], null, s6, v8, 0
	v_add_co_u32 v23, vcc_lo, s8, v2
	s_wait_alu 0xfffd
	v_add_co_ci_u32_e64 v24, null, s9, v3, vcc_lo
	v_add_co_u32 v25, vcc_lo, s10, v2
	v_add3_u32 v7, v7, v13, v12
	s_wait_alu 0xfffd
	v_add_co_ci_u32_e64 v26, null, s11, v3, vcc_lo
	v_add_co_u32 v12, vcc_lo, v10, 5
	v_add3_u32 v9, v9, v15, v14
	s_wait_alu 0xfffd
	v_add_co_ci_u32_e64 v13, null, 0, v11, vcc_lo
	v_lshlrev_b64_e32 v[2:3], 1, v[6:7]
	v_mul_lo_u32 v14, s7, v12
	v_lshlrev_b64_e32 v[6:7], 1, v[8:9]
	s_delay_alu instid0(VALU_DEP_4)
	v_mul_lo_u32 v13, s6, v13
	v_mad_co_u64_u32 v[8:9], null, s6, v12, 0
	v_add_co_u32 v27, vcc_lo, s8, v2
	s_wait_alu 0xfffd
	v_add_co_ci_u32_e64 v28, null, s9, v3, vcc_lo
	v_add_co_u32 v29, vcc_lo, s10, v2
	s_wait_alu 0xfffd
	v_add_co_ci_u32_e64 v30, null, s11, v3, vcc_lo
	v_add_co_u32 v31, vcc_lo, s8, v6
	v_add3_u32 v9, v9, v13, v14
	s_wait_alu 0xfffd
	v_add_co_ci_u32_e64 v32, null, s9, v7, vcc_lo
	v_add_co_u32 v12, vcc_lo, v10, 4
	v_add_co_u32 v33, s3, s10, v6
	s_wait_alu 0xfffd
	v_add_co_ci_u32_e64 v6, null, 0, v11, vcc_lo
	v_lshlrev_b64_e32 v[2:3], 1, v[8:9]
	v_add_co_u32 v8, vcc_lo, v10, 3
	s_wait_alu 0xfffd
	v_add_co_ci_u32_e64 v9, null, 0, v11, vcc_lo
	s_wait_alu 0xf1ff
	v_add_co_ci_u32_e64 v34, null, s11, v7, s3
	v_mul_lo_u32 v13, s7, v12
	v_mul_lo_u32 v14, s6, v6
	v_mad_co_u64_u32 v[6:7], null, s6, v12, 0
	v_mul_lo_u32 v12, s7, v8
	v_mul_lo_u32 v15, s6, v9
	v_mad_co_u64_u32 v[8:9], null, s6, v8, 0
	v_add_co_u32 v35, vcc_lo, s8, v2
	s_wait_alu 0xfffd
	v_add_co_ci_u32_e64 v36, null, s9, v3, vcc_lo
	v_add3_u32 v7, v7, v14, v13
	v_add_co_u32 v37, vcc_lo, s10, v2
	s_wait_alu 0xfffd
	v_add_co_ci_u32_e64 v38, null, s11, v3, vcc_lo
	v_add_co_u32 v10, vcc_lo, v10, 2
	v_add3_u32 v9, v9, v15, v12
	s_wait_alu 0xfffd
	v_add_co_ci_u32_e64 v11, null, 0, v11, vcc_lo
	v_lshlrev_b64_e32 v[2:3], 1, v[6:7]
	v_mul_lo_u32 v12, s7, v10
	v_lshlrev_b64_e32 v[6:7], 1, v[8:9]
	s_delay_alu instid0(VALU_DEP_4)
	v_mul_lo_u32 v11, s6, v11
	v_mad_co_u64_u32 v[8:9], null, s6, v10, 0
	v_add_co_u32 v39, vcc_lo, s8, v2
	s_wait_alu 0xfffd
	v_add_co_ci_u32_e64 v40, null, s9, v3, vcc_lo
	v_add_co_u32 v41, vcc_lo, s10, v2
	s_wait_alu 0xfffd
	v_add_co_ci_u32_e64 v42, null, s11, v3, vcc_lo
	;; [unrolled: 3-line block ×3, first 2 shown]
	v_add3_u32 v9, v9, v11, v12
	v_add_co_u32 v45, vcc_lo, s10, v6
	s_wait_alu 0xfffd
	v_add_co_ci_u32_e64 v46, null, s11, v7, vcc_lo
	v_add_co_u32 v4, vcc_lo, v4, s6
	s_wait_alu 0xfffd
	v_add_co_ci_u32_e64 v5, null, s7, v5, vcc_lo
	v_lshlrev_b64_e32 v[2:3], 1, v[8:9]
	s_add_nc_u64 s[18:19], s[0:1], 64
	s_lshl_b64 s[22:23], s[22:23], 1
	s_delay_alu instid0(VALU_DEP_2)
	v_lshlrev_b64_e32 v[4:5], 1, v[4:5]
	s_add_nc_u64 s[24:25], s[14:15], 0xff
	s_mov_b64 s[26:27], s[14:15]
	v_add_co_u32 v47, vcc_lo, s8, v2
	s_wait_alu 0xfffd
	v_add_co_ci_u32_e64 v48, null, s9, v3, vcc_lo
	v_add_co_u32 v49, vcc_lo, s10, v2
	s_wait_alu 0xfffd
	v_add_co_ci_u32_e64 v50, null, s11, v3, vcc_lo
	v_add_co_u32 v51, vcc_lo, s8, v4
	s_wait_alu 0xfffd
	v_add_co_ci_u32_e64 v52, null, s9, v5, vcc_lo
	v_add_co_u32 v53, vcc_lo, s10, v4
	s_wait_alu 0xfffd
	v_add_co_ci_u32_e64 v54, null, s11, v5, vcc_lo
.LBB207_3:                              ; =>This Inner Loop Header: Depth=1
	v_cmp_ge_i64_e64 s3, s[24:25], s[4:5]
	v_add_co_u32 v56, s16, v21, s24
	s_wait_alu 0xf1ff
	v_add_co_ci_u32_e64 v57, null, 0, s25, s16
                                        ; implicit-def: $vgpr2_vgpr3_vgpr4_vgpr5_vgpr6_vgpr7_vgpr8_vgpr9
                                        ; implicit-def: $vgpr86
                                        ; implicit-def: $vgpr10_vgpr11_vgpr12_vgpr13_vgpr14_vgpr15_vgpr16_vgpr17
                                        ; implicit-def: $vgpr2
	s_and_b32 vcc_lo, exec_lo, s3
	s_mov_b32 s3, -1
	s_wait_alu 0xfffe
	s_cbranch_vccz .LBB207_25
; %bb.4:                                ;   in Loop: Header=BB207_3 Depth=1
	s_load_b32 s3, s[18:19], 0xc
	v_mov_b32_e32 v58, 0
	s_wait_kmcnt 0x0
	s_and_b32 s3, s3, 0xffff
	s_wait_alu 0xfffe
	v_mad_u32_u24 v2, v20, s3, v22
	s_mov_b32 s3, exec_lo
	s_delay_alu instid0(VALU_DEP_1) | instskip(NEXT) | instid1(VALU_DEP_1)
	v_and_b32_e32 v2, 31, v2
	v_cmpx_gt_u32_e32 8, v2
	s_cbranch_execz .LBB207_8
; %bb.5:                                ;   in Loop: Header=BB207_3 Depth=1
	v_add_co_u32 v2, vcc_lo, v56, v2
	s_wait_alu 0xfffd
	v_add_co_ci_u32_e64 v3, null, 0, v57, vcc_lo
	v_mov_b32_e32 v58, 0
	s_delay_alu instid0(VALU_DEP_3) | instskip(SKIP_1) | instid1(VALU_DEP_3)
	v_add_co_u32 v2, vcc_lo, 0xffffff01, v2
	s_wait_alu 0xfffd
	v_add_co_ci_u32_e64 v3, null, -1, v3, vcc_lo
	s_mov_b32 s16, exec_lo
	v_cmpx_gt_i64_e64 s[4:5], v[2:3]
	s_cbranch_execz .LBB207_7
; %bb.6:                                ;   in Loop: Header=BB207_3 Depth=1
	v_lshlrev_b64_e32 v[2:3], 2, v[2:3]
	s_delay_alu instid0(VALU_DEP_1) | instskip(SKIP_1) | instid1(VALU_DEP_2)
	v_add_co_u32 v2, vcc_lo, s12, v2
	s_wait_alu 0xfffd
	v_add_co_ci_u32_e64 v3, null, s13, v3, vcc_lo
	global_load_b32 v58, v[2:3], off
.LBB207_7:                              ;   in Loop: Header=BB207_3 Depth=1
	s_wait_alu 0xfffe
	s_or_b32 exec_lo, exec_lo, s16
.LBB207_8:                              ;   in Loop: Header=BB207_3 Depth=1
	s_wait_alu 0xfffe
	s_or_b32 exec_lo, exec_lo, s3
	v_add_co_u32 v9, vcc_lo, 0xffffff01, v56
	s_wait_alu 0xfffd
	v_add_co_ci_u32_e64 v10, null, -1, v57, vcc_lo
	v_mov_b32_e32 v8, v1
	v_dual_mov_b32 v2, v1 :: v_dual_mov_b32 v3, v1
	v_dual_mov_b32 v4, v1 :: v_dual_mov_b32 v5, v1
	v_dual_mov_b32 v6, v1 :: v_dual_mov_b32 v7, v1
	v_cmp_gt_i64_e32 vcc_lo, s[4:5], v[9:10]
	s_delay_alu instid0(VALU_DEP_3) | instskip(NEXT) | instid1(VALU_DEP_3)
	v_dual_mov_b32 v17, v8 :: v_dual_mov_b32 v14, v5
	v_dual_mov_b32 v15, v6 :: v_dual_mov_b32 v16, v7
	;; [unrolled: 1-line block ×4, first 2 shown]
	v_mov_b32_e32 v9, v8
	v_mov_b32_e32 v8, v7
	;; [unrolled: 1-line block ×8, first 2 shown]
	s_and_b32 s16, s2, vcc_lo
	s_wait_alu 0xfffe
	s_and_saveexec_b32 s3, s16
	s_cbranch_execz .LBB207_10
; %bb.9:                                ;   in Loop: Header=BB207_3 Depth=1
	v_add_co_u32 v2, vcc_lo, v23, v18
	s_wait_alu 0xfffd
	v_add_co_ci_u32_e64 v3, null, v24, v19, vcc_lo
	v_add_co_u32 v4, vcc_lo, v25, v18
	s_wait_alu 0xfffd
	v_add_co_ci_u32_e64 v5, null, v26, v19, vcc_lo
	global_load_u16 v2, v[2:3], off
	global_load_u16 v10, v[4:5], off
	v_dual_mov_b32 v3, v1 :: v_dual_mov_b32 v4, v1
	v_dual_mov_b32 v5, v1 :: v_dual_mov_b32 v6, v1
	v_dual_mov_b32 v7, v1 :: v_dual_mov_b32 v8, v1
	v_dual_mov_b32 v9, v1 :: v_dual_mov_b32 v12, v1
	v_dual_mov_b32 v11, v1 :: v_dual_mov_b32 v14, v1
	v_dual_mov_b32 v13, v1 :: v_dual_mov_b32 v16, v1
	v_mov_b32_e32 v15, v1
	s_wait_loadcnt 0x1
	v_dual_mov_b32 v17, v1 :: v_dual_lshlrev_b32 v2, 16, v2
	s_wait_loadcnt 0x0
	v_lshlrev_b32_e32 v10, 16, v10
.LBB207_10:                             ;   in Loop: Header=BB207_3 Depth=1
	s_wait_alu 0xfffe
	s_or_b32 exec_lo, exec_lo, s3
	v_add_co_u32 v59, vcc_lo, 0xffffff02, v56
	s_wait_alu 0xfffd
	v_add_co_ci_u32_e64 v60, null, -1, v57, vcc_lo
	s_delay_alu instid0(VALU_DEP_1)
	v_cmp_gt_i64_e32 vcc_lo, s[4:5], v[59:60]
	s_and_b32 s16, s2, vcc_lo
	s_wait_alu 0xfffe
	s_and_saveexec_b32 s3, s16
	s_cbranch_execz .LBB207_12
; %bb.11:                               ;   in Loop: Header=BB207_3 Depth=1
	v_add_co_u32 v59, vcc_lo, v51, v18
	s_wait_alu 0xfffd
	v_add_co_ci_u32_e64 v60, null, v52, v19, vcc_lo
	v_add_co_u32 v61, vcc_lo, v53, v18
	s_wait_alu 0xfffd
	v_add_co_ci_u32_e64 v62, null, v54, v19, vcc_lo
	global_load_u16 v3, v[59:60], off
	global_load_u16 v11, v[61:62], off
	s_wait_loadcnt 0x1
	v_lshlrev_b32_e32 v3, 16, v3
	s_wait_loadcnt 0x0
	v_lshlrev_b32_e32 v11, 16, v11
.LBB207_12:                             ;   in Loop: Header=BB207_3 Depth=1
	s_wait_alu 0xfffe
	s_or_b32 exec_lo, exec_lo, s3
	v_add_co_u32 v59, vcc_lo, 0xffffff03, v56
	s_wait_alu 0xfffd
	v_add_co_ci_u32_e64 v60, null, -1, v57, vcc_lo
	s_delay_alu instid0(VALU_DEP_1)
	v_cmp_gt_i64_e32 vcc_lo, s[4:5], v[59:60]
	s_and_b32 s16, s2, vcc_lo
	s_wait_alu 0xfffe
	s_and_saveexec_b32 s3, s16
	s_cbranch_execz .LBB207_14
; %bb.13:                               ;   in Loop: Header=BB207_3 Depth=1
	v_add_co_u32 v59, vcc_lo, v47, v18
	s_wait_alu 0xfffd
	v_add_co_ci_u32_e64 v60, null, v48, v19, vcc_lo
	v_add_co_u32 v61, vcc_lo, v49, v18
	s_wait_alu 0xfffd
	v_add_co_ci_u32_e64 v62, null, v50, v19, vcc_lo
	global_load_u16 v4, v[59:60], off
	global_load_u16 v12, v[61:62], off
	s_wait_loadcnt 0x1
	v_lshlrev_b32_e32 v4, 16, v4
	s_wait_loadcnt 0x0
	v_lshlrev_b32_e32 v12, 16, v12
.LBB207_14:                             ;   in Loop: Header=BB207_3 Depth=1
	;; [unrolled: 25-line block ×7, first 2 shown]
	s_wait_alu 0xfffe
	s_or_b32 exec_lo, exec_lo, s3
	s_wait_loadcnt 0x0
	ds_bpermute_b32 v59, v1, v58
	ds_bpermute_b32 v60, v1, v58 offset:4
	ds_bpermute_b32 v61, v1, v58 offset:8
	v_dual_mul_f32 v2, v10, v2 :: v_dual_mul_f32 v3, v11, v3
	ds_bpermute_b32 v10, v1, v58 offset:12
	ds_bpermute_b32 v11, v1, v58 offset:16
	v_mul_f32_e32 v6, v14, v6
	s_mov_b32 s3, 0
	s_wait_dscnt 0x4
	v_fma_f32 v86, v2, v59, v55
	v_mul_f32_e32 v2, v12, v4
	ds_bpermute_b32 v4, v1, v58 offset:20
	s_wait_dscnt 0x4
	v_dual_fmac_f32 v86, v3, v60 :: v_dual_mul_f32 v3, v13, v5
	ds_bpermute_b32 v5, v1, v58 offset:24
	s_wait_dscnt 0x4
	v_fmac_f32_e32 v86, v2, v61
	ds_bpermute_b32 v2, v1, v58 offset:28
	s_wait_dscnt 0x4
	v_fmac_f32_e32 v86, v3, v10
	v_mul_f32_e32 v3, v15, v7
	s_wait_dscnt 0x3
	s_delay_alu instid0(VALU_DEP_2) | instskip(SKIP_1) | instid1(VALU_DEP_1)
	v_fmac_f32_e32 v86, v6, v11
	s_wait_dscnt 0x2
	v_fmac_f32_e32 v86, v3, v4
	v_mul_f32_e32 v3, v16, v8
	s_wait_dscnt 0x1
	s_delay_alu instid0(VALU_DEP_1)
	v_fmac_f32_e32 v86, v3, v5
.LBB207_25:                             ;   in Loop: Header=BB207_3 Depth=1
	s_wait_alu 0xfffe
	s_and_b32 vcc_lo, exec_lo, s3
	s_wait_alu 0xfffe
	s_cbranch_vccz .LBB207_40
; %bb.26:                               ;   in Loop: Header=BB207_3 Depth=1
	s_load_b32 s3, s[18:19], 0x0
	v_mov_b32_e32 v58, 0
	s_wait_kmcnt 0x0
	s_cmp_lt_u32 ttmp9, s3
	s_cselect_b32 s16, 12, 18
	s_wait_alu 0xfffe
	s_add_nc_u64 s[30:31], s[18:19], s[16:17]
	s_load_u16 s3, s[30:31], 0x0
	s_wait_dscnt 0x0
	s_wait_kmcnt 0x0
	v_mad_u32_u24 v2, v20, s3, v22
	s_mov_b32 s3, exec_lo
	s_delay_alu instid0(VALU_DEP_1) | instskip(NEXT) | instid1(VALU_DEP_1)
	v_and_b32_e32 v2, 31, v2
	v_cmpx_gt_u32_e32 8, v2
	s_cbranch_execz .LBB207_30
; %bb.27:                               ;   in Loop: Header=BB207_3 Depth=1
	v_add_co_u32 v2, vcc_lo, v56, v2
	s_wait_alu 0xfffd
	v_add_co_ci_u32_e64 v3, null, 0, v57, vcc_lo
	v_mov_b32_e32 v58, 0
	s_delay_alu instid0(VALU_DEP_3) | instskip(SKIP_1) | instid1(VALU_DEP_3)
	v_add_co_u32 v2, vcc_lo, 0xffffff01, v2
	s_wait_alu 0xfffd
	v_add_co_ci_u32_e64 v3, null, -1, v3, vcc_lo
	s_mov_b32 s16, exec_lo
	v_cmpx_gt_i64_e64 s[4:5], v[2:3]
	s_cbranch_execz .LBB207_29
; %bb.28:                               ;   in Loop: Header=BB207_3 Depth=1
	v_lshlrev_b64_e32 v[2:3], 2, v[2:3]
	s_delay_alu instid0(VALU_DEP_1) | instskip(SKIP_1) | instid1(VALU_DEP_2)
	v_add_co_u32 v2, vcc_lo, s12, v2
	s_wait_alu 0xfffd
	v_add_co_ci_u32_e64 v3, null, s13, v3, vcc_lo
	global_load_b32 v58, v[2:3], off
.LBB207_29:                             ;   in Loop: Header=BB207_3 Depth=1
	s_wait_alu 0xfffe
	s_or_b32 exec_lo, exec_lo, s16
.LBB207_30:                             ;   in Loop: Header=BB207_3 Depth=1
	s_wait_alu 0xfffe
	s_or_b32 exec_lo, exec_lo, s3
	v_mov_b32_e32 v8, v1
	v_dual_mov_b32 v2, v1 :: v_dual_mov_b32 v3, v1
	v_dual_mov_b32 v4, v1 :: v_dual_mov_b32 v5, v1
	;; [unrolled: 1-line block ×3, first 2 shown]
	s_delay_alu instid0(VALU_DEP_4) | instskip(NEXT) | instid1(VALU_DEP_3)
	v_mov_b32_e32 v17, v8
	v_dual_mov_b32 v13, v4 :: v_dual_mov_b32 v12, v3
	s_delay_alu instid0(VALU_DEP_3) | instskip(NEXT) | instid1(VALU_DEP_4)
	v_dual_mov_b32 v15, v6 :: v_dual_mov_b32 v14, v5
	v_dual_mov_b32 v16, v7 :: v_dual_mov_b32 v11, v2
	;; [unrolled: 1-line block ×3, first 2 shown]
	v_mov_b32_e32 v8, v7
	v_mov_b32_e32 v7, v6
	v_mov_b32_e32 v6, v5
	v_mov_b32_e32 v5, v4
	v_mov_b32_e32 v4, v3
	v_mov_b32_e32 v3, v2
	v_mov_b32_e32 v2, v1
	s_and_saveexec_b32 s3, s2
	s_cbranch_execnz .LBB207_42
; %bb.31:                               ;   in Loop: Header=BB207_3 Depth=1
	s_wait_alu 0xfffe
	s_or_b32 exec_lo, exec_lo, s3
	s_and_saveexec_b32 s3, s2
	s_cbranch_execnz .LBB207_43
.LBB207_32:                             ;   in Loop: Header=BB207_3 Depth=1
	s_wait_alu 0xfffe
	s_or_b32 exec_lo, exec_lo, s3
	s_and_saveexec_b32 s3, s2
	s_cbranch_execnz .LBB207_44
.LBB207_33:                             ;   in Loop: Header=BB207_3 Depth=1
	s_wait_alu 0xfffe
	s_or_b32 exec_lo, exec_lo, s3
	s_and_saveexec_b32 s3, s2
	s_cbranch_execnz .LBB207_45
.LBB207_34:                             ;   in Loop: Header=BB207_3 Depth=1
	s_wait_alu 0xfffe
	s_or_b32 exec_lo, exec_lo, s3
	s_and_saveexec_b32 s3, s2
	s_cbranch_execnz .LBB207_46
.LBB207_35:                             ;   in Loop: Header=BB207_3 Depth=1
	s_wait_alu 0xfffe
	s_or_b32 exec_lo, exec_lo, s3
	s_and_saveexec_b32 s3, s2
	s_cbranch_execnz .LBB207_47
.LBB207_36:                             ;   in Loop: Header=BB207_3 Depth=1
	s_wait_alu 0xfffe
	s_or_b32 exec_lo, exec_lo, s3
	s_and_saveexec_b32 s3, s2
	s_cbranch_execnz .LBB207_48
.LBB207_37:                             ;   in Loop: Header=BB207_3 Depth=1
	s_wait_alu 0xfffe
	s_or_b32 exec_lo, exec_lo, s3
	s_and_saveexec_b32 s3, s2
	s_cbranch_execz .LBB207_39
.LBB207_38:                             ;   in Loop: Header=BB207_3 Depth=1
	v_add_co_u32 v56, vcc_lo, v27, v18
	s_wait_alu 0xfffd
	v_add_co_ci_u32_e64 v57, null, v28, v19, vcc_lo
	v_add_co_u32 v59, vcc_lo, v29, v18
	s_wait_alu 0xfffd
	v_add_co_ci_u32_e64 v60, null, v30, v19, vcc_lo
	global_load_u16 v9, v[56:57], off
	global_load_u16 v17, v[59:60], off
	s_wait_loadcnt 0x1
	v_lshlrev_b32_e32 v9, 16, v9
	s_wait_loadcnt 0x0
	v_lshlrev_b32_e32 v17, 16, v17
.LBB207_39:                             ;   in Loop: Header=BB207_3 Depth=1
	s_wait_alu 0xfffe
	s_or_b32 exec_lo, exec_lo, s3
	s_wait_loadcnt 0x0
	ds_bpermute_b32 v56, v1, v58
	ds_bpermute_b32 v57, v1, v58 offset:4
	ds_bpermute_b32 v59, v1, v58 offset:8
	v_dual_mul_f32 v2, v10, v2 :: v_dual_mul_f32 v3, v11, v3
	ds_bpermute_b32 v10, v1, v58 offset:12
	ds_bpermute_b32 v11, v1, v58 offset:16
	s_wait_dscnt 0x4
	v_fmac_f32_e32 v55, v2, v56
	v_mul_f32_e32 v2, v12, v4
	ds_bpermute_b32 v4, v1, v58 offset:20
	s_wait_dscnt 0x4
	v_fmac_f32_e32 v55, v3, v57
	v_mul_f32_e32 v3, v13, v5
	;; [unrolled: 4-line block ×3, first 2 shown]
	s_wait_dscnt 0x3
	s_delay_alu instid0(VALU_DEP_2) | instskip(SKIP_2) | instid1(VALU_DEP_2)
	v_fmac_f32_e32 v55, v3, v10
	v_mul_f32_e32 v3, v15, v7
	s_wait_dscnt 0x2
	v_fmac_f32_e32 v55, v2, v11
	ds_bpermute_b32 v2, v1, v58 offset:28
	s_wait_dscnt 0x2
	v_fmac_f32_e32 v55, v3, v4
	v_mul_f32_e32 v3, v16, v8
	s_wait_dscnt 0x1
	s_delay_alu instid0(VALU_DEP_1) | instskip(NEXT) | instid1(VALU_DEP_1)
	v_fmac_f32_e32 v55, v3, v5
	v_mov_b32_e32 v86, v55
.LBB207_40:                             ;   in Loop: Header=BB207_3 Depth=1
	v_add_co_u32 v23, vcc_lo, v23, s22
	s_wait_alu 0xfffd
	v_add_co_ci_u32_e64 v24, null, s23, v24, vcc_lo
	v_add_co_u32 v25, vcc_lo, v25, s22
	s_wait_alu 0xfffd
	v_add_co_ci_u32_e64 v26, null, s23, v26, vcc_lo
	;; [unrolled: 3-line block ×13, first 2 shown]
	v_add_co_u32 v49, vcc_lo, v49, s22
	v_mul_f32_e32 v3, v9, v17
	s_add_nc_u64 s[26:27], s[26:27], s[20:21]
	s_wait_alu 0xfffd
	v_add_co_ci_u32_e64 v50, null, s23, v50, vcc_lo
	v_add_co_u32 v51, vcc_lo, v51, s22
	s_wait_alu 0xfffe
	v_cmp_lt_i64_e64 s3, s[26:27], s[4:5]
	s_wait_alu 0xfffd
	v_add_co_ci_u32_e64 v52, null, s23, v52, vcc_lo
	v_add_co_u32 v53, vcc_lo, v53, s22
	s_wait_dscnt 0x0
	v_fmac_f32_e32 v86, v3, v2
	s_wait_alu 0xfffd
	v_add_co_ci_u32_e64 v54, null, s23, v54, vcc_lo
	s_and_b32 vcc_lo, exec_lo, s3
	s_add_nc_u64 s[24:25], s[24:25], s[20:21]
	s_wait_alu 0xfffe
	s_cbranch_vccz .LBB207_50
; %bb.41:                               ;   in Loop: Header=BB207_3 Depth=1
	v_mov_b32_e32 v55, v86
	s_branch .LBB207_3
.LBB207_42:                             ;   in Loop: Header=BB207_3 Depth=1
	v_add_co_u32 v2, vcc_lo, v23, v18
	s_wait_alu 0xfffd
	v_add_co_ci_u32_e64 v3, null, v24, v19, vcc_lo
	v_add_co_u32 v4, vcc_lo, v25, v18
	s_wait_alu 0xfffd
	v_add_co_ci_u32_e64 v5, null, v26, v19, vcc_lo
	global_load_u16 v2, v[2:3], off
	global_load_u16 v10, v[4:5], off
	v_dual_mov_b32 v3, v1 :: v_dual_mov_b32 v4, v1
	v_dual_mov_b32 v5, v1 :: v_dual_mov_b32 v6, v1
	;; [unrolled: 1-line block ×6, first 2 shown]
	v_mov_b32_e32 v15, v1
	s_wait_loadcnt 0x1
	v_dual_mov_b32 v17, v1 :: v_dual_lshlrev_b32 v2, 16, v2
	s_wait_loadcnt 0x0
	v_lshlrev_b32_e32 v10, 16, v10
	s_wait_alu 0xfffe
	s_or_b32 exec_lo, exec_lo, s3
	s_and_saveexec_b32 s3, s2
	s_cbranch_execz .LBB207_32
.LBB207_43:                             ;   in Loop: Header=BB207_3 Depth=1
	v_add_co_u32 v56, vcc_lo, v51, v18
	s_wait_alu 0xfffd
	v_add_co_ci_u32_e64 v57, null, v52, v19, vcc_lo
	v_add_co_u32 v59, vcc_lo, v53, v18
	s_wait_alu 0xfffd
	v_add_co_ci_u32_e64 v60, null, v54, v19, vcc_lo
	global_load_u16 v3, v[56:57], off
	global_load_u16 v11, v[59:60], off
	s_wait_loadcnt 0x1
	v_lshlrev_b32_e32 v3, 16, v3
	s_wait_loadcnt 0x0
	v_lshlrev_b32_e32 v11, 16, v11
	s_wait_alu 0xfffe
	s_or_b32 exec_lo, exec_lo, s3
	s_and_saveexec_b32 s3, s2
	s_cbranch_execz .LBB207_33
.LBB207_44:                             ;   in Loop: Header=BB207_3 Depth=1
	v_add_co_u32 v56, vcc_lo, v47, v18
	s_wait_alu 0xfffd
	v_add_co_ci_u32_e64 v57, null, v48, v19, vcc_lo
	v_add_co_u32 v59, vcc_lo, v49, v18
	s_wait_alu 0xfffd
	v_add_co_ci_u32_e64 v60, null, v50, v19, vcc_lo
	global_load_u16 v4, v[56:57], off
	global_load_u16 v12, v[59:60], off
	s_wait_loadcnt 0x1
	v_lshlrev_b32_e32 v4, 16, v4
	s_wait_loadcnt 0x0
	v_lshlrev_b32_e32 v12, 16, v12
	s_wait_alu 0xfffe
	s_or_b32 exec_lo, exec_lo, s3
	s_and_saveexec_b32 s3, s2
	s_cbranch_execz .LBB207_34
.LBB207_45:                             ;   in Loop: Header=BB207_3 Depth=1
	v_add_co_u32 v56, vcc_lo, v43, v18
	s_wait_alu 0xfffd
	v_add_co_ci_u32_e64 v57, null, v44, v19, vcc_lo
	v_add_co_u32 v59, vcc_lo, v45, v18
	s_wait_alu 0xfffd
	v_add_co_ci_u32_e64 v60, null, v46, v19, vcc_lo
	global_load_u16 v5, v[56:57], off
	global_load_u16 v13, v[59:60], off
	s_wait_loadcnt 0x1
	v_lshlrev_b32_e32 v5, 16, v5
	s_wait_loadcnt 0x0
	v_lshlrev_b32_e32 v13, 16, v13
	s_wait_alu 0xfffe
	s_or_b32 exec_lo, exec_lo, s3
	s_and_saveexec_b32 s3, s2
	s_cbranch_execz .LBB207_35
.LBB207_46:                             ;   in Loop: Header=BB207_3 Depth=1
	v_add_co_u32 v56, vcc_lo, v39, v18
	s_wait_alu 0xfffd
	v_add_co_ci_u32_e64 v57, null, v40, v19, vcc_lo
	v_add_co_u32 v59, vcc_lo, v41, v18
	s_wait_alu 0xfffd
	v_add_co_ci_u32_e64 v60, null, v42, v19, vcc_lo
	global_load_u16 v6, v[56:57], off
	global_load_u16 v14, v[59:60], off
	s_wait_loadcnt 0x1
	v_lshlrev_b32_e32 v6, 16, v6
	s_wait_loadcnt 0x0
	v_lshlrev_b32_e32 v14, 16, v14
	s_wait_alu 0xfffe
	s_or_b32 exec_lo, exec_lo, s3
	s_and_saveexec_b32 s3, s2
	s_cbranch_execz .LBB207_36
.LBB207_47:                             ;   in Loop: Header=BB207_3 Depth=1
	v_add_co_u32 v56, vcc_lo, v35, v18
	s_wait_alu 0xfffd
	v_add_co_ci_u32_e64 v57, null, v36, v19, vcc_lo
	v_add_co_u32 v59, vcc_lo, v37, v18
	s_wait_alu 0xfffd
	v_add_co_ci_u32_e64 v60, null, v38, v19, vcc_lo
	global_load_u16 v7, v[56:57], off
	global_load_u16 v15, v[59:60], off
	s_wait_loadcnt 0x1
	v_lshlrev_b32_e32 v7, 16, v7
	s_wait_loadcnt 0x0
	v_lshlrev_b32_e32 v15, 16, v15
	s_wait_alu 0xfffe
	s_or_b32 exec_lo, exec_lo, s3
	s_and_saveexec_b32 s3, s2
	s_cbranch_execz .LBB207_37
.LBB207_48:                             ;   in Loop: Header=BB207_3 Depth=1
	v_add_co_u32 v56, vcc_lo, v31, v18
	s_wait_alu 0xfffd
	v_add_co_ci_u32_e64 v57, null, v32, v19, vcc_lo
	v_add_co_u32 v59, vcc_lo, v33, v18
	s_wait_alu 0xfffd
	v_add_co_ci_u32_e64 v60, null, v34, v19, vcc_lo
	global_load_u16 v8, v[56:57], off
	global_load_u16 v16, v[59:60], off
	s_wait_loadcnt 0x1
	v_lshlrev_b32_e32 v8, 16, v8
	s_wait_loadcnt 0x0
	v_lshlrev_b32_e32 v16, 16, v16
	s_wait_alu 0xfffe
	s_or_b32 exec_lo, exec_lo, s3
	s_and_saveexec_b32 s3, s2
	s_cbranch_execnz .LBB207_38
	s_branch .LBB207_39
.LBB207_49:
                                        ; implicit-def: $vgpr86
	s_branch .LBB207_51
.LBB207_50:
	s_cbranch_execnz .LBB207_83
.LBB207_51:
	v_mov_b32_e32 v86, 0
	s_and_not1_b32 vcc_lo, exec_lo, s29
	s_wait_alu 0xfffe
	s_cbranch_vccnz .LBB207_83
; %bb.52:
	v_bfe_u32 v48, v0, 10, 10
	v_dual_mov_b32 v1, 0 :: v_dual_and_b32 v50, 0x3ff, v0
	s_lshl_b64 s[18:19], s[14:15], 1
	s_mov_b32 s3, 0
	s_delay_alu instid0(VALU_DEP_2) | instskip(SKIP_2) | instid1(VALU_DEP_3)
	v_lshlrev_b32_e32 v49, 3, v48
	v_dual_mov_b32 v83, 0 :: v_dual_lshlrev_b32 v8, 4, v48
	v_dual_mov_b32 v5, v1 :: v_dual_add_nc_u32 v4, s28, v50
	v_add_co_u32 v10, s2, v49, s14
	s_wait_alu 0xf1ff
	v_add_co_ci_u32_e64 v11, null, 0, 0, s2
	s_delay_alu instid0(VALU_DEP_3) | instskip(NEXT) | instid1(VALU_DEP_3)
	v_lshlrev_b64_e32 v[18:19], 1, v[4:5]
	v_mul_lo_u32 v6, s7, v10
	v_mad_co_u64_u32 v[2:3], null, s6, v10, 0
	s_delay_alu instid0(VALU_DEP_4) | instskip(SKIP_2) | instid1(VALU_DEP_1)
	v_mul_lo_u32 v7, s6, v11
	s_load_b32 s2, s[0:1], 0x44
	s_mov_b32 s17, s3
	v_add3_u32 v3, v3, v7, v6
	v_add_co_u32 v6, s16, v8, s18
	s_wait_alu 0xf1ff
	v_add_co_ci_u32_e64 v7, null, 0, s19, s16
	s_delay_alu instid0(VALU_DEP_3) | instskip(NEXT) | instid1(VALU_DEP_3)
	v_lshlrev_b64_e32 v[4:5], 1, v[2:3]
	v_add_co_u32 v8, vcc_lo, v6, 2
	s_wait_alu 0xfffd
	s_delay_alu instid0(VALU_DEP_3) | instskip(NEXT) | instid1(VALU_DEP_3)
	v_add_co_ci_u32_e64 v9, null, 0, v7, vcc_lo
	v_add_co_u32 v51, vcc_lo, s8, v4
	s_wait_alu 0xfffd
	v_add_co_ci_u32_e64 v52, null, s9, v5, vcc_lo
	v_add_co_u32 v53, vcc_lo, s10, v4
	s_wait_alu 0xfffd
	v_add_co_ci_u32_e64 v54, null, s11, v5, vcc_lo
	v_add_co_u32 v4, vcc_lo, v6, 4
	s_wait_alu 0xfffd
	v_add_co_ci_u32_e64 v5, null, 0, v7, vcc_lo
	v_add_co_u32 v13, vcc_lo, v6, 6
	s_wait_alu 0xfffd
	v_add_co_ci_u32_e64 v14, null, 0, v7, vcc_lo
	v_add_co_u32 v16, vcc_lo, v6, 8
	s_wait_alu 0xfffd
	v_add_co_ci_u32_e64 v28, null, 0, v7, vcc_lo
	v_add_co_u32 v42, vcc_lo, v6, 10
	v_mad_co_u64_u32 v[22:23], null, s6, v4, s[8:9]
	v_mul_lo_u32 v5, s6, v5
	v_mul_lo_u32 v15, s7, v4
	v_mad_co_u64_u32 v[36:37], null, s6, v4, s[10:11]
	s_wait_alu 0xfffd
	v_add_co_ci_u32_e64 v30, null, 0, v7, vcc_lo
	v_add_co_u32 v44, vcc_lo, v6, 12
	s_wait_alu 0xfffd
	v_add_co_ci_u32_e64 v32, null, 0, v7, vcc_lo
	v_add_co_u32 v6, vcc_lo, v6, 14
	v_mad_co_u64_u32 v[20:21], null, s6, v8, s[8:9]
	v_mul_lo_u32 v9, s6, v9
	v_mul_lo_u32 v12, s7, v8
	v_mad_co_u64_u32 v[34:35], null, s6, v8, s[10:11]
	s_wait_alu 0xfffd
	v_add_co_ci_u32_e64 v7, null, 0, v7, vcc_lo
	v_add_co_u32 v4, vcc_lo, v10, 7
	v_add3_u32 v23, v15, v23, v5
	v_add3_u32 v37, v15, v37, v5
	s_wait_alu 0xfffd
	v_add_co_ci_u32_e64 v5, null, 0, v11, vcc_lo
	v_mul_lo_u32 v61, s6, v7
	v_add_co_u32 v7, vcc_lo, v10, 6
	v_add3_u32 v21, v12, v21, v9
	v_add3_u32 v35, v12, v35, v9
	s_wait_alu 0xfffd
	v_add_co_ci_u32_e64 v12, null, 0, v11, vcc_lo
	v_mul_lo_u32 v8, s7, v4
	v_mul_lo_u32 v9, s6, v5
	v_mad_co_u64_u32 v[4:5], null, s6, v4, 0
	v_mad_co_u64_u32 v[24:25], null, s6, v13, s[8:9]
	v_mul_lo_u32 v17, s7, v13
	v_mul_lo_u32 v59, s6, v32
	v_mad_co_u64_u32 v[32:33], null, s6, v6, s[8:9]
	v_mul_lo_u32 v62, s7, v6
	v_mad_co_u64_u32 v[38:39], null, s6, v13, s[10:11]
	v_mad_co_u64_u32 v[46:47], null, s6, v6, s[10:11]
	v_mul_lo_u32 v13, s7, v7
	v_mul_lo_u32 v12, s6, v12
	v_mad_co_u64_u32 v[6:7], null, s6, v7, 0
	v_add3_u32 v5, v5, v9, v8
	v_add_co_u32 v8, vcc_lo, v10, 5
	v_mad_co_u64_u32 v[26:27], null, s6, v16, s[8:9]
	v_mul_lo_u32 v55, s6, v28
	v_mul_lo_u32 v56, s7, v16
	v_mad_co_u64_u32 v[40:41], null, s6, v16, s[10:11]
	s_wait_alu 0xfffd
	v_add_co_ci_u32_e64 v9, null, 0, v11, vcc_lo
	v_add3_u32 v7, v7, v12, v13
	v_mad_co_u64_u32 v[28:29], null, s6, v42, s[8:9]
	v_mul_lo_u32 v57, s6, v30
	v_mul_lo_u32 v58, s7, v42
	v_mad_co_u64_u32 v[42:43], null, s6, v42, s[10:11]
	v_lshlrev_b64_e32 v[4:5], 1, v[4:5]
	v_mad_co_u64_u32 v[30:31], null, s6, v44, s[8:9]
	v_mul_lo_u32 v60, s7, v44
	v_mad_co_u64_u32 v[44:45], null, s6, v44, s[10:11]
	v_mul_lo_u32 v12, s7, v8
	v_mul_lo_u32 v13, s6, v9
	v_mad_co_u64_u32 v[8:9], null, s6, v8, 0
	v_lshlrev_b64_e32 v[6:7], 1, v[6:7]
	v_add3_u32 v27, v56, v27, v55
	v_add3_u32 v41, v56, v41, v55
	v_add_co_u32 v55, vcc_lo, s8, v4
	v_add3_u32 v29, v58, v29, v57
	v_add3_u32 v43, v58, v43, v57
	s_wait_alu 0xfffd
	v_add_co_ci_u32_e64 v56, null, s9, v5, vcc_lo
	v_add_co_u32 v57, vcc_lo, s10, v4
	v_add3_u32 v31, v60, v31, v59
	v_add3_u32 v45, v60, v45, v59
	s_wait_alu 0xfffd
	v_add_co_ci_u32_e64 v58, null, s11, v5, vcc_lo
	v_add_co_u32 v59, vcc_lo, s8, v6
	v_mul_lo_u32 v14, s6, v14
	v_add3_u32 v9, v9, v13, v12
	s_wait_alu 0xfffd
	v_add_co_ci_u32_e64 v60, null, s9, v7, vcc_lo
	v_add_co_u32 v12, vcc_lo, v10, 4
	s_wait_kmcnt 0x0
	s_lshl_b32 s16, s2, 8
	v_add3_u32 v33, v62, v33, v61
	v_add3_u32 v47, v62, v47, v61
	v_add_co_u32 v61, s2, s10, v6
	s_wait_alu 0xfffd
	v_add_co_ci_u32_e64 v6, null, 0, v11, vcc_lo
	v_lshlrev_b64_e32 v[4:5], 1, v[8:9]
	v_add_co_u32 v8, vcc_lo, v10, 3
	s_wait_alu 0xfffd
	v_add_co_ci_u32_e64 v9, null, 0, v11, vcc_lo
	v_add3_u32 v25, v17, v25, v14
	v_add3_u32 v39, v17, v39, v14
	s_wait_alu 0xf1ff
	v_add_co_ci_u32_e64 v62, null, s11, v7, s2
	v_mul_lo_u32 v13, s7, v12
	v_mul_lo_u32 v14, s6, v6
	v_mad_co_u64_u32 v[6:7], null, s6, v12, 0
	v_mul_lo_u32 v12, s7, v8
	v_mul_lo_u32 v15, s6, v9
	v_mad_co_u64_u32 v[8:9], null, s6, v8, 0
	v_add_co_u32 v63, vcc_lo, s8, v4
	s_wait_alu 0xfffd
	v_add_co_ci_u32_e64 v64, null, s9, v5, vcc_lo
	v_add3_u32 v7, v7, v14, v13
	v_add_co_u32 v65, vcc_lo, s10, v4
	s_wait_alu 0xfffd
	v_add_co_ci_u32_e64 v66, null, s11, v5, vcc_lo
	v_add_co_u32 v10, vcc_lo, v10, 2
	v_add3_u32 v9, v9, v15, v12
	s_wait_alu 0xfffd
	v_add_co_ci_u32_e64 v11, null, 0, v11, vcc_lo
	v_lshlrev_b64_e32 v[4:5], 1, v[6:7]
	v_mul_lo_u32 v12, s7, v10
	v_lshlrev_b64_e32 v[6:7], 1, v[8:9]
	s_delay_alu instid0(VALU_DEP_4)
	v_mul_lo_u32 v11, s6, v11
	v_mad_co_u64_u32 v[8:9], null, s6, v10, 0
	v_add_co_u32 v67, vcc_lo, s8, v4
	s_wait_alu 0xfffd
	v_add_co_ci_u32_e64 v68, null, s9, v5, vcc_lo
	v_add_co_u32 v69, vcc_lo, s10, v4
	s_wait_alu 0xfffd
	v_add_co_ci_u32_e64 v70, null, s11, v5, vcc_lo
	;; [unrolled: 3-line block ×3, first 2 shown]
	v_add3_u32 v9, v9, v11, v12
	v_add_co_u32 v73, vcc_lo, s10, v6
	s_wait_alu 0xfffd
	v_add_co_ci_u32_e64 v74, null, s11, v7, vcc_lo
	v_add_co_u32 v2, vcc_lo, v2, s6
	s_wait_alu 0xfffd
	v_add_co_ci_u32_e64 v3, null, s7, v3, vcc_lo
	v_lshlrev_b64_e32 v[4:5], 1, v[8:9]
	s_wait_alu 0xfffe
	s_mul_u64 s[18:19], s[6:7], s[16:17]
	s_delay_alu instid0(VALU_DEP_2) | instskip(NEXT) | instid1(VALU_DEP_2)
	v_lshlrev_b64_e32 v[2:3], 1, v[2:3]
	v_add_co_u32 v75, vcc_lo, s8, v4
	s_wait_alu 0xfffd
	v_add_co_ci_u32_e64 v76, null, s9, v5, vcc_lo
	v_add_co_u32 v77, vcc_lo, s10, v4
	s_wait_alu 0xfffd
	v_add_co_ci_u32_e64 v78, null, s11, v5, vcc_lo
	;; [unrolled: 3-line block ×4, first 2 shown]
	s_add_nc_u64 s[8:9], s[0:1], 64
	s_wait_alu 0xfffe
	s_lshl_b64 s[10:11], s[18:19], 1
	s_add_nc_u64 s[18:19], s[14:15], 0xff
.LBB207_53:                             ; =>This Inner Loop Header: Depth=1
	s_wait_alu 0xfffe
	v_cmp_ge_i64_e64 s2, s[18:19], s[4:5]
	v_add_co_u32 v84, s20, v49, s18
	s_wait_alu 0xf1ff
	v_add_co_ci_u32_e64 v85, null, 0, s19, s20
                                        ; implicit-def: $vgpr86
	s_and_b32 vcc_lo, exec_lo, s2
	s_mov_b32 s2, -1
	s_wait_alu 0xfffe
	s_cbranch_vccz .LBB207_75
; %bb.54:                               ;   in Loop: Header=BB207_53 Depth=1
	s_load_b32 s2, s[8:9], 0xc
	v_mov_b32_e32 v87, 0
	s_wait_kmcnt 0x0
	s_and_b32 s2, s2, 0xffff
	s_wait_alu 0xfffe
	v_mad_u32_u24 v2, v48, s2, v50
	s_mov_b32 s2, exec_lo
	s_delay_alu instid0(VALU_DEP_1) | instskip(NEXT) | instid1(VALU_DEP_1)
	v_and_b32_e32 v2, 31, v2
	v_cmpx_gt_u32_e32 8, v2
	s_cbranch_execz .LBB207_58
; %bb.55:                               ;   in Loop: Header=BB207_53 Depth=1
	v_add_co_u32 v2, vcc_lo, v84, v2
	s_wait_alu 0xfffd
	v_add_co_ci_u32_e64 v3, null, 0, v85, vcc_lo
	v_mov_b32_e32 v87, 0
	s_delay_alu instid0(VALU_DEP_3) | instskip(SKIP_1) | instid1(VALU_DEP_3)
	v_add_co_u32 v2, vcc_lo, 0xffffff01, v2
	s_wait_alu 0xfffd
	v_add_co_ci_u32_e64 v3, null, -1, v3, vcc_lo
	s_mov_b32 s20, exec_lo
	v_cmpx_gt_i64_e64 s[4:5], v[2:3]
	s_cbranch_execz .LBB207_57
; %bb.56:                               ;   in Loop: Header=BB207_53 Depth=1
	v_lshlrev_b64_e32 v[2:3], 2, v[2:3]
	s_delay_alu instid0(VALU_DEP_1) | instskip(SKIP_1) | instid1(VALU_DEP_2)
	v_add_co_u32 v2, vcc_lo, s12, v2
	s_wait_alu 0xfffd
	v_add_co_ci_u32_e64 v3, null, s13, v3, vcc_lo
	global_load_b32 v87, v[2:3], off
.LBB207_57:                             ;   in Loop: Header=BB207_53 Depth=1
	s_wait_alu 0xfffe
	s_or_b32 exec_lo, exec_lo, s20
.LBB207_58:                             ;   in Loop: Header=BB207_53 Depth=1
	s_wait_alu 0xfffe
	s_or_b32 exec_lo, exec_lo, s2
	v_add_co_u32 v9, vcc_lo, 0xffffff01, v84
	s_wait_alu 0xfffd
	v_add_co_ci_u32_e64 v10, null, -1, v85, vcc_lo
	v_mov_b32_e32 v8, v1
	v_dual_mov_b32 v2, v1 :: v_dual_mov_b32 v3, v1
	v_dual_mov_b32 v4, v1 :: v_dual_mov_b32 v5, v1
	;; [unrolled: 1-line block ×3, first 2 shown]
	v_cmp_gt_i64_e32 vcc_lo, s[4:5], v[9:10]
	s_delay_alu instid0(VALU_DEP_3) | instskip(NEXT) | instid1(VALU_DEP_3)
	v_dual_mov_b32 v17, v8 :: v_dual_mov_b32 v14, v5
	v_dual_mov_b32 v15, v6 :: v_dual_mov_b32 v16, v7
	;; [unrolled: 1-line block ×4, first 2 shown]
	v_mov_b32_e32 v9, v8
	v_mov_b32_e32 v8, v7
	;; [unrolled: 1-line block ×8, first 2 shown]
	s_and_saveexec_b32 s2, vcc_lo
	s_cbranch_execz .LBB207_60
; %bb.59:                               ;   in Loop: Header=BB207_53 Depth=1
	v_add_co_u32 v2, vcc_lo, v51, v18
	s_wait_alu 0xfffd
	v_add_co_ci_u32_e64 v3, null, v52, v19, vcc_lo
	v_add_co_u32 v4, vcc_lo, v53, v18
	s_wait_alu 0xfffd
	v_add_co_ci_u32_e64 v5, null, v54, v19, vcc_lo
	global_load_u16 v2, v[2:3], off
	global_load_u16 v10, v[4:5], off
	v_dual_mov_b32 v3, v1 :: v_dual_mov_b32 v4, v1
	v_dual_mov_b32 v5, v1 :: v_dual_mov_b32 v6, v1
	v_dual_mov_b32 v7, v1 :: v_dual_mov_b32 v8, v1
	v_dual_mov_b32 v9, v1 :: v_dual_mov_b32 v12, v1
	v_dual_mov_b32 v11, v1 :: v_dual_mov_b32 v14, v1
	v_dual_mov_b32 v13, v1 :: v_dual_mov_b32 v16, v1
	v_mov_b32_e32 v15, v1
	s_wait_loadcnt 0x1
	v_dual_mov_b32 v17, v1 :: v_dual_lshlrev_b32 v2, 16, v2
	s_wait_loadcnt 0x0
	v_lshlrev_b32_e32 v10, 16, v10
.LBB207_60:                             ;   in Loop: Header=BB207_53 Depth=1
	s_wait_alu 0xfffe
	s_or_b32 exec_lo, exec_lo, s2
	v_add_co_u32 v88, vcc_lo, 0xffffff02, v84
	s_wait_alu 0xfffd
	v_add_co_ci_u32_e64 v89, null, -1, v85, vcc_lo
	s_mov_b32 s2, exec_lo
	v_cmpx_gt_i64_e64 s[4:5], v[88:89]
	s_cbranch_execz .LBB207_62
; %bb.61:                               ;   in Loop: Header=BB207_53 Depth=1
	v_add_co_u32 v88, vcc_lo, v79, v18
	s_wait_alu 0xfffd
	v_add_co_ci_u32_e64 v89, null, v80, v19, vcc_lo
	v_add_co_u32 v90, vcc_lo, v81, v18
	s_wait_alu 0xfffd
	v_add_co_ci_u32_e64 v91, null, v82, v19, vcc_lo
	global_load_u16 v3, v[88:89], off
	global_load_u16 v11, v[90:91], off
	s_wait_loadcnt 0x1
	v_lshlrev_b32_e32 v3, 16, v3
	s_wait_loadcnt 0x0
	v_lshlrev_b32_e32 v11, 16, v11
.LBB207_62:                             ;   in Loop: Header=BB207_53 Depth=1
	s_wait_alu 0xfffe
	s_or_b32 exec_lo, exec_lo, s2
	v_add_co_u32 v88, vcc_lo, 0xffffff03, v84
	s_wait_alu 0xfffd
	v_add_co_ci_u32_e64 v89, null, -1, v85, vcc_lo
	s_mov_b32 s2, exec_lo
	v_cmpx_gt_i64_e64 s[4:5], v[88:89]
	s_cbranch_execz .LBB207_64
; %bb.63:                               ;   in Loop: Header=BB207_53 Depth=1
	v_add_co_u32 v88, vcc_lo, v75, v18
	s_wait_alu 0xfffd
	v_add_co_ci_u32_e64 v89, null, v76, v19, vcc_lo
	v_add_co_u32 v90, vcc_lo, v77, v18
	s_wait_alu 0xfffd
	v_add_co_ci_u32_e64 v91, null, v78, v19, vcc_lo
	global_load_u16 v4, v[88:89], off
	global_load_u16 v12, v[90:91], off
	s_wait_loadcnt 0x1
	v_lshlrev_b32_e32 v4, 16, v4
	s_wait_loadcnt 0x0
	v_lshlrev_b32_e32 v12, 16, v12
.LBB207_64:                             ;   in Loop: Header=BB207_53 Depth=1
	;; [unrolled: 22-line block ×7, first 2 shown]
	s_wait_alu 0xfffe
	s_or_b32 exec_lo, exec_lo, s2
	s_wait_loadcnt 0x0
	ds_bpermute_b32 v86, v1, v87
	ds_bpermute_b32 v88, v1, v87 offset:4
	ds_bpermute_b32 v89, v1, v87 offset:8
	v_dual_mul_f32 v2, v10, v2 :: v_dual_mul_f32 v3, v11, v3
	ds_bpermute_b32 v10, v1, v87 offset:12
	ds_bpermute_b32 v11, v1, v87 offset:16
	s_mov_b32 s2, 0
	s_wait_dscnt 0x4
	v_fma_f32 v86, v2, v86, v83
	v_mul_f32_e32 v2, v12, v4
	ds_bpermute_b32 v4, v1, v87 offset:20
	s_wait_dscnt 0x4
	v_dual_fmac_f32 v86, v3, v88 :: v_dual_mul_f32 v3, v13, v5
	ds_bpermute_b32 v5, v1, v87 offset:24
	s_wait_dscnt 0x4
	v_fmac_f32_e32 v86, v2, v89
	v_mul_f32_e32 v2, v14, v6
	v_mul_f32_e32 v6, v15, v7
	s_wait_dscnt 0x3
	s_delay_alu instid0(VALU_DEP_3)
	v_fmac_f32_e32 v86, v3, v10
	ds_bpermute_b32 v3, v1, v87 offset:28
	s_wait_dscnt 0x3
	v_fmac_f32_e32 v86, v2, v11
	v_mul_f32_e32 v2, v16, v8
	s_wait_dscnt 0x2
	s_delay_alu instid0(VALU_DEP_2) | instskip(SKIP_1) | instid1(VALU_DEP_1)
	v_fmac_f32_e32 v86, v6, v4
	s_wait_dscnt 0x1
	v_fmac_f32_e32 v86, v2, v5
	v_mul_f32_e32 v2, v17, v9
	s_wait_dscnt 0x0
	s_delay_alu instid0(VALU_DEP_1)
	v_fmac_f32_e32 v86, v2, v3
.LBB207_75:                             ;   in Loop: Header=BB207_53 Depth=1
	s_wait_alu 0xfffe
	s_and_b32 vcc_lo, exec_lo, s2
	s_wait_alu 0xfffe
	s_cbranch_vccz .LBB207_81
; %bb.76:                               ;   in Loop: Header=BB207_53 Depth=1
	s_load_b32 s2, s[8:9], 0x0
	v_mov_b32_e32 v4, 0
	s_wait_kmcnt 0x0
	s_cmp_lt_u32 ttmp9, s2
	s_cselect_b32 s2, 12, 18
	s_wait_alu 0xfffe
	s_add_nc_u64 s[20:21], s[8:9], s[2:3]
	s_load_u16 s2, s[20:21], 0x0
	s_wait_kmcnt 0x0
	v_mad_u32_u24 v2, v48, s2, v50
	s_mov_b32 s2, exec_lo
	s_delay_alu instid0(VALU_DEP_1) | instskip(NEXT) | instid1(VALU_DEP_1)
	v_and_b32_e32 v2, 31, v2
	v_cmpx_gt_u32_e32 8, v2
	s_cbranch_execz .LBB207_80
; %bb.77:                               ;   in Loop: Header=BB207_53 Depth=1
	v_add_co_u32 v2, vcc_lo, v84, v2
	s_wait_alu 0xfffd
	v_add_co_ci_u32_e64 v3, null, 0, v85, vcc_lo
	v_mov_b32_e32 v4, 0
	s_delay_alu instid0(VALU_DEP_3) | instskip(SKIP_1) | instid1(VALU_DEP_3)
	v_add_co_u32 v2, vcc_lo, 0xffffff01, v2
	s_wait_alu 0xfffd
	v_add_co_ci_u32_e64 v3, null, -1, v3, vcc_lo
	s_mov_b32 s20, exec_lo
	v_cmpx_gt_i64_e64 s[4:5], v[2:3]
	s_cbranch_execz .LBB207_79
; %bb.78:                               ;   in Loop: Header=BB207_53 Depth=1
	v_lshlrev_b64_e32 v[2:3], 2, v[2:3]
	s_delay_alu instid0(VALU_DEP_1) | instskip(SKIP_1) | instid1(VALU_DEP_2)
	v_add_co_u32 v2, vcc_lo, s12, v2
	s_wait_alu 0xfffd
	v_add_co_ci_u32_e64 v3, null, s13, v3, vcc_lo
	global_load_b32 v4, v[2:3], off
.LBB207_79:                             ;   in Loop: Header=BB207_53 Depth=1
	s_wait_alu 0xfffe
	s_or_b32 exec_lo, exec_lo, s20
.LBB207_80:                             ;   in Loop: Header=BB207_53 Depth=1
	s_wait_alu 0xfffe
	s_or_b32 exec_lo, exec_lo, s2
	v_add_co_u32 v2, vcc_lo, v51, v18
	s_wait_alu 0xfffd
	v_add_co_ci_u32_e64 v3, null, v52, v19, vcc_lo
	v_add_co_u32 v5, vcc_lo, v53, v18
	s_wait_alu 0xfffd
	v_add_co_ci_u32_e64 v6, null, v54, v19, vcc_lo
	;; [unrolled: 3-line block ×4, first 2 shown]
	global_load_u16 v13, v[2:3], off
	global_load_u16 v14, v[5:6], off
	;; [unrolled: 1-line block ×4, first 2 shown]
	v_add_co_u32 v2, vcc_lo, v22, v18
	s_wait_alu 0xfffd
	v_add_co_ci_u32_e64 v3, null, v23, v19, vcc_lo
	v_add_co_u32 v5, vcc_lo, v36, v18
	s_wait_alu 0xfffd
	v_add_co_ci_u32_e64 v6, null, v37, v19, vcc_lo
	global_load_u16 v17, v[2:3], off
	v_add_co_u32 v2, vcc_lo, v24, v18
	s_wait_alu 0xfffd
	v_add_co_ci_u32_e64 v3, null, v25, v19, vcc_lo
	v_add_co_u32 v7, vcc_lo, v38, v18
	s_wait_alu 0xfffd
	v_add_co_ci_u32_e64 v8, null, v39, v19, vcc_lo
	;; [unrolled: 3-line block ×4, first 2 shown]
	global_load_u16 v84, v[5:6], off
	global_load_u16 v85, v[2:3], off
	;; [unrolled: 1-line block ×5, first 2 shown]
	v_add_co_u32 v2, vcc_lo, v28, v18
	s_wait_alu 0xfffd
	v_add_co_ci_u32_e64 v3, null, v29, v19, vcc_lo
	v_add_co_u32 v5, vcc_lo, v42, v18
	s_wait_alu 0xfffd
	v_add_co_ci_u32_e64 v6, null, v43, v19, vcc_lo
	;; [unrolled: 3-line block ×4, first 2 shown]
	global_load_u16 v12, v[2:3], off
	global_load_u16 v88, v[5:6], off
	;; [unrolled: 1-line block ×4, first 2 shown]
	v_add_co_u32 v2, vcc_lo, v46, v18
	s_wait_alu 0xfffd
	v_add_co_ci_u32_e64 v3, null, v47, v19, vcc_lo
	v_add_co_u32 v5, vcc_lo, v32, v18
	s_wait_alu 0xfffd
	v_add_co_ci_u32_e64 v6, null, v33, v19, vcc_lo
	global_load_u16 v2, v[2:3], off
	global_load_u16 v3, v[5:6], off
	s_wait_loadcnt 0x10
	ds_bpermute_b32 v5, v1, v4
	ds_bpermute_b32 v6, v1, v4 offset:4
	ds_bpermute_b32 v9, v1, v4 offset:8
	s_wait_loadcnt 0xd
	v_lshlrev_b32_e32 v15, 16, v15
	s_wait_loadcnt 0xc
	v_lshlrev_b32_e32 v16, 16, v16
	v_lshlrev_b32_e32 v10, 16, v14
	ds_bpermute_b32 v14, v1, v4 offset:12
	v_mul_f32_e32 v15, v15, v16
	s_wait_loadcnt 0x6
	v_lshlrev_b32_e32 v11, 16, v11
	v_lshlrev_b32_e32 v16, 16, v85
	;; [unrolled: 1-line block ×3, first 2 shown]
	s_delay_alu instid0(VALU_DEP_1)
	v_mul_f32_e32 v10, v13, v10
	ds_bpermute_b32 v13, v1, v4 offset:16
	s_wait_dscnt 0x4
	v_dual_fmac_f32 v83, v10, v5 :: v_dual_lshlrev_b32 v84, 16, v84
	ds_bpermute_b32 v5, v1, v4 offset:20
	s_wait_loadcnt 0x5
	v_lshlrev_b32_e32 v12, 16, v12
	s_wait_loadcnt 0x3
	v_lshlrev_b32_e32 v7, 16, v7
	s_wait_dscnt 0x4
	v_fmac_f32_e32 v83, v15, v6
	v_lshlrev_b32_e32 v15, 16, v87
	ds_bpermute_b32 v6, v1, v4 offset:24
	ds_bpermute_b32 v4, v1, v4 offset:28
	s_wait_loadcnt 0x2
	v_dual_mul_f32 v11, v15, v11 :: v_dual_lshlrev_b32 v8, 16, v8
	s_wait_loadcnt 0x1
	s_delay_alu instid0(VALU_DEP_1) | instskip(SKIP_2) | instid1(VALU_DEP_1)
	v_dual_mul_f32 v7, v7, v8 :: v_dual_lshlrev_b32 v2, 16, v2
	s_wait_loadcnt 0x0
	v_lshlrev_b32_e32 v3, 16, v3
	v_dual_mul_f32 v2, v3, v2 :: v_dual_lshlrev_b32 v17, 16, v17
	s_delay_alu instid0(VALU_DEP_1) | instskip(SKIP_1) | instid1(VALU_DEP_1)
	v_dual_mul_f32 v17, v17, v84 :: v_dual_lshlrev_b32 v10, 16, v86
	s_wait_dscnt 0x5
	v_dual_mul_f32 v10, v16, v10 :: v_dual_fmac_f32 v83, v17, v9
	v_lshlrev_b32_e32 v9, 16, v88
	s_wait_dscnt 0x4
	s_delay_alu instid0(VALU_DEP_2) | instskip(NEXT) | instid1(VALU_DEP_2)
	v_fmac_f32_e32 v83, v10, v14
	v_mul_f32_e32 v9, v12, v9
	s_wait_dscnt 0x3
	s_delay_alu instid0(VALU_DEP_2) | instskip(SKIP_1) | instid1(VALU_DEP_1)
	v_fmac_f32_e32 v83, v11, v13
	s_wait_dscnt 0x2
	v_fmac_f32_e32 v83, v9, v5
	s_wait_dscnt 0x1
	s_delay_alu instid0(VALU_DEP_1) | instskip(SKIP_1) | instid1(VALU_DEP_1)
	v_fmac_f32_e32 v83, v7, v6
	s_wait_dscnt 0x0
	v_fmac_f32_e32 v83, v2, v4
	s_delay_alu instid0(VALU_DEP_1)
	v_mov_b32_e32 v86, v83
.LBB207_81:                             ;   in Loop: Header=BB207_53 Depth=1
	v_add_co_u32 v51, vcc_lo, v51, s10
	s_wait_alu 0xfffd
	v_add_co_ci_u32_e64 v52, null, s11, v52, vcc_lo
	v_add_co_u32 v53, vcc_lo, v53, s10
	s_wait_alu 0xfffd
	v_add_co_ci_u32_e64 v54, null, s11, v54, vcc_lo
	;; [unrolled: 3-line block ×27, first 2 shown]
	v_add_co_u32 v77, vcc_lo, v77, s10
	s_add_nc_u64 s[14:15], s[14:15], s[16:17]
	s_wait_alu 0xfffd
	v_add_co_ci_u32_e64 v78, null, s11, v78, vcc_lo
	v_add_co_u32 v79, vcc_lo, v79, s10
	s_wait_alu 0xfffe
	v_cmp_ge_i64_e64 s2, s[14:15], s[4:5]
	s_wait_alu 0xfffd
	v_add_co_ci_u32_e64 v80, null, s11, v80, vcc_lo
	v_add_co_u32 v81, vcc_lo, v81, s10
	s_wait_alu 0xfffd
	v_add_co_ci_u32_e64 v82, null, s11, v82, vcc_lo
	s_and_b32 vcc_lo, exec_lo, s2
	s_add_nc_u64 s[18:19], s[18:19], s[16:17]
	s_wait_alu 0xfffe
	s_cbranch_vccnz .LBB207_83
; %bb.82:                               ;   in Loop: Header=BB207_53 Depth=1
	v_mov_b32_e32 v83, v86
	s_branch .LBB207_53
.LBB207_83:
	v_and_b32_e32 v2, 0x3ff, v0
	v_bfe_u32 v1, v0, 10, 10
	v_bfe_u32 v0, v0, 5, 5
	s_mov_b32 s3, 0
	s_mov_b32 s2, exec_lo
	s_delay_alu instid0(VALU_DEP_2) | instskip(NEXT) | instid1(VALU_DEP_2)
	v_mad_u32_u24 v3, v1, 33, v2
	v_add_nc_u32_e32 v0, v0, v1
	s_delay_alu instid0(VALU_DEP_2)
	v_lshl_add_u32 v1, v3, 2, 0
	v_mov_b32_e32 v3, 0
	ds_store_b32 v1, v86
	ds_store_b32 v1, v3 offset:4224
	s_wait_dscnt 0x0
	s_barrier_signal -1
	s_barrier_wait -1
	global_inv scope:SCOPE_SE
	v_cmpx_gt_u32_e32 32, v0
	s_cbranch_execz .LBB207_86
; %bb.84:
	v_and_b32_e32 v1, 31, v2
	v_lshlrev_b32_e32 v3, 2, v0
	s_load_b64 s[4:5], s[0:1], 0x30
	s_mov_b32 s2, ttmp9
	s_wait_alu 0xfffe
	s_lshl_b64 s[0:1], s[2:3], 5
	v_mul_u32_u24_e32 v1, 0x84, v1
	v_or_b32_e32 v0, s0, v0
	v_cmp_eq_u32_e64 s0, 0, v2
	s_delay_alu instid0(VALU_DEP_3) | instskip(SKIP_4) | instid1(VALU_DEP_2)
	v_add3_u32 v1, 0, v3, v1
	v_mbcnt_lo_u32_b32 v3, -1, 0
	ds_load_b32 v1, v1
	v_xor_b32_e32 v4, 16, v3
	v_xor_b32_e32 v5, 8, v3
	v_cmp_gt_i32_e32 vcc_lo, 32, v4
	s_wait_kmcnt 0x0
	s_cmp_lg_u64 s[4:5], 0
	s_wait_alu 0xfffd
	v_cndmask_b32_e32 v4, v3, v4, vcc_lo
	v_cmp_gt_i32_e32 vcc_lo, 32, v5
	s_wait_alu 0xfffd
	s_delay_alu instid0(VALU_DEP_2)
	v_dual_cndmask_b32 v5, v3, v5 :: v_dual_lshlrev_b32 v4, 2, v4
	s_wait_dscnt 0x0
	ds_bpermute_b32 v4, v4, v1
	v_lshlrev_b32_e32 v5, 2, v5
	s_wait_dscnt 0x0
	v_add_f32_e32 v1, v1, v4
	ds_bpermute_b32 v4, v5, v1
	v_xor_b32_e32 v5, 4, v3
	s_delay_alu instid0(VALU_DEP_1) | instskip(SKIP_2) | instid1(VALU_DEP_1)
	v_cmp_gt_i32_e32 vcc_lo, 32, v5
	s_wait_alu 0xfffd
	v_cndmask_b32_e32 v5, v3, v5, vcc_lo
	v_lshlrev_b32_e32 v5, 2, v5
	s_wait_dscnt 0x0
	v_add_f32_e32 v1, v1, v4
	ds_bpermute_b32 v4, v5, v1
	v_xor_b32_e32 v5, 2, v3
	s_delay_alu instid0(VALU_DEP_1) | instskip(SKIP_2) | instid1(VALU_DEP_1)
	v_cmp_gt_i32_e32 vcc_lo, 32, v5
	s_wait_alu 0xfffd
	v_cndmask_b32_e32 v5, v3, v5, vcc_lo
	v_lshlrev_b32_e32 v5, 2, v5
	s_wait_dscnt 0x0
	v_add_f32_e32 v1, v1, v4
	ds_bpermute_b32 v4, v5, v1
	v_xor_b32_e32 v5, 1, v3
	s_delay_alu instid0(VALU_DEP_1) | instskip(SKIP_4) | instid1(VALU_DEP_2)
	v_cmp_gt_i32_e32 vcc_lo, 32, v5
	s_wait_alu 0xfffd
	v_cndmask_b32_e32 v5, v3, v5, vcc_lo
	s_wait_dscnt 0x0
	v_add_f32_e32 v3, v1, v4
	v_lshlrev_b32_e32 v1, 2, v5
	ds_bpermute_b32 v4, v1, v3
	v_mov_b32_e32 v1, s1
	s_cselect_b32 s1, -1, 0
	s_delay_alu instid0(VALU_DEP_1)
	v_cmp_gt_i64_e32 vcc_lo, s[6:7], v[0:1]
	s_and_b32 s0, s0, vcc_lo
	s_wait_alu 0xfffe
	s_and_b32 s0, s1, s0
	s_wait_alu 0xfffe
	s_and_b32 exec_lo, exec_lo, s0
	s_cbranch_execz .LBB207_86
; %bb.85:
	s_wait_dscnt 0x0
	v_add_f32_e32 v2, v3, v4
	v_lshlrev_b64_e32 v[0:1], 1, v[0:1]
	s_delay_alu instid0(VALU_DEP_2) | instskip(SKIP_1) | instid1(VALU_DEP_2)
	v_bfe_u32 v3, v2, 16, 1
	v_cmp_o_f32_e32 vcc_lo, v2, v2
	v_add3_u32 v3, v2, v3, 0x7fff
	s_delay_alu instid0(VALU_DEP_1) | instskip(SKIP_1) | instid1(VALU_DEP_1)
	v_lshrrev_b32_e32 v3, 16, v3
	s_wait_alu 0xfffd
	v_cndmask_b32_e32 v2, 0x7fc0, v3, vcc_lo
	v_add_co_u32 v0, vcc_lo, s4, v0
	s_wait_alu 0xfffd
	v_add_co_ci_u32_e64 v1, null, s5, v1, vcc_lo
	global_store_b16 v[0:1], v2, off
.LBB207_86:
	s_endpgm
	.section	.rodata,"a",@progbits
	.p2align	6, 0x0
	.amdhsa_kernel _ZN2at6native12_GLOBAL__N_135GammaBetaBackwardCUDAKernelTemplateIN3c108BFloat16EfLj32ELj32ELj256ELb0ELb0ELb1EEEvllPKT_S7_PKT0_SA_PS5_SB_
		.amdhsa_group_segment_fixed_size 0
		.amdhsa_private_segment_fixed_size 0
		.amdhsa_kernarg_size 320
		.amdhsa_user_sgpr_count 2
		.amdhsa_user_sgpr_dispatch_ptr 0
		.amdhsa_user_sgpr_queue_ptr 0
		.amdhsa_user_sgpr_kernarg_segment_ptr 1
		.amdhsa_user_sgpr_dispatch_id 0
		.amdhsa_user_sgpr_private_segment_size 0
		.amdhsa_wavefront_size32 1
		.amdhsa_uses_dynamic_stack 0
		.amdhsa_enable_private_segment 0
		.amdhsa_system_sgpr_workgroup_id_x 1
		.amdhsa_system_sgpr_workgroup_id_y 1
		.amdhsa_system_sgpr_workgroup_id_z 0
		.amdhsa_system_sgpr_workgroup_info 0
		.amdhsa_system_vgpr_workitem_id 1
		.amdhsa_next_free_vgpr 92
		.amdhsa_next_free_sgpr 32
		.amdhsa_reserve_vcc 1
		.amdhsa_float_round_mode_32 0
		.amdhsa_float_round_mode_16_64 0
		.amdhsa_float_denorm_mode_32 3
		.amdhsa_float_denorm_mode_16_64 3
		.amdhsa_fp16_overflow 0
		.amdhsa_workgroup_processor_mode 1
		.amdhsa_memory_ordered 1
		.amdhsa_forward_progress 1
		.amdhsa_inst_pref_size 75
		.amdhsa_round_robin_scheduling 0
		.amdhsa_exception_fp_ieee_invalid_op 0
		.amdhsa_exception_fp_denorm_src 0
		.amdhsa_exception_fp_ieee_div_zero 0
		.amdhsa_exception_fp_ieee_overflow 0
		.amdhsa_exception_fp_ieee_underflow 0
		.amdhsa_exception_fp_ieee_inexact 0
		.amdhsa_exception_int_div_zero 0
	.end_amdhsa_kernel
	.section	.text._ZN2at6native12_GLOBAL__N_135GammaBetaBackwardCUDAKernelTemplateIN3c108BFloat16EfLj32ELj32ELj256ELb0ELb0ELb1EEEvllPKT_S7_PKT0_SA_PS5_SB_,"axG",@progbits,_ZN2at6native12_GLOBAL__N_135GammaBetaBackwardCUDAKernelTemplateIN3c108BFloat16EfLj32ELj32ELj256ELb0ELb0ELb1EEEvllPKT_S7_PKT0_SA_PS5_SB_,comdat
.Lfunc_end207:
	.size	_ZN2at6native12_GLOBAL__N_135GammaBetaBackwardCUDAKernelTemplateIN3c108BFloat16EfLj32ELj32ELj256ELb0ELb0ELb1EEEvllPKT_S7_PKT0_SA_PS5_SB_, .Lfunc_end207-_ZN2at6native12_GLOBAL__N_135GammaBetaBackwardCUDAKernelTemplateIN3c108BFloat16EfLj32ELj32ELj256ELb0ELb0ELb1EEEvllPKT_S7_PKT0_SA_PS5_SB_
                                        ; -- End function
	.set _ZN2at6native12_GLOBAL__N_135GammaBetaBackwardCUDAKernelTemplateIN3c108BFloat16EfLj32ELj32ELj256ELb0ELb0ELb1EEEvllPKT_S7_PKT0_SA_PS5_SB_.num_vgpr, 92
	.set _ZN2at6native12_GLOBAL__N_135GammaBetaBackwardCUDAKernelTemplateIN3c108BFloat16EfLj32ELj32ELj256ELb0ELb0ELb1EEEvllPKT_S7_PKT0_SA_PS5_SB_.num_agpr, 0
	.set _ZN2at6native12_GLOBAL__N_135GammaBetaBackwardCUDAKernelTemplateIN3c108BFloat16EfLj32ELj32ELj256ELb0ELb0ELb1EEEvllPKT_S7_PKT0_SA_PS5_SB_.numbered_sgpr, 32
	.set _ZN2at6native12_GLOBAL__N_135GammaBetaBackwardCUDAKernelTemplateIN3c108BFloat16EfLj32ELj32ELj256ELb0ELb0ELb1EEEvllPKT_S7_PKT0_SA_PS5_SB_.num_named_barrier, 0
	.set _ZN2at6native12_GLOBAL__N_135GammaBetaBackwardCUDAKernelTemplateIN3c108BFloat16EfLj32ELj32ELj256ELb0ELb0ELb1EEEvllPKT_S7_PKT0_SA_PS5_SB_.private_seg_size, 0
	.set _ZN2at6native12_GLOBAL__N_135GammaBetaBackwardCUDAKernelTemplateIN3c108BFloat16EfLj32ELj32ELj256ELb0ELb0ELb1EEEvllPKT_S7_PKT0_SA_PS5_SB_.uses_vcc, 1
	.set _ZN2at6native12_GLOBAL__N_135GammaBetaBackwardCUDAKernelTemplateIN3c108BFloat16EfLj32ELj32ELj256ELb0ELb0ELb1EEEvllPKT_S7_PKT0_SA_PS5_SB_.uses_flat_scratch, 0
	.set _ZN2at6native12_GLOBAL__N_135GammaBetaBackwardCUDAKernelTemplateIN3c108BFloat16EfLj32ELj32ELj256ELb0ELb0ELb1EEEvllPKT_S7_PKT0_SA_PS5_SB_.has_dyn_sized_stack, 0
	.set _ZN2at6native12_GLOBAL__N_135GammaBetaBackwardCUDAKernelTemplateIN3c108BFloat16EfLj32ELj32ELj256ELb0ELb0ELb1EEEvllPKT_S7_PKT0_SA_PS5_SB_.has_recursion, 0
	.set _ZN2at6native12_GLOBAL__N_135GammaBetaBackwardCUDAKernelTemplateIN3c108BFloat16EfLj32ELj32ELj256ELb0ELb0ELb1EEEvllPKT_S7_PKT0_SA_PS5_SB_.has_indirect_call, 0
	.section	.AMDGPU.csdata,"",@progbits
; Kernel info:
; codeLenInByte = 9524
; TotalNumSgprs: 34
; NumVgprs: 92
; ScratchSize: 0
; MemoryBound: 0
; FloatMode: 240
; IeeeMode: 1
; LDSByteSize: 0 bytes/workgroup (compile time only)
; SGPRBlocks: 0
; VGPRBlocks: 11
; NumSGPRsForWavesPerEU: 34
; NumVGPRsForWavesPerEU: 92
; Occupancy: 16
; WaveLimiterHint : 0
; COMPUTE_PGM_RSRC2:SCRATCH_EN: 0
; COMPUTE_PGM_RSRC2:USER_SGPR: 2
; COMPUTE_PGM_RSRC2:TRAP_HANDLER: 0
; COMPUTE_PGM_RSRC2:TGID_X_EN: 1
; COMPUTE_PGM_RSRC2:TGID_Y_EN: 1
; COMPUTE_PGM_RSRC2:TGID_Z_EN: 0
; COMPUTE_PGM_RSRC2:TIDIG_COMP_CNT: 1
	.section	.AMDGPU.gpr_maximums,"",@progbits
	.set amdgpu.max_num_vgpr, 0
	.set amdgpu.max_num_agpr, 0
	.set amdgpu.max_num_sgpr, 0
	.section	.AMDGPU.csdata,"",@progbits
	.type	__hip_cuid_b463a9f95ca6d4f4,@object ; @__hip_cuid_b463a9f95ca6d4f4
	.section	.bss,"aw",@nobits
	.globl	__hip_cuid_b463a9f95ca6d4f4
__hip_cuid_b463a9f95ca6d4f4:
	.byte	0                               ; 0x0
	.size	__hip_cuid_b463a9f95ca6d4f4, 1

	.ident	"AMD clang version 22.0.0git (https://github.com/RadeonOpenCompute/llvm-project roc-7.2.4 26084 f58b06dce1f9c15707c5f808fd002e18c2accf7e)"
	.section	".note.GNU-stack","",@progbits
	.addrsig
	.addrsig_sym __hip_cuid_b463a9f95ca6d4f4
	.amdgpu_metadata
---
amdhsa.kernels:
  - .args:
      - .offset:         0
        .size:           4
        .value_kind:     by_value
      - .offset:         8
        .size:           8
        .value_kind:     by_value
      - .actual_access:  read_only
        .address_space:  global
        .offset:         16
        .size:           8
        .value_kind:     global_buffer
      - .address_space:  global
        .offset:         24
        .size:           8
        .value_kind:     global_buffer
      - .address_space:  global
        .offset:         32
        .size:           8
        .value_kind:     global_buffer
      - .address_space:  global
        .offset:         40
        .size:           8
        .value_kind:     global_buffer
      - .address_space:  global
        .offset:         48
        .size:           8
        .value_kind:     global_buffer
      - .address_space:  global
        .offset:         56
        .size:           8
        .value_kind:     global_buffer
    .group_segment_fixed_size: 0
    .kernarg_segment_align: 8
    .kernarg_segment_size: 64
    .language:       OpenCL C
    .language_version:
      - 2
      - 0
    .max_flat_workgroup_size: 1024
    .name:           _ZN2at6native12_GLOBAL__N_128vectorized_layer_norm_kernelIddLb0EEEviT0_PKT_S6_S6_PS3_S7_PS4_
    .private_segment_fixed_size: 0
    .sgpr_count:     0
    .sgpr_spill_count: 0
    .symbol:         _ZN2at6native12_GLOBAL__N_128vectorized_layer_norm_kernelIddLb0EEEviT0_PKT_S6_S6_PS3_S7_PS4_.kd
    .uniform_work_group_size: 1
    .uses_dynamic_stack: false
    .vgpr_count:     0
    .vgpr_spill_count: 0
    .wavefront_size: 32
    .workgroup_processor_mode: 1
  - .args:
      - .offset:         0
        .size:           8
        .value_kind:     by_value
      - .offset:         8
        .size:           8
        .value_kind:     by_value
      - .address_space:  global
        .offset:         16
        .size:           8
        .value_kind:     global_buffer
      - .address_space:  global
        .offset:         24
        .size:           8
        .value_kind:     global_buffer
      - .address_space:  global
        .offset:         32
        .size:           8
        .value_kind:     global_buffer
      - .offset:         40
        .size:           4
        .value_kind:     hidden_block_count_x
      - .offset:         44
        .size:           4
        .value_kind:     hidden_block_count_y
      - .offset:         48
        .size:           4
        .value_kind:     hidden_block_count_z
      - .offset:         52
        .size:           2
        .value_kind:     hidden_group_size_x
      - .offset:         54
        .size:           2
        .value_kind:     hidden_group_size_y
      - .offset:         56
        .size:           2
        .value_kind:     hidden_group_size_z
      - .offset:         58
        .size:           2
        .value_kind:     hidden_remainder_x
      - .offset:         60
        .size:           2
        .value_kind:     hidden_remainder_y
      - .offset:         62
        .size:           2
        .value_kind:     hidden_remainder_z
      - .offset:         80
        .size:           8
        .value_kind:     hidden_global_offset_x
      - .offset:         88
        .size:           8
        .value_kind:     hidden_global_offset_y
      - .offset:         96
        .size:           8
        .value_kind:     hidden_global_offset_z
      - .offset:         104
        .size:           2
        .value_kind:     hidden_grid_dims
    .group_segment_fixed_size: 1024
    .kernarg_segment_align: 8
    .kernarg_segment_size: 296
    .language:       OpenCL C
    .language_version:
      - 2
      - 0
    .max_flat_workgroup_size: 1024
    .name:           _ZN2at6native12_GLOBAL__N_124RowwiseMomentsCUDAKernelIddLb0EEEvlT0_PKT_PS3_S7_
    .private_segment_fixed_size: 0
    .sgpr_count:     21
    .sgpr_spill_count: 0
    .symbol:         _ZN2at6native12_GLOBAL__N_124RowwiseMomentsCUDAKernelIddLb0EEEvlT0_PKT_PS3_S7_.kd
    .uniform_work_group_size: 1
    .uses_dynamic_stack: false
    .vgpr_count:     30
    .vgpr_spill_count: 0
    .wavefront_size: 32
    .workgroup_processor_mode: 1
  - .args:
      - .offset:         0
        .size:           8
        .value_kind:     by_value
      - .address_space:  global
        .offset:         8
        .size:           8
        .value_kind:     global_buffer
      - .address_space:  global
        .offset:         16
        .size:           8
        .value_kind:     global_buffer
      - .address_space:  global
        .offset:         24
        .size:           8
        .value_kind:     global_buffer
      - .address_space:  global
        .offset:         32
        .size:           8
        .value_kind:     global_buffer
      - .address_space:  global
        .offset:         40
        .size:           8
        .value_kind:     global_buffer
      - .address_space:  global
        .offset:         48
        .size:           8
        .value_kind:     global_buffer
      - .offset:         56
        .size:           4
        .value_kind:     hidden_block_count_x
      - .offset:         60
        .size:           4
        .value_kind:     hidden_block_count_y
      - .offset:         64
        .size:           4
        .value_kind:     hidden_block_count_z
      - .offset:         68
        .size:           2
        .value_kind:     hidden_group_size_x
      - .offset:         70
        .size:           2
        .value_kind:     hidden_group_size_y
      - .offset:         72
        .size:           2
        .value_kind:     hidden_group_size_z
      - .offset:         74
        .size:           2
        .value_kind:     hidden_remainder_x
      - .offset:         76
        .size:           2
        .value_kind:     hidden_remainder_y
      - .offset:         78
        .size:           2
        .value_kind:     hidden_remainder_z
      - .offset:         96
        .size:           8
        .value_kind:     hidden_global_offset_x
      - .offset:         104
        .size:           8
        .value_kind:     hidden_global_offset_y
      - .offset:         112
        .size:           8
        .value_kind:     hidden_global_offset_z
      - .offset:         120
        .size:           2
        .value_kind:     hidden_grid_dims
    .group_segment_fixed_size: 0
    .kernarg_segment_align: 8
    .kernarg_segment_size: 312
    .language:       OpenCL C
    .language_version:
      - 2
      - 0
    .max_flat_workgroup_size: 1024
    .name:           _ZN2at6native12_GLOBAL__N_126LayerNormForwardCUDAKernelIddLb0EEEvlPKT_PKT0_S8_S5_S5_PS3_
    .private_segment_fixed_size: 0
    .sgpr_count:     26
    .sgpr_spill_count: 0
    .symbol:         _ZN2at6native12_GLOBAL__N_126LayerNormForwardCUDAKernelIddLb0EEEvlPKT_PKT0_S8_S5_S5_PS3_.kd
    .uniform_work_group_size: 1
    .uses_dynamic_stack: false
    .vgpr_count:     16
    .vgpr_spill_count: 0
    .wavefront_size: 32
    .workgroup_processor_mode: 1
  - .args:
      - .offset:         0
        .size:           4
        .value_kind:     by_value
      - .offset:         4
        .size:           4
        .value_kind:     by_value
      - .actual_access:  read_only
        .address_space:  global
        .offset:         8
        .size:           8
        .value_kind:     global_buffer
      - .address_space:  global
        .offset:         16
        .size:           8
        .value_kind:     global_buffer
      - .address_space:  global
        .offset:         24
        .size:           8
        .value_kind:     global_buffer
      - .address_space:  global
        .offset:         32
        .size:           8
        .value_kind:     global_buffer
      - .address_space:  global
        .offset:         40
        .size:           8
        .value_kind:     global_buffer
      - .address_space:  global
        .offset:         48
        .size:           8
        .value_kind:     global_buffer
      - .offset:         56
        .size:           4
        .value_kind:     hidden_block_count_x
      - .offset:         60
        .size:           4
        .value_kind:     hidden_block_count_y
      - .offset:         64
        .size:           4
        .value_kind:     hidden_block_count_z
      - .offset:         68
        .size:           2
        .value_kind:     hidden_group_size_x
      - .offset:         70
        .size:           2
        .value_kind:     hidden_group_size_y
      - .offset:         72
        .size:           2
        .value_kind:     hidden_group_size_z
      - .offset:         74
        .size:           2
        .value_kind:     hidden_remainder_x
      - .offset:         76
        .size:           2
        .value_kind:     hidden_remainder_y
      - .offset:         78
        .size:           2
        .value_kind:     hidden_remainder_z
      - .offset:         96
        .size:           8
        .value_kind:     hidden_global_offset_x
      - .offset:         104
        .size:           8
        .value_kind:     hidden_global_offset_y
      - .offset:         112
        .size:           8
        .value_kind:     hidden_global_offset_z
      - .offset:         120
        .size:           2
        .value_kind:     hidden_grid_dims
      - .offset:         176
        .size:           4
        .value_kind:     hidden_dynamic_lds_size
    .group_segment_fixed_size: 0
    .kernarg_segment_align: 8
    .kernarg_segment_size: 312
    .language:       OpenCL C
    .language_version:
      - 2
      - 0
    .max_flat_workgroup_size: 1024
    .name:           _ZN2at6native12_GLOBAL__N_128vectorized_layer_norm_kernelIffLb0EEEviT0_PKT_S6_S6_PS3_S7_PS4_
    .private_segment_fixed_size: 0
    .sgpr_count:     27
    .sgpr_spill_count: 0
    .symbol:         _ZN2at6native12_GLOBAL__N_128vectorized_layer_norm_kernelIffLb0EEEviT0_PKT_S6_S6_PS3_S7_PS4_.kd
    .uniform_work_group_size: 1
    .uses_dynamic_stack: false
    .vgpr_count:     31
    .vgpr_spill_count: 0
    .wavefront_size: 32
    .workgroup_processor_mode: 1
  - .args:
      - .offset:         0
        .size:           8
        .value_kind:     by_value
      - .offset:         8
        .size:           4
        .value_kind:     by_value
      - .address_space:  global
        .offset:         16
        .size:           8
        .value_kind:     global_buffer
      - .address_space:  global
        .offset:         24
        .size:           8
        .value_kind:     global_buffer
      - .address_space:  global
        .offset:         32
        .size:           8
        .value_kind:     global_buffer
      - .offset:         40
        .size:           4
        .value_kind:     hidden_block_count_x
      - .offset:         44
        .size:           4
        .value_kind:     hidden_block_count_y
      - .offset:         48
        .size:           4
        .value_kind:     hidden_block_count_z
      - .offset:         52
        .size:           2
        .value_kind:     hidden_group_size_x
      - .offset:         54
        .size:           2
        .value_kind:     hidden_group_size_y
      - .offset:         56
        .size:           2
        .value_kind:     hidden_group_size_z
      - .offset:         58
        .size:           2
        .value_kind:     hidden_remainder_x
      - .offset:         60
        .size:           2
        .value_kind:     hidden_remainder_y
      - .offset:         62
        .size:           2
        .value_kind:     hidden_remainder_z
      - .offset:         80
        .size:           8
        .value_kind:     hidden_global_offset_x
      - .offset:         88
        .size:           8
        .value_kind:     hidden_global_offset_y
      - .offset:         96
        .size:           8
        .value_kind:     hidden_global_offset_z
      - .offset:         104
        .size:           2
        .value_kind:     hidden_grid_dims
    .group_segment_fixed_size: 768
    .kernarg_segment_align: 8
    .kernarg_segment_size: 296
    .language:       OpenCL C
    .language_version:
      - 2
      - 0
    .max_flat_workgroup_size: 1024
    .name:           _ZN2at6native12_GLOBAL__N_124RowwiseMomentsCUDAKernelIffLb0EEEvlT0_PKT_PS3_S7_
    .private_segment_fixed_size: 0
    .sgpr_count:     22
    .sgpr_spill_count: 0
    .symbol:         _ZN2at6native12_GLOBAL__N_124RowwiseMomentsCUDAKernelIffLb0EEEvlT0_PKT_PS3_S7_.kd
    .uniform_work_group_size: 1
    .uses_dynamic_stack: false
    .vgpr_count:     18
    .vgpr_spill_count: 0
    .wavefront_size: 32
    .workgroup_processor_mode: 1
  - .args:
      - .offset:         0
        .size:           8
        .value_kind:     by_value
      - .address_space:  global
        .offset:         8
        .size:           8
        .value_kind:     global_buffer
      - .address_space:  global
        .offset:         16
        .size:           8
        .value_kind:     global_buffer
      - .address_space:  global
        .offset:         24
        .size:           8
        .value_kind:     global_buffer
      - .address_space:  global
        .offset:         32
        .size:           8
        .value_kind:     global_buffer
      - .address_space:  global
        .offset:         40
        .size:           8
        .value_kind:     global_buffer
      - .address_space:  global
        .offset:         48
        .size:           8
        .value_kind:     global_buffer
      - .offset:         56
        .size:           4
        .value_kind:     hidden_block_count_x
      - .offset:         60
        .size:           4
        .value_kind:     hidden_block_count_y
      - .offset:         64
        .size:           4
        .value_kind:     hidden_block_count_z
      - .offset:         68
        .size:           2
        .value_kind:     hidden_group_size_x
      - .offset:         70
        .size:           2
        .value_kind:     hidden_group_size_y
      - .offset:         72
        .size:           2
        .value_kind:     hidden_group_size_z
      - .offset:         74
        .size:           2
        .value_kind:     hidden_remainder_x
      - .offset:         76
        .size:           2
        .value_kind:     hidden_remainder_y
      - .offset:         78
        .size:           2
        .value_kind:     hidden_remainder_z
      - .offset:         96
        .size:           8
        .value_kind:     hidden_global_offset_x
      - .offset:         104
        .size:           8
        .value_kind:     hidden_global_offset_y
      - .offset:         112
        .size:           8
        .value_kind:     hidden_global_offset_z
      - .offset:         120
        .size:           2
        .value_kind:     hidden_grid_dims
    .group_segment_fixed_size: 0
    .kernarg_segment_align: 8
    .kernarg_segment_size: 312
    .language:       OpenCL C
    .language_version:
      - 2
      - 0
    .max_flat_workgroup_size: 1024
    .name:           _ZN2at6native12_GLOBAL__N_126LayerNormForwardCUDAKernelIffLb0EEEvlPKT_PKT0_S8_S5_S5_PS3_
    .private_segment_fixed_size: 0
    .sgpr_count:     26
    .sgpr_spill_count: 0
    .symbol:         _ZN2at6native12_GLOBAL__N_126LayerNormForwardCUDAKernelIffLb0EEEvlPKT_PKT0_S8_S5_S5_PS3_.kd
    .uniform_work_group_size: 1
    .uses_dynamic_stack: false
    .vgpr_count:     10
    .vgpr_spill_count: 0
    .wavefront_size: 32
    .workgroup_processor_mode: 1
  - .args:
      - .offset:         0
        .size:           4
        .value_kind:     by_value
      - .offset:         4
        .size:           4
        .value_kind:     by_value
      - .actual_access:  read_only
        .address_space:  global
        .offset:         8
        .size:           8
        .value_kind:     global_buffer
      - .address_space:  global
        .offset:         16
        .size:           8
        .value_kind:     global_buffer
      - .address_space:  global
        .offset:         24
        .size:           8
        .value_kind:     global_buffer
      - .address_space:  global
        .offset:         32
        .size:           8
        .value_kind:     global_buffer
      - .address_space:  global
        .offset:         40
        .size:           8
        .value_kind:     global_buffer
      - .address_space:  global
        .offset:         48
        .size:           8
        .value_kind:     global_buffer
      - .offset:         56
        .size:           4
        .value_kind:     hidden_block_count_x
      - .offset:         60
        .size:           4
        .value_kind:     hidden_block_count_y
      - .offset:         64
        .size:           4
        .value_kind:     hidden_block_count_z
      - .offset:         68
        .size:           2
        .value_kind:     hidden_group_size_x
      - .offset:         70
        .size:           2
        .value_kind:     hidden_group_size_y
      - .offset:         72
        .size:           2
        .value_kind:     hidden_group_size_z
      - .offset:         74
        .size:           2
        .value_kind:     hidden_remainder_x
      - .offset:         76
        .size:           2
        .value_kind:     hidden_remainder_y
      - .offset:         78
        .size:           2
        .value_kind:     hidden_remainder_z
      - .offset:         96
        .size:           8
        .value_kind:     hidden_global_offset_x
      - .offset:         104
        .size:           8
        .value_kind:     hidden_global_offset_y
      - .offset:         112
        .size:           8
        .value_kind:     hidden_global_offset_z
      - .offset:         120
        .size:           2
        .value_kind:     hidden_grid_dims
      - .offset:         176
        .size:           4
        .value_kind:     hidden_dynamic_lds_size
    .group_segment_fixed_size: 0
    .kernarg_segment_align: 8
    .kernarg_segment_size: 312
    .language:       OpenCL C
    .language_version:
      - 2
      - 0
    .max_flat_workgroup_size: 1024
    .name:           _ZN2at6native12_GLOBAL__N_128vectorized_layer_norm_kernelIN3c104HalfEfLb0EEEviT0_PKT_S8_S8_PS5_S9_PS6_
    .private_segment_fixed_size: 0
    .sgpr_count:     27
    .sgpr_spill_count: 0
    .symbol:         _ZN2at6native12_GLOBAL__N_128vectorized_layer_norm_kernelIN3c104HalfEfLb0EEEviT0_PKT_S8_S8_PS5_S9_PS6_.kd
    .uniform_work_group_size: 1
    .uses_dynamic_stack: false
    .vgpr_count:     29
    .vgpr_spill_count: 0
    .wavefront_size: 32
    .workgroup_processor_mode: 1
  - .args:
      - .offset:         0
        .size:           8
        .value_kind:     by_value
      - .offset:         8
        .size:           4
        .value_kind:     by_value
      - .address_space:  global
        .offset:         16
        .size:           8
        .value_kind:     global_buffer
      - .address_space:  global
        .offset:         24
        .size:           8
        .value_kind:     global_buffer
      - .address_space:  global
        .offset:         32
        .size:           8
        .value_kind:     global_buffer
      - .offset:         40
        .size:           4
        .value_kind:     hidden_block_count_x
      - .offset:         44
        .size:           4
        .value_kind:     hidden_block_count_y
      - .offset:         48
        .size:           4
        .value_kind:     hidden_block_count_z
      - .offset:         52
        .size:           2
        .value_kind:     hidden_group_size_x
      - .offset:         54
        .size:           2
        .value_kind:     hidden_group_size_y
      - .offset:         56
        .size:           2
        .value_kind:     hidden_group_size_z
      - .offset:         58
        .size:           2
        .value_kind:     hidden_remainder_x
      - .offset:         60
        .size:           2
        .value_kind:     hidden_remainder_y
      - .offset:         62
        .size:           2
        .value_kind:     hidden_remainder_z
      - .offset:         80
        .size:           8
        .value_kind:     hidden_global_offset_x
      - .offset:         88
        .size:           8
        .value_kind:     hidden_global_offset_y
      - .offset:         96
        .size:           8
        .value_kind:     hidden_global_offset_z
      - .offset:         104
        .size:           2
        .value_kind:     hidden_grid_dims
    .group_segment_fixed_size: 768
    .kernarg_segment_align: 8
    .kernarg_segment_size: 296
    .language:       OpenCL C
    .language_version:
      - 2
      - 0
    .max_flat_workgroup_size: 1024
    .name:           _ZN2at6native12_GLOBAL__N_124RowwiseMomentsCUDAKernelIN3c104HalfEfLb0EEEvlT0_PKT_PS5_S9_
    .private_segment_fixed_size: 0
    .sgpr_count:     22
    .sgpr_spill_count: 0
    .symbol:         _ZN2at6native12_GLOBAL__N_124RowwiseMomentsCUDAKernelIN3c104HalfEfLb0EEEvlT0_PKT_PS5_S9_.kd
    .uniform_work_group_size: 1
    .uses_dynamic_stack: false
    .vgpr_count:     18
    .vgpr_spill_count: 0
    .wavefront_size: 32
    .workgroup_processor_mode: 1
  - .args:
      - .offset:         0
        .size:           8
        .value_kind:     by_value
      - .address_space:  global
        .offset:         8
        .size:           8
        .value_kind:     global_buffer
      - .address_space:  global
        .offset:         16
        .size:           8
        .value_kind:     global_buffer
      - .address_space:  global
        .offset:         24
        .size:           8
        .value_kind:     global_buffer
      - .address_space:  global
        .offset:         32
        .size:           8
        .value_kind:     global_buffer
      - .address_space:  global
        .offset:         40
        .size:           8
        .value_kind:     global_buffer
      - .address_space:  global
        .offset:         48
        .size:           8
        .value_kind:     global_buffer
      - .offset:         56
        .size:           4
        .value_kind:     hidden_block_count_x
      - .offset:         60
        .size:           4
        .value_kind:     hidden_block_count_y
      - .offset:         64
        .size:           4
        .value_kind:     hidden_block_count_z
      - .offset:         68
        .size:           2
        .value_kind:     hidden_group_size_x
      - .offset:         70
        .size:           2
        .value_kind:     hidden_group_size_y
      - .offset:         72
        .size:           2
        .value_kind:     hidden_group_size_z
      - .offset:         74
        .size:           2
        .value_kind:     hidden_remainder_x
      - .offset:         76
        .size:           2
        .value_kind:     hidden_remainder_y
      - .offset:         78
        .size:           2
        .value_kind:     hidden_remainder_z
      - .offset:         96
        .size:           8
        .value_kind:     hidden_global_offset_x
      - .offset:         104
        .size:           8
        .value_kind:     hidden_global_offset_y
      - .offset:         112
        .size:           8
        .value_kind:     hidden_global_offset_z
      - .offset:         120
        .size:           2
        .value_kind:     hidden_grid_dims
    .group_segment_fixed_size: 0
    .kernarg_segment_align: 8
    .kernarg_segment_size: 312
    .language:       OpenCL C
    .language_version:
      - 2
      - 0
    .max_flat_workgroup_size: 1024
    .name:           _ZN2at6native12_GLOBAL__N_126LayerNormForwardCUDAKernelIN3c104HalfEfLb0EEEvlPKT_PKT0_SA_S7_S7_PS5_
    .private_segment_fixed_size: 0
    .sgpr_count:     24
    .sgpr_spill_count: 0
    .symbol:         _ZN2at6native12_GLOBAL__N_126LayerNormForwardCUDAKernelIN3c104HalfEfLb0EEEvlPKT_PKT0_SA_S7_S7_PS5_.kd
    .uniform_work_group_size: 1
    .uses_dynamic_stack: false
    .vgpr_count:     9
    .vgpr_spill_count: 0
    .wavefront_size: 32
    .workgroup_processor_mode: 1
  - .args:
      - .offset:         0
        .size:           4
        .value_kind:     by_value
      - .offset:         4
        .size:           4
        .value_kind:     by_value
      - .actual_access:  read_only
        .address_space:  global
        .offset:         8
        .size:           8
        .value_kind:     global_buffer
      - .address_space:  global
        .offset:         16
        .size:           8
        .value_kind:     global_buffer
      - .address_space:  global
        .offset:         24
        .size:           8
        .value_kind:     global_buffer
      - .address_space:  global
        .offset:         32
        .size:           8
        .value_kind:     global_buffer
      - .address_space:  global
        .offset:         40
        .size:           8
        .value_kind:     global_buffer
      - .address_space:  global
        .offset:         48
        .size:           8
        .value_kind:     global_buffer
      - .offset:         56
        .size:           4
        .value_kind:     hidden_block_count_x
      - .offset:         60
        .size:           4
        .value_kind:     hidden_block_count_y
      - .offset:         64
        .size:           4
        .value_kind:     hidden_block_count_z
      - .offset:         68
        .size:           2
        .value_kind:     hidden_group_size_x
      - .offset:         70
        .size:           2
        .value_kind:     hidden_group_size_y
      - .offset:         72
        .size:           2
        .value_kind:     hidden_group_size_z
      - .offset:         74
        .size:           2
        .value_kind:     hidden_remainder_x
      - .offset:         76
        .size:           2
        .value_kind:     hidden_remainder_y
      - .offset:         78
        .size:           2
        .value_kind:     hidden_remainder_z
      - .offset:         96
        .size:           8
        .value_kind:     hidden_global_offset_x
      - .offset:         104
        .size:           8
        .value_kind:     hidden_global_offset_y
      - .offset:         112
        .size:           8
        .value_kind:     hidden_global_offset_z
      - .offset:         120
        .size:           2
        .value_kind:     hidden_grid_dims
      - .offset:         176
        .size:           4
        .value_kind:     hidden_dynamic_lds_size
    .group_segment_fixed_size: 0
    .kernarg_segment_align: 8
    .kernarg_segment_size: 312
    .language:       OpenCL C
    .language_version:
      - 2
      - 0
    .max_flat_workgroup_size: 1024
    .name:           _ZN2at6native12_GLOBAL__N_128vectorized_layer_norm_kernelIN3c108BFloat16EfLb0EEEviT0_PKT_S8_S8_PS5_S9_PS6_
    .private_segment_fixed_size: 0
    .sgpr_count:     27
    .sgpr_spill_count: 0
    .symbol:         _ZN2at6native12_GLOBAL__N_128vectorized_layer_norm_kernelIN3c108BFloat16EfLb0EEEviT0_PKT_S8_S8_PS5_S9_PS6_.kd
    .uniform_work_group_size: 1
    .uses_dynamic_stack: false
    .vgpr_count:     29
    .vgpr_spill_count: 0
    .wavefront_size: 32
    .workgroup_processor_mode: 1
  - .args:
      - .offset:         0
        .size:           8
        .value_kind:     by_value
      - .offset:         8
        .size:           4
        .value_kind:     by_value
      - .address_space:  global
        .offset:         16
        .size:           8
        .value_kind:     global_buffer
      - .address_space:  global
        .offset:         24
        .size:           8
        .value_kind:     global_buffer
      - .address_space:  global
        .offset:         32
        .size:           8
        .value_kind:     global_buffer
      - .offset:         40
        .size:           4
        .value_kind:     hidden_block_count_x
      - .offset:         44
        .size:           4
        .value_kind:     hidden_block_count_y
      - .offset:         48
        .size:           4
        .value_kind:     hidden_block_count_z
      - .offset:         52
        .size:           2
        .value_kind:     hidden_group_size_x
      - .offset:         54
        .size:           2
        .value_kind:     hidden_group_size_y
      - .offset:         56
        .size:           2
        .value_kind:     hidden_group_size_z
      - .offset:         58
        .size:           2
        .value_kind:     hidden_remainder_x
      - .offset:         60
        .size:           2
        .value_kind:     hidden_remainder_y
      - .offset:         62
        .size:           2
        .value_kind:     hidden_remainder_z
      - .offset:         80
        .size:           8
        .value_kind:     hidden_global_offset_x
      - .offset:         88
        .size:           8
        .value_kind:     hidden_global_offset_y
      - .offset:         96
        .size:           8
        .value_kind:     hidden_global_offset_z
      - .offset:         104
        .size:           2
        .value_kind:     hidden_grid_dims
    .group_segment_fixed_size: 768
    .kernarg_segment_align: 8
    .kernarg_segment_size: 296
    .language:       OpenCL C
    .language_version:
      - 2
      - 0
    .max_flat_workgroup_size: 1024
    .name:           _ZN2at6native12_GLOBAL__N_124RowwiseMomentsCUDAKernelIN3c108BFloat16EfLb0EEEvlT0_PKT_PS5_S9_
    .private_segment_fixed_size: 0
    .sgpr_count:     22
    .sgpr_spill_count: 0
    .symbol:         _ZN2at6native12_GLOBAL__N_124RowwiseMomentsCUDAKernelIN3c108BFloat16EfLb0EEEvlT0_PKT_PS5_S9_.kd
    .uniform_work_group_size: 1
    .uses_dynamic_stack: false
    .vgpr_count:     18
    .vgpr_spill_count: 0
    .wavefront_size: 32
    .workgroup_processor_mode: 1
  - .args:
      - .offset:         0
        .size:           8
        .value_kind:     by_value
      - .address_space:  global
        .offset:         8
        .size:           8
        .value_kind:     global_buffer
      - .address_space:  global
        .offset:         16
        .size:           8
        .value_kind:     global_buffer
      - .address_space:  global
        .offset:         24
        .size:           8
        .value_kind:     global_buffer
      - .address_space:  global
        .offset:         32
        .size:           8
        .value_kind:     global_buffer
      - .address_space:  global
        .offset:         40
        .size:           8
        .value_kind:     global_buffer
      - .address_space:  global
        .offset:         48
        .size:           8
        .value_kind:     global_buffer
      - .offset:         56
        .size:           4
        .value_kind:     hidden_block_count_x
      - .offset:         60
        .size:           4
        .value_kind:     hidden_block_count_y
      - .offset:         64
        .size:           4
        .value_kind:     hidden_block_count_z
      - .offset:         68
        .size:           2
        .value_kind:     hidden_group_size_x
      - .offset:         70
        .size:           2
        .value_kind:     hidden_group_size_y
      - .offset:         72
        .size:           2
        .value_kind:     hidden_group_size_z
      - .offset:         74
        .size:           2
        .value_kind:     hidden_remainder_x
      - .offset:         76
        .size:           2
        .value_kind:     hidden_remainder_y
      - .offset:         78
        .size:           2
        .value_kind:     hidden_remainder_z
      - .offset:         96
        .size:           8
        .value_kind:     hidden_global_offset_x
      - .offset:         104
        .size:           8
        .value_kind:     hidden_global_offset_y
      - .offset:         112
        .size:           8
        .value_kind:     hidden_global_offset_z
      - .offset:         120
        .size:           2
        .value_kind:     hidden_grid_dims
    .group_segment_fixed_size: 0
    .kernarg_segment_align: 8
    .kernarg_segment_size: 312
    .language:       OpenCL C
    .language_version:
      - 2
      - 0
    .max_flat_workgroup_size: 1024
    .name:           _ZN2at6native12_GLOBAL__N_126LayerNormForwardCUDAKernelIN3c108BFloat16EfLb0EEEvlPKT_PKT0_SA_S7_S7_PS5_
    .private_segment_fixed_size: 0
    .sgpr_count:     24
    .sgpr_spill_count: 0
    .symbol:         _ZN2at6native12_GLOBAL__N_126LayerNormForwardCUDAKernelIN3c108BFloat16EfLb0EEEvlPKT_PKT0_SA_S7_S7_PS5_.kd
    .uniform_work_group_size: 1
    .uses_dynamic_stack: false
    .vgpr_count:     8
    .vgpr_spill_count: 0
    .wavefront_size: 32
    .workgroup_processor_mode: 1
  - .args:
      - .offset:         0
        .size:           4
        .value_kind:     by_value
      - .offset:         8
        .size:           8
        .value_kind:     by_value
      - .actual_access:  read_only
        .address_space:  global
        .offset:         16
        .size:           8
        .value_kind:     global_buffer
      - .address_space:  global
        .offset:         24
        .size:           8
        .value_kind:     global_buffer
      - .address_space:  global
        .offset:         32
        .size:           8
        .value_kind:     global_buffer
      - .address_space:  global
        .offset:         40
        .size:           8
        .value_kind:     global_buffer
      - .address_space:  global
        .offset:         48
        .size:           8
        .value_kind:     global_buffer
      - .address_space:  global
        .offset:         56
        .size:           8
        .value_kind:     global_buffer
    .group_segment_fixed_size: 0
    .kernarg_segment_align: 8
    .kernarg_segment_size: 64
    .language:       OpenCL C
    .language_version:
      - 2
      - 0
    .max_flat_workgroup_size: 1024
    .name:           _ZN2at6native12_GLOBAL__N_128vectorized_layer_norm_kernelIddLb1EEEviT0_PKT_S6_S6_PS3_S7_PS4_
    .private_segment_fixed_size: 0
    .sgpr_count:     0
    .sgpr_spill_count: 0
    .symbol:         _ZN2at6native12_GLOBAL__N_128vectorized_layer_norm_kernelIddLb1EEEviT0_PKT_S6_S6_PS3_S7_PS4_.kd
    .uniform_work_group_size: 1
    .uses_dynamic_stack: false
    .vgpr_count:     0
    .vgpr_spill_count: 0
    .wavefront_size: 32
    .workgroup_processor_mode: 1
  - .args:
      - .offset:         0
        .size:           8
        .value_kind:     by_value
      - .offset:         8
        .size:           8
        .value_kind:     by_value
      - .address_space:  global
        .offset:         16
        .size:           8
        .value_kind:     global_buffer
      - .address_space:  global
        .offset:         24
        .size:           8
        .value_kind:     global_buffer
      - .address_space:  global
        .offset:         32
        .size:           8
        .value_kind:     global_buffer
      - .offset:         40
        .size:           4
        .value_kind:     hidden_block_count_x
      - .offset:         44
        .size:           4
        .value_kind:     hidden_block_count_y
      - .offset:         48
        .size:           4
        .value_kind:     hidden_block_count_z
      - .offset:         52
        .size:           2
        .value_kind:     hidden_group_size_x
      - .offset:         54
        .size:           2
        .value_kind:     hidden_group_size_y
      - .offset:         56
        .size:           2
        .value_kind:     hidden_group_size_z
      - .offset:         58
        .size:           2
        .value_kind:     hidden_remainder_x
      - .offset:         60
        .size:           2
        .value_kind:     hidden_remainder_y
      - .offset:         62
        .size:           2
        .value_kind:     hidden_remainder_z
      - .offset:         80
        .size:           8
        .value_kind:     hidden_global_offset_x
      - .offset:         88
        .size:           8
        .value_kind:     hidden_global_offset_y
      - .offset:         96
        .size:           8
        .value_kind:     hidden_global_offset_z
      - .offset:         104
        .size:           2
        .value_kind:     hidden_grid_dims
    .group_segment_fixed_size: 1024
    .kernarg_segment_align: 8
    .kernarg_segment_size: 296
    .language:       OpenCL C
    .language_version:
      - 2
      - 0
    .max_flat_workgroup_size: 1024
    .name:           _ZN2at6native12_GLOBAL__N_124RowwiseMomentsCUDAKernelIddLb1EEEvlT0_PKT_PS3_S7_
    .private_segment_fixed_size: 0
    .sgpr_count:     17
    .sgpr_spill_count: 0
    .symbol:         _ZN2at6native12_GLOBAL__N_124RowwiseMomentsCUDAKernelIddLb1EEEvlT0_PKT_PS3_S7_.kd
    .uniform_work_group_size: 1
    .uses_dynamic_stack: false
    .vgpr_count:     30
    .vgpr_spill_count: 0
    .wavefront_size: 32
    .workgroup_processor_mode: 1
  - .args:
      - .offset:         0
        .size:           8
        .value_kind:     by_value
      - .address_space:  global
        .offset:         8
        .size:           8
        .value_kind:     global_buffer
      - .address_space:  global
        .offset:         16
        .size:           8
        .value_kind:     global_buffer
      - .address_space:  global
        .offset:         24
        .size:           8
        .value_kind:     global_buffer
      - .address_space:  global
        .offset:         32
        .size:           8
        .value_kind:     global_buffer
      - .address_space:  global
        .offset:         40
        .size:           8
        .value_kind:     global_buffer
      - .address_space:  global
        .offset:         48
        .size:           8
        .value_kind:     global_buffer
      - .offset:         56
        .size:           4
        .value_kind:     hidden_block_count_x
      - .offset:         60
        .size:           4
        .value_kind:     hidden_block_count_y
      - .offset:         64
        .size:           4
        .value_kind:     hidden_block_count_z
      - .offset:         68
        .size:           2
        .value_kind:     hidden_group_size_x
      - .offset:         70
        .size:           2
        .value_kind:     hidden_group_size_y
      - .offset:         72
        .size:           2
        .value_kind:     hidden_group_size_z
      - .offset:         74
        .size:           2
        .value_kind:     hidden_remainder_x
      - .offset:         76
        .size:           2
        .value_kind:     hidden_remainder_y
      - .offset:         78
        .size:           2
        .value_kind:     hidden_remainder_z
      - .offset:         96
        .size:           8
        .value_kind:     hidden_global_offset_x
      - .offset:         104
        .size:           8
        .value_kind:     hidden_global_offset_y
      - .offset:         112
        .size:           8
        .value_kind:     hidden_global_offset_z
      - .offset:         120
        .size:           2
        .value_kind:     hidden_grid_dims
    .group_segment_fixed_size: 0
    .kernarg_segment_align: 8
    .kernarg_segment_size: 312
    .language:       OpenCL C
    .language_version:
      - 2
      - 0
    .max_flat_workgroup_size: 1024
    .name:           _ZN2at6native12_GLOBAL__N_126LayerNormForwardCUDAKernelIddLb1EEEvlPKT_PKT0_S8_S5_S5_PS3_
    .private_segment_fixed_size: 0
    .sgpr_count:     22
    .sgpr_spill_count: 0
    .symbol:         _ZN2at6native12_GLOBAL__N_126LayerNormForwardCUDAKernelIddLb1EEEvlPKT_PKT0_S8_S5_S5_PS3_.kd
    .uniform_work_group_size: 1
    .uses_dynamic_stack: false
    .vgpr_count:     12
    .vgpr_spill_count: 0
    .wavefront_size: 32
    .workgroup_processor_mode: 1
  - .args:
      - .offset:         0
        .size:           4
        .value_kind:     by_value
      - .offset:         4
        .size:           4
        .value_kind:     by_value
      - .actual_access:  read_only
        .address_space:  global
        .offset:         8
        .size:           8
        .value_kind:     global_buffer
      - .address_space:  global
        .offset:         16
        .size:           8
        .value_kind:     global_buffer
      - .address_space:  global
        .offset:         24
        .size:           8
        .value_kind:     global_buffer
      - .address_space:  global
        .offset:         32
        .size:           8
        .value_kind:     global_buffer
      - .address_space:  global
        .offset:         40
        .size:           8
        .value_kind:     global_buffer
      - .address_space:  global
        .offset:         48
        .size:           8
        .value_kind:     global_buffer
      - .offset:         56
        .size:           4
        .value_kind:     hidden_block_count_x
      - .offset:         60
        .size:           4
        .value_kind:     hidden_block_count_y
      - .offset:         64
        .size:           4
        .value_kind:     hidden_block_count_z
      - .offset:         68
        .size:           2
        .value_kind:     hidden_group_size_x
      - .offset:         70
        .size:           2
        .value_kind:     hidden_group_size_y
      - .offset:         72
        .size:           2
        .value_kind:     hidden_group_size_z
      - .offset:         74
        .size:           2
        .value_kind:     hidden_remainder_x
      - .offset:         76
        .size:           2
        .value_kind:     hidden_remainder_y
      - .offset:         78
        .size:           2
        .value_kind:     hidden_remainder_z
      - .offset:         96
        .size:           8
        .value_kind:     hidden_global_offset_x
      - .offset:         104
        .size:           8
        .value_kind:     hidden_global_offset_y
      - .offset:         112
        .size:           8
        .value_kind:     hidden_global_offset_z
      - .offset:         120
        .size:           2
        .value_kind:     hidden_grid_dims
      - .offset:         176
        .size:           4
        .value_kind:     hidden_dynamic_lds_size
    .group_segment_fixed_size: 0
    .kernarg_segment_align: 8
    .kernarg_segment_size: 312
    .language:       OpenCL C
    .language_version:
      - 2
      - 0
    .max_flat_workgroup_size: 1024
    .name:           _ZN2at6native12_GLOBAL__N_128vectorized_layer_norm_kernelIffLb1EEEviT0_PKT_S6_S6_PS3_S7_PS4_
    .private_segment_fixed_size: 0
    .sgpr_count:     24
    .sgpr_spill_count: 0
    .symbol:         _ZN2at6native12_GLOBAL__N_128vectorized_layer_norm_kernelIffLb1EEEviT0_PKT_S6_S6_PS3_S7_PS4_.kd
    .uniform_work_group_size: 1
    .uses_dynamic_stack: false
    .vgpr_count:     18
    .vgpr_spill_count: 0
    .wavefront_size: 32
    .workgroup_processor_mode: 1
  - .args:
      - .offset:         0
        .size:           8
        .value_kind:     by_value
      - .offset:         8
        .size:           4
        .value_kind:     by_value
      - .address_space:  global
        .offset:         16
        .size:           8
        .value_kind:     global_buffer
      - .address_space:  global
        .offset:         24
        .size:           8
        .value_kind:     global_buffer
      - .address_space:  global
        .offset:         32
        .size:           8
        .value_kind:     global_buffer
      - .offset:         40
        .size:           4
        .value_kind:     hidden_block_count_x
      - .offset:         44
        .size:           4
        .value_kind:     hidden_block_count_y
      - .offset:         48
        .size:           4
        .value_kind:     hidden_block_count_z
      - .offset:         52
        .size:           2
        .value_kind:     hidden_group_size_x
      - .offset:         54
        .size:           2
        .value_kind:     hidden_group_size_y
      - .offset:         56
        .size:           2
        .value_kind:     hidden_group_size_z
      - .offset:         58
        .size:           2
        .value_kind:     hidden_remainder_x
      - .offset:         60
        .size:           2
        .value_kind:     hidden_remainder_y
      - .offset:         62
        .size:           2
        .value_kind:     hidden_remainder_z
      - .offset:         80
        .size:           8
        .value_kind:     hidden_global_offset_x
      - .offset:         88
        .size:           8
        .value_kind:     hidden_global_offset_y
      - .offset:         96
        .size:           8
        .value_kind:     hidden_global_offset_z
      - .offset:         104
        .size:           2
        .value_kind:     hidden_grid_dims
    .group_segment_fixed_size: 768
    .kernarg_segment_align: 8
    .kernarg_segment_size: 296
    .language:       OpenCL C
    .language_version:
      - 2
      - 0
    .max_flat_workgroup_size: 1024
    .name:           _ZN2at6native12_GLOBAL__N_124RowwiseMomentsCUDAKernelIffLb1EEEvlT0_PKT_PS3_S7_
    .private_segment_fixed_size: 0
    .sgpr_count:     18
    .sgpr_spill_count: 0
    .symbol:         _ZN2at6native12_GLOBAL__N_124RowwiseMomentsCUDAKernelIffLb1EEEvlT0_PKT_PS3_S7_.kd
    .uniform_work_group_size: 1
    .uses_dynamic_stack: false
    .vgpr_count:     18
    .vgpr_spill_count: 0
    .wavefront_size: 32
    .workgroup_processor_mode: 1
  - .args:
      - .offset:         0
        .size:           8
        .value_kind:     by_value
      - .address_space:  global
        .offset:         8
        .size:           8
        .value_kind:     global_buffer
      - .address_space:  global
        .offset:         16
        .size:           8
        .value_kind:     global_buffer
      - .address_space:  global
        .offset:         24
        .size:           8
        .value_kind:     global_buffer
      - .address_space:  global
        .offset:         32
        .size:           8
        .value_kind:     global_buffer
      - .address_space:  global
        .offset:         40
        .size:           8
        .value_kind:     global_buffer
      - .address_space:  global
        .offset:         48
        .size:           8
        .value_kind:     global_buffer
      - .offset:         56
        .size:           4
        .value_kind:     hidden_block_count_x
      - .offset:         60
        .size:           4
        .value_kind:     hidden_block_count_y
      - .offset:         64
        .size:           4
        .value_kind:     hidden_block_count_z
      - .offset:         68
        .size:           2
        .value_kind:     hidden_group_size_x
      - .offset:         70
        .size:           2
        .value_kind:     hidden_group_size_y
      - .offset:         72
        .size:           2
        .value_kind:     hidden_group_size_z
      - .offset:         74
        .size:           2
        .value_kind:     hidden_remainder_x
      - .offset:         76
        .size:           2
        .value_kind:     hidden_remainder_y
      - .offset:         78
        .size:           2
        .value_kind:     hidden_remainder_z
      - .offset:         96
        .size:           8
        .value_kind:     hidden_global_offset_x
      - .offset:         104
        .size:           8
        .value_kind:     hidden_global_offset_y
      - .offset:         112
        .size:           8
        .value_kind:     hidden_global_offset_z
      - .offset:         120
        .size:           2
        .value_kind:     hidden_grid_dims
    .group_segment_fixed_size: 0
    .kernarg_segment_align: 8
    .kernarg_segment_size: 312
    .language:       OpenCL C
    .language_version:
      - 2
      - 0
    .max_flat_workgroup_size: 1024
    .name:           _ZN2at6native12_GLOBAL__N_126LayerNormForwardCUDAKernelIffLb1EEEvlPKT_PKT0_S8_S5_S5_PS3_
    .private_segment_fixed_size: 0
    .sgpr_count:     22
    .sgpr_spill_count: 0
    .symbol:         _ZN2at6native12_GLOBAL__N_126LayerNormForwardCUDAKernelIffLb1EEEvlPKT_PKT0_S8_S5_S5_PS3_.kd
    .uniform_work_group_size: 1
    .uses_dynamic_stack: false
    .vgpr_count:     9
    .vgpr_spill_count: 0
    .wavefront_size: 32
    .workgroup_processor_mode: 1
  - .args:
      - .offset:         0
        .size:           4
        .value_kind:     by_value
      - .offset:         4
        .size:           4
        .value_kind:     by_value
      - .actual_access:  read_only
        .address_space:  global
        .offset:         8
        .size:           8
        .value_kind:     global_buffer
      - .address_space:  global
        .offset:         16
        .size:           8
        .value_kind:     global_buffer
      - .address_space:  global
        .offset:         24
        .size:           8
        .value_kind:     global_buffer
      - .address_space:  global
        .offset:         32
        .size:           8
        .value_kind:     global_buffer
      - .address_space:  global
        .offset:         40
        .size:           8
        .value_kind:     global_buffer
      - .address_space:  global
        .offset:         48
        .size:           8
        .value_kind:     global_buffer
      - .offset:         56
        .size:           4
        .value_kind:     hidden_block_count_x
      - .offset:         60
        .size:           4
        .value_kind:     hidden_block_count_y
      - .offset:         64
        .size:           4
        .value_kind:     hidden_block_count_z
      - .offset:         68
        .size:           2
        .value_kind:     hidden_group_size_x
      - .offset:         70
        .size:           2
        .value_kind:     hidden_group_size_y
      - .offset:         72
        .size:           2
        .value_kind:     hidden_group_size_z
      - .offset:         74
        .size:           2
        .value_kind:     hidden_remainder_x
      - .offset:         76
        .size:           2
        .value_kind:     hidden_remainder_y
      - .offset:         78
        .size:           2
        .value_kind:     hidden_remainder_z
      - .offset:         96
        .size:           8
        .value_kind:     hidden_global_offset_x
      - .offset:         104
        .size:           8
        .value_kind:     hidden_global_offset_y
      - .offset:         112
        .size:           8
        .value_kind:     hidden_global_offset_z
      - .offset:         120
        .size:           2
        .value_kind:     hidden_grid_dims
      - .offset:         176
        .size:           4
        .value_kind:     hidden_dynamic_lds_size
    .group_segment_fixed_size: 0
    .kernarg_segment_align: 8
    .kernarg_segment_size: 312
    .language:       OpenCL C
    .language_version:
      - 2
      - 0
    .max_flat_workgroup_size: 1024
    .name:           _ZN2at6native12_GLOBAL__N_128vectorized_layer_norm_kernelIN3c104HalfEfLb1EEEviT0_PKT_S8_S8_PS5_S9_PS6_
    .private_segment_fixed_size: 0
    .sgpr_count:     23
    .sgpr_spill_count: 0
    .symbol:         _ZN2at6native12_GLOBAL__N_128vectorized_layer_norm_kernelIN3c104HalfEfLb1EEEviT0_PKT_S8_S8_PS5_S9_PS6_.kd
    .uniform_work_group_size: 1
    .uses_dynamic_stack: false
    .vgpr_count:     19
    .vgpr_spill_count: 0
    .wavefront_size: 32
    .workgroup_processor_mode: 1
  - .args:
      - .offset:         0
        .size:           8
        .value_kind:     by_value
      - .offset:         8
        .size:           4
        .value_kind:     by_value
      - .address_space:  global
        .offset:         16
        .size:           8
        .value_kind:     global_buffer
      - .address_space:  global
        .offset:         24
        .size:           8
        .value_kind:     global_buffer
      - .address_space:  global
        .offset:         32
        .size:           8
        .value_kind:     global_buffer
      - .offset:         40
        .size:           4
        .value_kind:     hidden_block_count_x
      - .offset:         44
        .size:           4
        .value_kind:     hidden_block_count_y
      - .offset:         48
        .size:           4
        .value_kind:     hidden_block_count_z
      - .offset:         52
        .size:           2
        .value_kind:     hidden_group_size_x
      - .offset:         54
        .size:           2
        .value_kind:     hidden_group_size_y
      - .offset:         56
        .size:           2
        .value_kind:     hidden_group_size_z
      - .offset:         58
        .size:           2
        .value_kind:     hidden_remainder_x
      - .offset:         60
        .size:           2
        .value_kind:     hidden_remainder_y
      - .offset:         62
        .size:           2
        .value_kind:     hidden_remainder_z
      - .offset:         80
        .size:           8
        .value_kind:     hidden_global_offset_x
      - .offset:         88
        .size:           8
        .value_kind:     hidden_global_offset_y
      - .offset:         96
        .size:           8
        .value_kind:     hidden_global_offset_z
      - .offset:         104
        .size:           2
        .value_kind:     hidden_grid_dims
    .group_segment_fixed_size: 768
    .kernarg_segment_align: 8
    .kernarg_segment_size: 296
    .language:       OpenCL C
    .language_version:
      - 2
      - 0
    .max_flat_workgroup_size: 1024
    .name:           _ZN2at6native12_GLOBAL__N_124RowwiseMomentsCUDAKernelIN3c104HalfEfLb1EEEvlT0_PKT_PS5_S9_
    .private_segment_fixed_size: 0
    .sgpr_count:     18
    .sgpr_spill_count: 0
    .symbol:         _ZN2at6native12_GLOBAL__N_124RowwiseMomentsCUDAKernelIN3c104HalfEfLb1EEEvlT0_PKT_PS5_S9_.kd
    .uniform_work_group_size: 1
    .uses_dynamic_stack: false
    .vgpr_count:     18
    .vgpr_spill_count: 0
    .wavefront_size: 32
    .workgroup_processor_mode: 1
  - .args:
      - .offset:         0
        .size:           8
        .value_kind:     by_value
      - .address_space:  global
        .offset:         8
        .size:           8
        .value_kind:     global_buffer
      - .address_space:  global
        .offset:         16
        .size:           8
        .value_kind:     global_buffer
      - .address_space:  global
        .offset:         24
        .size:           8
        .value_kind:     global_buffer
      - .address_space:  global
        .offset:         32
        .size:           8
        .value_kind:     global_buffer
      - .address_space:  global
        .offset:         40
        .size:           8
        .value_kind:     global_buffer
      - .address_space:  global
        .offset:         48
        .size:           8
        .value_kind:     global_buffer
      - .offset:         56
        .size:           4
        .value_kind:     hidden_block_count_x
      - .offset:         60
        .size:           4
        .value_kind:     hidden_block_count_y
      - .offset:         64
        .size:           4
        .value_kind:     hidden_block_count_z
      - .offset:         68
        .size:           2
        .value_kind:     hidden_group_size_x
      - .offset:         70
        .size:           2
        .value_kind:     hidden_group_size_y
      - .offset:         72
        .size:           2
        .value_kind:     hidden_group_size_z
      - .offset:         74
        .size:           2
        .value_kind:     hidden_remainder_x
      - .offset:         76
        .size:           2
        .value_kind:     hidden_remainder_y
      - .offset:         78
        .size:           2
        .value_kind:     hidden_remainder_z
      - .offset:         96
        .size:           8
        .value_kind:     hidden_global_offset_x
      - .offset:         104
        .size:           8
        .value_kind:     hidden_global_offset_y
      - .offset:         112
        .size:           8
        .value_kind:     hidden_global_offset_z
      - .offset:         120
        .size:           2
        .value_kind:     hidden_grid_dims
    .group_segment_fixed_size: 0
    .kernarg_segment_align: 8
    .kernarg_segment_size: 312
    .language:       OpenCL C
    .language_version:
      - 2
      - 0
    .max_flat_workgroup_size: 1024
    .name:           _ZN2at6native12_GLOBAL__N_126LayerNormForwardCUDAKernelIN3c104HalfEfLb1EEEvlPKT_PKT0_SA_S7_S7_PS5_
    .private_segment_fixed_size: 0
    .sgpr_count:     19
    .sgpr_spill_count: 0
    .symbol:         _ZN2at6native12_GLOBAL__N_126LayerNormForwardCUDAKernelIN3c104HalfEfLb1EEEvlPKT_PKT0_SA_S7_S7_PS5_.kd
    .uniform_work_group_size: 1
    .uses_dynamic_stack: false
    .vgpr_count:     8
    .vgpr_spill_count: 0
    .wavefront_size: 32
    .workgroup_processor_mode: 1
  - .args:
      - .offset:         0
        .size:           4
        .value_kind:     by_value
      - .offset:         4
        .size:           4
        .value_kind:     by_value
      - .actual_access:  read_only
        .address_space:  global
        .offset:         8
        .size:           8
        .value_kind:     global_buffer
      - .address_space:  global
        .offset:         16
        .size:           8
        .value_kind:     global_buffer
      - .address_space:  global
        .offset:         24
        .size:           8
        .value_kind:     global_buffer
      - .address_space:  global
        .offset:         32
        .size:           8
        .value_kind:     global_buffer
      - .address_space:  global
        .offset:         40
        .size:           8
        .value_kind:     global_buffer
      - .address_space:  global
        .offset:         48
        .size:           8
        .value_kind:     global_buffer
      - .offset:         56
        .size:           4
        .value_kind:     hidden_block_count_x
      - .offset:         60
        .size:           4
        .value_kind:     hidden_block_count_y
      - .offset:         64
        .size:           4
        .value_kind:     hidden_block_count_z
      - .offset:         68
        .size:           2
        .value_kind:     hidden_group_size_x
      - .offset:         70
        .size:           2
        .value_kind:     hidden_group_size_y
      - .offset:         72
        .size:           2
        .value_kind:     hidden_group_size_z
      - .offset:         74
        .size:           2
        .value_kind:     hidden_remainder_x
      - .offset:         76
        .size:           2
        .value_kind:     hidden_remainder_y
      - .offset:         78
        .size:           2
        .value_kind:     hidden_remainder_z
      - .offset:         96
        .size:           8
        .value_kind:     hidden_global_offset_x
      - .offset:         104
        .size:           8
        .value_kind:     hidden_global_offset_y
      - .offset:         112
        .size:           8
        .value_kind:     hidden_global_offset_z
      - .offset:         120
        .size:           2
        .value_kind:     hidden_grid_dims
      - .offset:         176
        .size:           4
        .value_kind:     hidden_dynamic_lds_size
    .group_segment_fixed_size: 0
    .kernarg_segment_align: 8
    .kernarg_segment_size: 312
    .language:       OpenCL C
    .language_version:
      - 2
      - 0
    .max_flat_workgroup_size: 1024
    .name:           _ZN2at6native12_GLOBAL__N_128vectorized_layer_norm_kernelIN3c108BFloat16EfLb1EEEviT0_PKT_S8_S8_PS5_S9_PS6_
    .private_segment_fixed_size: 0
    .sgpr_count:     24
    .sgpr_spill_count: 0
    .symbol:         _ZN2at6native12_GLOBAL__N_128vectorized_layer_norm_kernelIN3c108BFloat16EfLb1EEEviT0_PKT_S8_S8_PS5_S9_PS6_.kd
    .uniform_work_group_size: 1
    .uses_dynamic_stack: false
    .vgpr_count:     20
    .vgpr_spill_count: 0
    .wavefront_size: 32
    .workgroup_processor_mode: 1
  - .args:
      - .offset:         0
        .size:           8
        .value_kind:     by_value
      - .offset:         8
        .size:           4
        .value_kind:     by_value
      - .address_space:  global
        .offset:         16
        .size:           8
        .value_kind:     global_buffer
      - .address_space:  global
        .offset:         24
        .size:           8
        .value_kind:     global_buffer
      - .address_space:  global
        .offset:         32
        .size:           8
        .value_kind:     global_buffer
      - .offset:         40
        .size:           4
        .value_kind:     hidden_block_count_x
      - .offset:         44
        .size:           4
        .value_kind:     hidden_block_count_y
      - .offset:         48
        .size:           4
        .value_kind:     hidden_block_count_z
      - .offset:         52
        .size:           2
        .value_kind:     hidden_group_size_x
      - .offset:         54
        .size:           2
        .value_kind:     hidden_group_size_y
      - .offset:         56
        .size:           2
        .value_kind:     hidden_group_size_z
      - .offset:         58
        .size:           2
        .value_kind:     hidden_remainder_x
      - .offset:         60
        .size:           2
        .value_kind:     hidden_remainder_y
      - .offset:         62
        .size:           2
        .value_kind:     hidden_remainder_z
      - .offset:         80
        .size:           8
        .value_kind:     hidden_global_offset_x
      - .offset:         88
        .size:           8
        .value_kind:     hidden_global_offset_y
      - .offset:         96
        .size:           8
        .value_kind:     hidden_global_offset_z
      - .offset:         104
        .size:           2
        .value_kind:     hidden_grid_dims
    .group_segment_fixed_size: 768
    .kernarg_segment_align: 8
    .kernarg_segment_size: 296
    .language:       OpenCL C
    .language_version:
      - 2
      - 0
    .max_flat_workgroup_size: 1024
    .name:           _ZN2at6native12_GLOBAL__N_124RowwiseMomentsCUDAKernelIN3c108BFloat16EfLb1EEEvlT0_PKT_PS5_S9_
    .private_segment_fixed_size: 0
    .sgpr_count:     18
    .sgpr_spill_count: 0
    .symbol:         _ZN2at6native12_GLOBAL__N_124RowwiseMomentsCUDAKernelIN3c108BFloat16EfLb1EEEvlT0_PKT_PS5_S9_.kd
    .uniform_work_group_size: 1
    .uses_dynamic_stack: false
    .vgpr_count:     18
    .vgpr_spill_count: 0
    .wavefront_size: 32
    .workgroup_processor_mode: 1
  - .args:
      - .offset:         0
        .size:           8
        .value_kind:     by_value
      - .address_space:  global
        .offset:         8
        .size:           8
        .value_kind:     global_buffer
      - .address_space:  global
        .offset:         16
        .size:           8
        .value_kind:     global_buffer
      - .address_space:  global
        .offset:         24
        .size:           8
        .value_kind:     global_buffer
      - .address_space:  global
        .offset:         32
        .size:           8
        .value_kind:     global_buffer
      - .address_space:  global
        .offset:         40
        .size:           8
        .value_kind:     global_buffer
      - .address_space:  global
        .offset:         48
        .size:           8
        .value_kind:     global_buffer
      - .offset:         56
        .size:           4
        .value_kind:     hidden_block_count_x
      - .offset:         60
        .size:           4
        .value_kind:     hidden_block_count_y
      - .offset:         64
        .size:           4
        .value_kind:     hidden_block_count_z
      - .offset:         68
        .size:           2
        .value_kind:     hidden_group_size_x
      - .offset:         70
        .size:           2
        .value_kind:     hidden_group_size_y
      - .offset:         72
        .size:           2
        .value_kind:     hidden_group_size_z
      - .offset:         74
        .size:           2
        .value_kind:     hidden_remainder_x
      - .offset:         76
        .size:           2
        .value_kind:     hidden_remainder_y
      - .offset:         78
        .size:           2
        .value_kind:     hidden_remainder_z
      - .offset:         96
        .size:           8
        .value_kind:     hidden_global_offset_x
      - .offset:         104
        .size:           8
        .value_kind:     hidden_global_offset_y
      - .offset:         112
        .size:           8
        .value_kind:     hidden_global_offset_z
      - .offset:         120
        .size:           2
        .value_kind:     hidden_grid_dims
    .group_segment_fixed_size: 0
    .kernarg_segment_align: 8
    .kernarg_segment_size: 312
    .language:       OpenCL C
    .language_version:
      - 2
      - 0
    .max_flat_workgroup_size: 1024
    .name:           _ZN2at6native12_GLOBAL__N_126LayerNormForwardCUDAKernelIN3c108BFloat16EfLb1EEEvlPKT_PKT0_SA_S7_S7_PS5_
    .private_segment_fixed_size: 0
    .sgpr_count:     19
    .sgpr_spill_count: 0
    .symbol:         _ZN2at6native12_GLOBAL__N_126LayerNormForwardCUDAKernelIN3c108BFloat16EfLb1EEEvlPKT_PKT0_SA_S7_S7_PS5_.kd
    .uniform_work_group_size: 1
    .uses_dynamic_stack: false
    .vgpr_count:     8
    .vgpr_spill_count: 0
    .wavefront_size: 32
    .workgroup_processor_mode: 1
  - .args:
      - .actual_access:  read_only
        .address_space:  global
        .offset:         0
        .size:           8
        .value_kind:     global_buffer
      - .actual_access:  read_only
        .address_space:  global
        .offset:         8
        .size:           8
        .value_kind:     global_buffer
      - .offset:         16
        .size:           8
        .value_kind:     by_value
      - .offset:         24
        .size:           8
        .value_kind:     by_value
      - .actual_access:  read_only
        .address_space:  global
        .offset:         32
        .size:           8
        .value_kind:     global_buffer
      - .actual_access:  read_only
        .address_space:  global
        .offset:         40
        .size:           8
        .value_kind:     global_buffer
      - .address_space:  global
        .offset:         48
        .size:           8
        .value_kind:     global_buffer
      - .address_space:  global
        .offset:         56
        .size:           8
        .value_kind:     global_buffer
      - .offset:         64
        .size:           4
        .value_kind:     hidden_block_count_x
      - .offset:         68
        .size:           4
        .value_kind:     hidden_block_count_y
      - .offset:         72
        .size:           4
        .value_kind:     hidden_block_count_z
      - .offset:         76
        .size:           2
        .value_kind:     hidden_group_size_x
      - .offset:         78
        .size:           2
        .value_kind:     hidden_group_size_y
      - .offset:         80
        .size:           2
        .value_kind:     hidden_group_size_z
      - .offset:         82
        .size:           2
        .value_kind:     hidden_remainder_x
      - .offset:         84
        .size:           2
        .value_kind:     hidden_remainder_y
      - .offset:         86
        .size:           2
        .value_kind:     hidden_remainder_z
      - .offset:         104
        .size:           8
        .value_kind:     hidden_global_offset_x
      - .offset:         112
        .size:           8
        .value_kind:     hidden_global_offset_y
      - .offset:         120
        .size:           8
        .value_kind:     hidden_global_offset_z
      - .offset:         128
        .size:           2
        .value_kind:     hidden_grid_dims
      - .offset:         184
        .size:           4
        .value_kind:     hidden_dynamic_lds_size
    .group_segment_fixed_size: 0
    .kernarg_segment_align: 8
    .kernarg_segment_size: 320
    .language:       OpenCL C
    .language_version:
      - 2
      - 0
    .max_flat_workgroup_size: 1024
    .name:           _ZN2at6native12_GLOBAL__N_118cuComputeGradInputIddLb0EEEvPKT_S5_llPKT0_S8_S5_PS3_
    .private_segment_fixed_size: 0
    .sgpr_count:     46
    .sgpr_spill_count: 0
    .symbol:         _ZN2at6native12_GLOBAL__N_118cuComputeGradInputIddLb0EEEvPKT_S5_llPKT0_S8_S5_PS3_.kd
    .uniform_work_group_size: 1
    .uses_dynamic_stack: false
    .vgpr_count:     30
    .vgpr_spill_count: 0
    .wavefront_size: 32
    .workgroup_processor_mode: 1
  - .args:
      - .actual_access:  read_only
        .address_space:  global
        .offset:         0
        .size:           8
        .value_kind:     global_buffer
      - .actual_access:  read_only
        .address_space:  global
        .offset:         8
        .size:           8
        .value_kind:     global_buffer
      - .actual_access:  read_only
        .address_space:  global
        .offset:         16
        .size:           8
        .value_kind:     global_buffer
      - .actual_access:  read_only
        .address_space:  global
        .offset:         24
        .size:           8
        .value_kind:     global_buffer
      - .actual_access:  read_only
        .address_space:  global
        .offset:         32
        .size:           8
        .value_kind:     global_buffer
      - .address_space:  global
        .offset:         40
        .size:           8
        .value_kind:     global_buffer
      - .offset:         48
        .size:           4
        .value_kind:     by_value
      - .offset:         56
        .size:           4
        .value_kind:     hidden_block_count_x
      - .offset:         60
        .size:           4
        .value_kind:     hidden_block_count_y
      - .offset:         64
        .size:           4
        .value_kind:     hidden_block_count_z
      - .offset:         68
        .size:           2
        .value_kind:     hidden_group_size_x
      - .offset:         70
        .size:           2
        .value_kind:     hidden_group_size_y
      - .offset:         72
        .size:           2
        .value_kind:     hidden_group_size_z
      - .offset:         74
        .size:           2
        .value_kind:     hidden_remainder_x
      - .offset:         76
        .size:           2
        .value_kind:     hidden_remainder_y
      - .offset:         78
        .size:           2
        .value_kind:     hidden_remainder_z
      - .offset:         96
        .size:           8
        .value_kind:     hidden_global_offset_x
      - .offset:         104
        .size:           8
        .value_kind:     hidden_global_offset_y
      - .offset:         112
        .size:           8
        .value_kind:     hidden_global_offset_z
      - .offset:         120
        .size:           2
        .value_kind:     hidden_grid_dims
      - .offset:         176
        .size:           4
        .value_kind:     hidden_dynamic_lds_size
    .group_segment_fixed_size: 0
    .kernarg_segment_align: 8
    .kernarg_segment_size: 312
    .language:       OpenCL C
    .language_version:
      - 2
      - 0
    .max_flat_workgroup_size: 1024
    .name:           _ZN2at6native12_GLOBAL__N_128layer_norm_grad_input_kernelIddLb0EEEvPKT_S5_PKT0_S8_S5_PS3_i
    .private_segment_fixed_size: 0
    .sgpr_count:     25
    .sgpr_spill_count: 0
    .symbol:         _ZN2at6native12_GLOBAL__N_128layer_norm_grad_input_kernelIddLb0EEEvPKT_S5_PKT0_S8_S5_PS3_i.kd
    .uniform_work_group_size: 1
    .uses_dynamic_stack: false
    .vgpr_count:     35
    .vgpr_spill_count: 0
    .wavefront_size: 32
    .workgroup_processor_mode: 1
  - .args:
      - .offset:         0
        .size:           8
        .value_kind:     by_value
      - .offset:         8
        .size:           8
        .value_kind:     by_value
      - .address_space:  global
        .offset:         16
        .size:           8
        .value_kind:     global_buffer
      - .address_space:  global
        .offset:         24
        .size:           8
        .value_kind:     global_buffer
      - .address_space:  global
        .offset:         32
        .size:           8
        .value_kind:     global_buffer
      - .address_space:  global
        .offset:         40
        .size:           8
        .value_kind:     global_buffer
      - .address_space:  global
        .offset:         48
        .size:           8
        .value_kind:     global_buffer
      - .address_space:  global
        .offset:         56
        .size:           8
        .value_kind:     global_buffer
      - .offset:         64
        .size:           4
        .value_kind:     hidden_block_count_x
      - .offset:         68
        .size:           4
        .value_kind:     hidden_block_count_y
      - .offset:         72
        .size:           4
        .value_kind:     hidden_block_count_z
      - .offset:         76
        .size:           2
        .value_kind:     hidden_group_size_x
      - .offset:         78
        .size:           2
        .value_kind:     hidden_group_size_y
      - .offset:         80
        .size:           2
        .value_kind:     hidden_group_size_z
      - .offset:         82
        .size:           2
        .value_kind:     hidden_remainder_x
      - .offset:         84
        .size:           2
        .value_kind:     hidden_remainder_y
      - .offset:         86
        .size:           2
        .value_kind:     hidden_remainder_z
      - .offset:         104
        .size:           8
        .value_kind:     hidden_global_offset_x
      - .offset:         112
        .size:           8
        .value_kind:     hidden_global_offset_y
      - .offset:         120
        .size:           8
        .value_kind:     hidden_global_offset_z
      - .offset:         128
        .size:           2
        .value_kind:     hidden_grid_dims
    .group_segment_fixed_size: 0
    .kernarg_segment_align: 8
    .kernarg_segment_size: 320
    .language:       OpenCL C
    .language_version:
      - 2
      - 0
    .max_flat_workgroup_size: 1024
    .name:           _ZN2at6native12_GLOBAL__N_133GammaBetaBackwardSimpleCUDAKernelIddLb0EEEvllPKT_S5_PKT0_S8_PS3_S9_
    .private_segment_fixed_size: 0
    .sgpr_count:     22
    .sgpr_spill_count: 0
    .symbol:         _ZN2at6native12_GLOBAL__N_133GammaBetaBackwardSimpleCUDAKernelIddLb0EEEvllPKT_S5_PKT0_S8_PS3_S9_.kd
    .uniform_work_group_size: 1
    .uses_dynamic_stack: false
    .vgpr_count:     12
    .vgpr_spill_count: 0
    .wavefront_size: 32
    .workgroup_processor_mode: 1
  - .args:
      - .offset:         0
        .size:           8
        .value_kind:     by_value
      - .offset:         8
        .size:           8
        .value_kind:     by_value
      - .actual_access:  read_only
        .address_space:  global
        .offset:         16
        .size:           8
        .value_kind:     global_buffer
      - .actual_access:  read_only
        .address_space:  global
        .offset:         24
        .size:           8
        .value_kind:     global_buffer
      - .actual_access:  read_only
        .address_space:  global
        .offset:         32
        .size:           8
        .value_kind:     global_buffer
      - .actual_access:  read_only
        .address_space:  global
        .offset:         40
        .size:           8
        .value_kind:     global_buffer
      - .actual_access:  write_only
        .address_space:  global
        .offset:         48
        .size:           8
        .value_kind:     global_buffer
      - .actual_access:  write_only
        .address_space:  global
        .offset:         56
        .size:           8
        .value_kind:     global_buffer
      - .offset:         64
        .size:           4
        .value_kind:     hidden_block_count_x
      - .offset:         68
        .size:           4
        .value_kind:     hidden_block_count_y
      - .offset:         72
        .size:           4
        .value_kind:     hidden_block_count_z
      - .offset:         76
        .size:           2
        .value_kind:     hidden_group_size_x
      - .offset:         78
        .size:           2
        .value_kind:     hidden_group_size_y
      - .offset:         80
        .size:           2
        .value_kind:     hidden_group_size_z
      - .offset:         82
        .size:           2
        .value_kind:     hidden_remainder_x
      - .offset:         84
        .size:           2
        .value_kind:     hidden_remainder_y
      - .offset:         86
        .size:           2
        .value_kind:     hidden_remainder_z
      - .offset:         104
        .size:           8
        .value_kind:     hidden_global_offset_x
      - .offset:         112
        .size:           8
        .value_kind:     hidden_global_offset_y
      - .offset:         120
        .size:           8
        .value_kind:     hidden_global_offset_z
      - .offset:         128
        .size:           2
        .value_kind:     hidden_grid_dims
    .group_segment_fixed_size: 0
    .kernarg_segment_align: 8
    .kernarg_segment_size: 320
    .language:       OpenCL C
    .language_version:
      - 2
      - 0
    .max_flat_workgroup_size: 64
    .name:           _ZN2at6native12_GLOBAL__N_135GammaBetaBackwardCUDAKernelTemplateIddLj64ELj1ELj32ELb1ELb1ELb0EEEvllPKT_S5_PKT0_S8_PS3_S9_
    .private_segment_fixed_size: 0
    .sgpr_count:     31
    .sgpr_spill_count: 0
    .symbol:         _ZN2at6native12_GLOBAL__N_135GammaBetaBackwardCUDAKernelTemplateIddLj64ELj1ELj32ELb1ELb1ELb0EEEvllPKT_S5_PKT0_S8_PS3_S9_.kd
    .uniform_work_group_size: 1
    .uses_dynamic_stack: false
    .vgpr_count:     92
    .vgpr_spill_count: 0
    .wavefront_size: 32
    .workgroup_processor_mode: 1
  - .args:
      - .offset:         0
        .size:           8
        .value_kind:     by_value
      - .offset:         8
        .size:           8
        .value_kind:     by_value
      - .actual_access:  read_only
        .address_space:  global
        .offset:         16
        .size:           8
        .value_kind:     global_buffer
      - .actual_access:  read_only
        .address_space:  global
        .offset:         24
        .size:           8
        .value_kind:     global_buffer
      - .actual_access:  read_only
        .address_space:  global
        .offset:         32
        .size:           8
        .value_kind:     global_buffer
      - .actual_access:  read_only
        .address_space:  global
        .offset:         40
        .size:           8
        .value_kind:     global_buffer
      - .actual_access:  write_only
        .address_space:  global
        .offset:         48
        .size:           8
        .value_kind:     global_buffer
      - .actual_access:  write_only
        .address_space:  global
        .offset:         56
        .size:           8
        .value_kind:     global_buffer
      - .offset:         64
        .size:           4
        .value_kind:     hidden_block_count_x
      - .offset:         68
        .size:           4
        .value_kind:     hidden_block_count_y
      - .offset:         72
        .size:           4
        .value_kind:     hidden_block_count_z
      - .offset:         76
        .size:           2
        .value_kind:     hidden_group_size_x
      - .offset:         78
        .size:           2
        .value_kind:     hidden_group_size_y
      - .offset:         80
        .size:           2
        .value_kind:     hidden_group_size_z
      - .offset:         82
        .size:           2
        .value_kind:     hidden_remainder_x
      - .offset:         84
        .size:           2
        .value_kind:     hidden_remainder_y
      - .offset:         86
        .size:           2
        .value_kind:     hidden_remainder_z
      - .offset:         104
        .size:           8
        .value_kind:     hidden_global_offset_x
      - .offset:         112
        .size:           8
        .value_kind:     hidden_global_offset_y
      - .offset:         120
        .size:           8
        .value_kind:     hidden_global_offset_z
      - .offset:         128
        .size:           2
        .value_kind:     hidden_grid_dims
    .group_segment_fixed_size: 0
    .kernarg_segment_align: 8
    .kernarg_segment_size: 320
    .language:       OpenCL C
    .language_version:
      - 2
      - 0
    .max_flat_workgroup_size: 64
    .name:           _ZN2at6native12_GLOBAL__N_135GammaBetaBackwardCUDAKernelTemplateIddLj64ELj1ELj32ELb1ELb0ELb0EEEvllPKT_S5_PKT0_S8_PS3_S9_
    .private_segment_fixed_size: 612
    .sgpr_count:     38
    .sgpr_spill_count: 0
    .symbol:         _ZN2at6native12_GLOBAL__N_135GammaBetaBackwardCUDAKernelTemplateIddLj64ELj1ELj32ELb1ELb0ELb0EEEvllPKT_S5_PKT0_S8_PS3_S9_.kd
    .uniform_work_group_size: 1
    .uses_dynamic_stack: false
    .vgpr_count:     256
    .vgpr_spill_count: 348
    .wavefront_size: 32
    .workgroup_processor_mode: 1
  - .args:
      - .offset:         0
        .size:           8
        .value_kind:     by_value
      - .offset:         8
        .size:           8
        .value_kind:     by_value
      - .actual_access:  read_only
        .address_space:  global
        .offset:         16
        .size:           8
        .value_kind:     global_buffer
      - .actual_access:  read_only
        .address_space:  global
        .offset:         24
        .size:           8
        .value_kind:     global_buffer
      - .actual_access:  read_only
        .address_space:  global
        .offset:         32
        .size:           8
        .value_kind:     global_buffer
      - .actual_access:  read_only
        .address_space:  global
        .offset:         40
        .size:           8
        .value_kind:     global_buffer
      - .actual_access:  write_only
        .address_space:  global
        .offset:         48
        .size:           8
        .value_kind:     global_buffer
      - .actual_access:  write_only
        .address_space:  global
        .offset:         56
        .size:           8
        .value_kind:     global_buffer
      - .offset:         64
        .size:           4
        .value_kind:     hidden_block_count_x
      - .offset:         68
        .size:           4
        .value_kind:     hidden_block_count_y
      - .offset:         72
        .size:           4
        .value_kind:     hidden_block_count_z
      - .offset:         76
        .size:           2
        .value_kind:     hidden_group_size_x
      - .offset:         78
        .size:           2
        .value_kind:     hidden_group_size_y
      - .offset:         80
        .size:           2
        .value_kind:     hidden_group_size_z
      - .offset:         82
        .size:           2
        .value_kind:     hidden_remainder_x
      - .offset:         84
        .size:           2
        .value_kind:     hidden_remainder_y
      - .offset:         86
        .size:           2
        .value_kind:     hidden_remainder_z
      - .offset:         104
        .size:           8
        .value_kind:     hidden_global_offset_x
      - .offset:         112
        .size:           8
        .value_kind:     hidden_global_offset_y
      - .offset:         120
        .size:           8
        .value_kind:     hidden_global_offset_z
      - .offset:         128
        .size:           2
        .value_kind:     hidden_grid_dims
    .group_segment_fixed_size: 0
    .kernarg_segment_align: 8
    .kernarg_segment_size: 320
    .language:       OpenCL C
    .language_version:
      - 2
      - 0
    .max_flat_workgroup_size: 64
    .name:           _ZN2at6native12_GLOBAL__N_135GammaBetaBackwardCUDAKernelTemplateIddLj64ELj1ELj8ELb1ELb1ELb0EEEvllPKT_S5_PKT0_S8_PS3_S9_
    .private_segment_fixed_size: 0
    .sgpr_count:     33
    .sgpr_spill_count: 0
    .symbol:         _ZN2at6native12_GLOBAL__N_135GammaBetaBackwardCUDAKernelTemplateIddLj64ELj1ELj8ELb1ELb1ELb0EEEvllPKT_S5_PKT0_S8_PS3_S9_.kd
    .uniform_work_group_size: 1
    .uses_dynamic_stack: false
    .vgpr_count:     60
    .vgpr_spill_count: 0
    .wavefront_size: 32
    .workgroup_processor_mode: 1
  - .args:
      - .offset:         0
        .size:           8
        .value_kind:     by_value
      - .offset:         8
        .size:           8
        .value_kind:     by_value
      - .actual_access:  read_only
        .address_space:  global
        .offset:         16
        .size:           8
        .value_kind:     global_buffer
      - .actual_access:  read_only
        .address_space:  global
        .offset:         24
        .size:           8
        .value_kind:     global_buffer
      - .actual_access:  read_only
        .address_space:  global
        .offset:         32
        .size:           8
        .value_kind:     global_buffer
      - .actual_access:  read_only
        .address_space:  global
        .offset:         40
        .size:           8
        .value_kind:     global_buffer
      - .actual_access:  write_only
        .address_space:  global
        .offset:         48
        .size:           8
        .value_kind:     global_buffer
      - .actual_access:  write_only
        .address_space:  global
        .offset:         56
        .size:           8
        .value_kind:     global_buffer
      - .offset:         64
        .size:           4
        .value_kind:     hidden_block_count_x
      - .offset:         68
        .size:           4
        .value_kind:     hidden_block_count_y
      - .offset:         72
        .size:           4
        .value_kind:     hidden_block_count_z
      - .offset:         76
        .size:           2
        .value_kind:     hidden_group_size_x
      - .offset:         78
        .size:           2
        .value_kind:     hidden_group_size_y
      - .offset:         80
        .size:           2
        .value_kind:     hidden_group_size_z
      - .offset:         82
        .size:           2
        .value_kind:     hidden_remainder_x
      - .offset:         84
        .size:           2
        .value_kind:     hidden_remainder_y
      - .offset:         86
        .size:           2
        .value_kind:     hidden_remainder_z
      - .offset:         104
        .size:           8
        .value_kind:     hidden_global_offset_x
      - .offset:         112
        .size:           8
        .value_kind:     hidden_global_offset_y
      - .offset:         120
        .size:           8
        .value_kind:     hidden_global_offset_z
      - .offset:         128
        .size:           2
        .value_kind:     hidden_grid_dims
    .group_segment_fixed_size: 0
    .kernarg_segment_align: 8
    .kernarg_segment_size: 320
    .language:       OpenCL C
    .language_version:
      - 2
      - 0
    .max_flat_workgroup_size: 64
    .name:           _ZN2at6native12_GLOBAL__N_135GammaBetaBackwardCUDAKernelTemplateIddLj64ELj1ELj8ELb1ELb0ELb0EEEvllPKT_S5_PKT0_S8_PS3_S9_
    .private_segment_fixed_size: 0
    .sgpr_count:     38
    .sgpr_spill_count: 0
    .symbol:         _ZN2at6native12_GLOBAL__N_135GammaBetaBackwardCUDAKernelTemplateIddLj64ELj1ELj8ELb1ELb0ELb0EEEvllPKT_S5_PKT0_S8_PS3_S9_.kd
    .uniform_work_group_size: 1
    .uses_dynamic_stack: false
    .vgpr_count:     114
    .vgpr_spill_count: 0
    .wavefront_size: 32
    .workgroup_processor_mode: 1
  - .args:
      - .offset:         0
        .size:           8
        .value_kind:     by_value
      - .offset:         8
        .size:           8
        .value_kind:     by_value
      - .actual_access:  read_only
        .address_space:  global
        .offset:         16
        .size:           8
        .value_kind:     global_buffer
      - .actual_access:  read_only
        .address_space:  global
        .offset:         24
        .size:           8
        .value_kind:     global_buffer
      - .actual_access:  read_only
        .address_space:  global
        .offset:         32
        .size:           8
        .value_kind:     global_buffer
      - .actual_access:  read_only
        .address_space:  global
        .offset:         40
        .size:           8
        .value_kind:     global_buffer
      - .actual_access:  write_only
        .address_space:  global
        .offset:         48
        .size:           8
        .value_kind:     global_buffer
      - .actual_access:  write_only
        .address_space:  global
        .offset:         56
        .size:           8
        .value_kind:     global_buffer
      - .offset:         64
        .size:           4
        .value_kind:     hidden_block_count_x
      - .offset:         68
        .size:           4
        .value_kind:     hidden_block_count_y
      - .offset:         72
        .size:           4
        .value_kind:     hidden_block_count_z
      - .offset:         76
        .size:           2
        .value_kind:     hidden_group_size_x
      - .offset:         78
        .size:           2
        .value_kind:     hidden_group_size_y
      - .offset:         80
        .size:           2
        .value_kind:     hidden_group_size_z
      - .offset:         82
        .size:           2
        .value_kind:     hidden_remainder_x
      - .offset:         84
        .size:           2
        .value_kind:     hidden_remainder_y
      - .offset:         86
        .size:           2
        .value_kind:     hidden_remainder_z
      - .offset:         104
        .size:           8
        .value_kind:     hidden_global_offset_x
      - .offset:         112
        .size:           8
        .value_kind:     hidden_global_offset_y
      - .offset:         120
        .size:           8
        .value_kind:     hidden_global_offset_z
      - .offset:         128
        .size:           2
        .value_kind:     hidden_grid_dims
      - .offset:         184
        .size:           4
        .value_kind:     hidden_dynamic_lds_size
    .group_segment_fixed_size: 0
    .kernarg_segment_align: 8
    .kernarg_segment_size: 320
    .language:       OpenCL C
    .language_version:
      - 2
      - 0
    .max_flat_workgroup_size: 512
    .name:           _ZN2at6native12_GLOBAL__N_135GammaBetaBackwardCUDAKernelTemplateIddLj64ELj8ELj64ELb0ELb1ELb0EEEvllPKT_S5_PKT0_S8_PS3_S9_
    .private_segment_fixed_size: 0
    .sgpr_count:     29
    .sgpr_spill_count: 0
    .symbol:         _ZN2at6native12_GLOBAL__N_135GammaBetaBackwardCUDAKernelTemplateIddLj64ELj8ELj64ELb0ELb1ELb0EEEvllPKT_S5_PKT0_S8_PS3_S9_.kd
    .uniform_work_group_size: 1
    .uses_dynamic_stack: false
    .vgpr_count:     60
    .vgpr_spill_count: 0
    .wavefront_size: 32
    .workgroup_processor_mode: 1
  - .args:
      - .offset:         0
        .size:           8
        .value_kind:     by_value
      - .offset:         8
        .size:           8
        .value_kind:     by_value
      - .actual_access:  read_only
        .address_space:  global
        .offset:         16
        .size:           8
        .value_kind:     global_buffer
      - .actual_access:  read_only
        .address_space:  global
        .offset:         24
        .size:           8
        .value_kind:     global_buffer
      - .actual_access:  read_only
        .address_space:  global
        .offset:         32
        .size:           8
        .value_kind:     global_buffer
      - .actual_access:  read_only
        .address_space:  global
        .offset:         40
        .size:           8
        .value_kind:     global_buffer
      - .actual_access:  write_only
        .address_space:  global
        .offset:         48
        .size:           8
        .value_kind:     global_buffer
      - .actual_access:  write_only
        .address_space:  global
        .offset:         56
        .size:           8
        .value_kind:     global_buffer
      - .offset:         64
        .size:           4
        .value_kind:     hidden_block_count_x
      - .offset:         68
        .size:           4
        .value_kind:     hidden_block_count_y
      - .offset:         72
        .size:           4
        .value_kind:     hidden_block_count_z
      - .offset:         76
        .size:           2
        .value_kind:     hidden_group_size_x
      - .offset:         78
        .size:           2
        .value_kind:     hidden_group_size_y
      - .offset:         80
        .size:           2
        .value_kind:     hidden_group_size_z
      - .offset:         82
        .size:           2
        .value_kind:     hidden_remainder_x
      - .offset:         84
        .size:           2
        .value_kind:     hidden_remainder_y
      - .offset:         86
        .size:           2
        .value_kind:     hidden_remainder_z
      - .offset:         104
        .size:           8
        .value_kind:     hidden_global_offset_x
      - .offset:         112
        .size:           8
        .value_kind:     hidden_global_offset_y
      - .offset:         120
        .size:           8
        .value_kind:     hidden_global_offset_z
      - .offset:         128
        .size:           2
        .value_kind:     hidden_grid_dims
      - .offset:         184
        .size:           4
        .value_kind:     hidden_dynamic_lds_size
    .group_segment_fixed_size: 0
    .kernarg_segment_align: 8
    .kernarg_segment_size: 320
    .language:       OpenCL C
    .language_version:
      - 2
      - 0
    .max_flat_workgroup_size: 512
    .name:           _ZN2at6native12_GLOBAL__N_135GammaBetaBackwardCUDAKernelTemplateIddLj64ELj8ELj64ELb0ELb0ELb0EEEvllPKT_S5_PKT0_S8_PS3_S9_
    .private_segment_fixed_size: 0
    .sgpr_count:     38
    .sgpr_spill_count: 0
    .symbol:         _ZN2at6native12_GLOBAL__N_135GammaBetaBackwardCUDAKernelTemplateIddLj64ELj8ELj64ELb0ELb0ELb0EEEvllPKT_S5_PKT0_S8_PS3_S9_.kd
    .uniform_work_group_size: 1
    .uses_dynamic_stack: false
    .vgpr_count:     113
    .vgpr_spill_count: 0
    .wavefront_size: 32
    .workgroup_processor_mode: 1
  - .args:
      - .offset:         0
        .size:           8
        .value_kind:     by_value
      - .offset:         8
        .size:           8
        .value_kind:     by_value
      - .actual_access:  read_only
        .address_space:  global
        .offset:         16
        .size:           8
        .value_kind:     global_buffer
      - .actual_access:  read_only
        .address_space:  global
        .offset:         24
        .size:           8
        .value_kind:     global_buffer
      - .actual_access:  read_only
        .address_space:  global
        .offset:         32
        .size:           8
        .value_kind:     global_buffer
      - .actual_access:  read_only
        .address_space:  global
        .offset:         40
        .size:           8
        .value_kind:     global_buffer
      - .actual_access:  write_only
        .address_space:  global
        .offset:         48
        .size:           8
        .value_kind:     global_buffer
      - .actual_access:  write_only
        .address_space:  global
        .offset:         56
        .size:           8
        .value_kind:     global_buffer
      - .offset:         64
        .size:           4
        .value_kind:     hidden_block_count_x
      - .offset:         68
        .size:           4
        .value_kind:     hidden_block_count_y
      - .offset:         72
        .size:           4
        .value_kind:     hidden_block_count_z
      - .offset:         76
        .size:           2
        .value_kind:     hidden_group_size_x
      - .offset:         78
        .size:           2
        .value_kind:     hidden_group_size_y
      - .offset:         80
        .size:           2
        .value_kind:     hidden_group_size_z
      - .offset:         82
        .size:           2
        .value_kind:     hidden_remainder_x
      - .offset:         84
        .size:           2
        .value_kind:     hidden_remainder_y
      - .offset:         86
        .size:           2
        .value_kind:     hidden_remainder_z
      - .offset:         104
        .size:           8
        .value_kind:     hidden_global_offset_x
      - .offset:         112
        .size:           8
        .value_kind:     hidden_global_offset_y
      - .offset:         120
        .size:           8
        .value_kind:     hidden_global_offset_z
      - .offset:         128
        .size:           2
        .value_kind:     hidden_grid_dims
      - .offset:         184
        .size:           4
        .value_kind:     hidden_dynamic_lds_size
    .group_segment_fixed_size: 0
    .kernarg_segment_align: 8
    .kernarg_segment_size: 320
    .language:       OpenCL C
    .language_version:
      - 2
      - 0
    .max_flat_workgroup_size: 1024
    .name:           _ZN2at6native12_GLOBAL__N_135GammaBetaBackwardCUDAKernelTemplateIddLj64ELj16ELj128ELb0ELb1ELb0EEEvllPKT_S5_PKT0_S8_PS3_S9_
    .private_segment_fixed_size: 0
    .sgpr_count:     29
    .sgpr_spill_count: 0
    .symbol:         _ZN2at6native12_GLOBAL__N_135GammaBetaBackwardCUDAKernelTemplateIddLj64ELj16ELj128ELb0ELb1ELb0EEEvllPKT_S5_PKT0_S8_PS3_S9_.kd
    .uniform_work_group_size: 1
    .uses_dynamic_stack: false
    .vgpr_count:     60
    .vgpr_spill_count: 0
    .wavefront_size: 32
    .workgroup_processor_mode: 1
  - .args:
      - .offset:         0
        .size:           8
        .value_kind:     by_value
      - .offset:         8
        .size:           8
        .value_kind:     by_value
      - .actual_access:  read_only
        .address_space:  global
        .offset:         16
        .size:           8
        .value_kind:     global_buffer
      - .actual_access:  read_only
        .address_space:  global
        .offset:         24
        .size:           8
        .value_kind:     global_buffer
      - .actual_access:  read_only
        .address_space:  global
        .offset:         32
        .size:           8
        .value_kind:     global_buffer
      - .actual_access:  read_only
        .address_space:  global
        .offset:         40
        .size:           8
        .value_kind:     global_buffer
      - .actual_access:  write_only
        .address_space:  global
        .offset:         48
        .size:           8
        .value_kind:     global_buffer
      - .actual_access:  write_only
        .address_space:  global
        .offset:         56
        .size:           8
        .value_kind:     global_buffer
      - .offset:         64
        .size:           4
        .value_kind:     hidden_block_count_x
      - .offset:         68
        .size:           4
        .value_kind:     hidden_block_count_y
      - .offset:         72
        .size:           4
        .value_kind:     hidden_block_count_z
      - .offset:         76
        .size:           2
        .value_kind:     hidden_group_size_x
      - .offset:         78
        .size:           2
        .value_kind:     hidden_group_size_y
      - .offset:         80
        .size:           2
        .value_kind:     hidden_group_size_z
      - .offset:         82
        .size:           2
        .value_kind:     hidden_remainder_x
      - .offset:         84
        .size:           2
        .value_kind:     hidden_remainder_y
      - .offset:         86
        .size:           2
        .value_kind:     hidden_remainder_z
      - .offset:         104
        .size:           8
        .value_kind:     hidden_global_offset_x
      - .offset:         112
        .size:           8
        .value_kind:     hidden_global_offset_y
      - .offset:         120
        .size:           8
        .value_kind:     hidden_global_offset_z
      - .offset:         128
        .size:           2
        .value_kind:     hidden_grid_dims
      - .offset:         184
        .size:           4
        .value_kind:     hidden_dynamic_lds_size
    .group_segment_fixed_size: 0
    .kernarg_segment_align: 8
    .kernarg_segment_size: 320
    .language:       OpenCL C
    .language_version:
      - 2
      - 0
    .max_flat_workgroup_size: 1024
    .name:           _ZN2at6native12_GLOBAL__N_135GammaBetaBackwardCUDAKernelTemplateIddLj64ELj16ELj128ELb0ELb0ELb0EEEvllPKT_S5_PKT0_S8_PS3_S9_
    .private_segment_fixed_size: 0
    .sgpr_count:     38
    .sgpr_spill_count: 0
    .symbol:         _ZN2at6native12_GLOBAL__N_135GammaBetaBackwardCUDAKernelTemplateIddLj64ELj16ELj128ELb0ELb0ELb0EEEvllPKT_S5_PKT0_S8_PS3_S9_.kd
    .uniform_work_group_size: 1
    .uses_dynamic_stack: false
    .vgpr_count:     113
    .vgpr_spill_count: 0
    .wavefront_size: 32
    .workgroup_processor_mode: 1
  - .args:
      - .offset:         0
        .size:           8
        .value_kind:     by_value
      - .offset:         8
        .size:           8
        .value_kind:     by_value
      - .actual_access:  read_only
        .address_space:  global
        .offset:         16
        .size:           8
        .value_kind:     global_buffer
      - .actual_access:  read_only
        .address_space:  global
        .offset:         24
        .size:           8
        .value_kind:     global_buffer
      - .actual_access:  read_only
        .address_space:  global
        .offset:         32
        .size:           8
        .value_kind:     global_buffer
      - .actual_access:  read_only
        .address_space:  global
        .offset:         40
        .size:           8
        .value_kind:     global_buffer
      - .actual_access:  write_only
        .address_space:  global
        .offset:         48
        .size:           8
        .value_kind:     global_buffer
      - .actual_access:  write_only
        .address_space:  global
        .offset:         56
        .size:           8
        .value_kind:     global_buffer
      - .offset:         64
        .size:           4
        .value_kind:     hidden_block_count_x
      - .offset:         68
        .size:           4
        .value_kind:     hidden_block_count_y
      - .offset:         72
        .size:           4
        .value_kind:     hidden_block_count_z
      - .offset:         76
        .size:           2
        .value_kind:     hidden_group_size_x
      - .offset:         78
        .size:           2
        .value_kind:     hidden_group_size_y
      - .offset:         80
        .size:           2
        .value_kind:     hidden_group_size_z
      - .offset:         82
        .size:           2
        .value_kind:     hidden_remainder_x
      - .offset:         84
        .size:           2
        .value_kind:     hidden_remainder_y
      - .offset:         86
        .size:           2
        .value_kind:     hidden_remainder_z
      - .offset:         104
        .size:           8
        .value_kind:     hidden_global_offset_x
      - .offset:         112
        .size:           8
        .value_kind:     hidden_global_offset_y
      - .offset:         120
        .size:           8
        .value_kind:     hidden_global_offset_z
      - .offset:         128
        .size:           2
        .value_kind:     hidden_grid_dims
      - .offset:         184
        .size:           4
        .value_kind:     hidden_dynamic_lds_size
    .group_segment_fixed_size: 0
    .kernarg_segment_align: 8
    .kernarg_segment_size: 320
    .language:       OpenCL C
    .language_version:
      - 2
      - 0
    .max_flat_workgroup_size: 1024
    .name:           _ZN2at6native12_GLOBAL__N_135GammaBetaBackwardCUDAKernelTemplateIddLj64ELj16ELj256ELb0ELb1ELb0EEEvllPKT_S5_PKT0_S8_PS3_S9_
    .private_segment_fixed_size: 0
    .sgpr_count:     29
    .sgpr_spill_count: 0
    .symbol:         _ZN2at6native12_GLOBAL__N_135GammaBetaBackwardCUDAKernelTemplateIddLj64ELj16ELj256ELb0ELb1ELb0EEEvllPKT_S5_PKT0_S8_PS3_S9_.kd
    .uniform_work_group_size: 1
    .uses_dynamic_stack: false
    .vgpr_count:     82
    .vgpr_spill_count: 0
    .wavefront_size: 32
    .workgroup_processor_mode: 1
  - .args:
      - .offset:         0
        .size:           8
        .value_kind:     by_value
      - .offset:         8
        .size:           8
        .value_kind:     by_value
      - .actual_access:  read_only
        .address_space:  global
        .offset:         16
        .size:           8
        .value_kind:     global_buffer
      - .actual_access:  read_only
        .address_space:  global
        .offset:         24
        .size:           8
        .value_kind:     global_buffer
      - .actual_access:  read_only
        .address_space:  global
        .offset:         32
        .size:           8
        .value_kind:     global_buffer
      - .actual_access:  read_only
        .address_space:  global
        .offset:         40
        .size:           8
        .value_kind:     global_buffer
      - .actual_access:  write_only
        .address_space:  global
        .offset:         48
        .size:           8
        .value_kind:     global_buffer
      - .actual_access:  write_only
        .address_space:  global
        .offset:         56
        .size:           8
        .value_kind:     global_buffer
      - .offset:         64
        .size:           4
        .value_kind:     hidden_block_count_x
      - .offset:         68
        .size:           4
        .value_kind:     hidden_block_count_y
      - .offset:         72
        .size:           4
        .value_kind:     hidden_block_count_z
      - .offset:         76
        .size:           2
        .value_kind:     hidden_group_size_x
      - .offset:         78
        .size:           2
        .value_kind:     hidden_group_size_y
      - .offset:         80
        .size:           2
        .value_kind:     hidden_group_size_z
      - .offset:         82
        .size:           2
        .value_kind:     hidden_remainder_x
      - .offset:         84
        .size:           2
        .value_kind:     hidden_remainder_y
      - .offset:         86
        .size:           2
        .value_kind:     hidden_remainder_z
      - .offset:         104
        .size:           8
        .value_kind:     hidden_global_offset_x
      - .offset:         112
        .size:           8
        .value_kind:     hidden_global_offset_y
      - .offset:         120
        .size:           8
        .value_kind:     hidden_global_offset_z
      - .offset:         128
        .size:           2
        .value_kind:     hidden_grid_dims
      - .offset:         184
        .size:           4
        .value_kind:     hidden_dynamic_lds_size
    .group_segment_fixed_size: 0
    .kernarg_segment_align: 8
    .kernarg_segment_size: 320
    .language:       OpenCL C
    .language_version:
      - 2
      - 0
    .max_flat_workgroup_size: 1024
    .name:           _ZN2at6native12_GLOBAL__N_135GammaBetaBackwardCUDAKernelTemplateIddLj64ELj16ELj256ELb0ELb0ELb0EEEvllPKT_S5_PKT0_S8_PS3_S9_
    .private_segment_fixed_size: 84
    .sgpr_count:     38
    .sgpr_spill_count: 0
    .symbol:         _ZN2at6native12_GLOBAL__N_135GammaBetaBackwardCUDAKernelTemplateIddLj64ELj16ELj256ELb0ELb0ELb0EEEvllPKT_S5_PKT0_S8_PS3_S9_.kd
    .uniform_work_group_size: 1
    .uses_dynamic_stack: false
    .vgpr_count:     192
    .vgpr_spill_count: 36
    .wavefront_size: 32
    .workgroup_processor_mode: 1
  - .args:
      - .offset:         0
        .size:           8
        .value_kind:     by_value
      - .offset:         8
        .size:           8
        .value_kind:     by_value
      - .actual_access:  read_only
        .address_space:  global
        .offset:         16
        .size:           8
        .value_kind:     global_buffer
      - .actual_access:  read_only
        .address_space:  global
        .offset:         24
        .size:           8
        .value_kind:     global_buffer
      - .actual_access:  read_only
        .address_space:  global
        .offset:         32
        .size:           8
        .value_kind:     global_buffer
      - .actual_access:  read_only
        .address_space:  global
        .offset:         40
        .size:           8
        .value_kind:     global_buffer
      - .actual_access:  write_only
        .address_space:  global
        .offset:         48
        .size:           8
        .value_kind:     global_buffer
      - .actual_access:  write_only
        .address_space:  global
        .offset:         56
        .size:           8
        .value_kind:     global_buffer
      - .offset:         64
        .size:           4
        .value_kind:     hidden_block_count_x
      - .offset:         68
        .size:           4
        .value_kind:     hidden_block_count_y
      - .offset:         72
        .size:           4
        .value_kind:     hidden_block_count_z
      - .offset:         76
        .size:           2
        .value_kind:     hidden_group_size_x
      - .offset:         78
        .size:           2
        .value_kind:     hidden_group_size_y
      - .offset:         80
        .size:           2
        .value_kind:     hidden_group_size_z
      - .offset:         82
        .size:           2
        .value_kind:     hidden_remainder_x
      - .offset:         84
        .size:           2
        .value_kind:     hidden_remainder_y
      - .offset:         86
        .size:           2
        .value_kind:     hidden_remainder_z
      - .offset:         104
        .size:           8
        .value_kind:     hidden_global_offset_x
      - .offset:         112
        .size:           8
        .value_kind:     hidden_global_offset_y
      - .offset:         120
        .size:           8
        .value_kind:     hidden_global_offset_z
      - .offset:         128
        .size:           2
        .value_kind:     hidden_grid_dims
    .group_segment_fixed_size: 0
    .kernarg_segment_align: 8
    .kernarg_segment_size: 320
    .language:       OpenCL C
    .language_version:
      - 2
      - 0
    .max_flat_workgroup_size: 32
    .name:           _ZN2at6native12_GLOBAL__N_135GammaBetaBackwardCUDAKernelTemplateIddLj32ELj1ELj32ELb1ELb1ELb0EEEvllPKT_S5_PKT0_S8_PS3_S9_
    .private_segment_fixed_size: 0
    .sgpr_count:     31
    .sgpr_spill_count: 0
    .symbol:         _ZN2at6native12_GLOBAL__N_135GammaBetaBackwardCUDAKernelTemplateIddLj32ELj1ELj32ELb1ELb1ELb0EEEvllPKT_S5_PKT0_S8_PS3_S9_.kd
    .uniform_work_group_size: 1
    .uses_dynamic_stack: false
    .vgpr_count:     92
    .vgpr_spill_count: 0
    .wavefront_size: 32
    .workgroup_processor_mode: 1
  - .args:
      - .offset:         0
        .size:           8
        .value_kind:     by_value
      - .offset:         8
        .size:           8
        .value_kind:     by_value
      - .actual_access:  read_only
        .address_space:  global
        .offset:         16
        .size:           8
        .value_kind:     global_buffer
      - .actual_access:  read_only
        .address_space:  global
        .offset:         24
        .size:           8
        .value_kind:     global_buffer
      - .actual_access:  read_only
        .address_space:  global
        .offset:         32
        .size:           8
        .value_kind:     global_buffer
      - .actual_access:  read_only
        .address_space:  global
        .offset:         40
        .size:           8
        .value_kind:     global_buffer
      - .actual_access:  write_only
        .address_space:  global
        .offset:         48
        .size:           8
        .value_kind:     global_buffer
      - .actual_access:  write_only
        .address_space:  global
        .offset:         56
        .size:           8
        .value_kind:     global_buffer
      - .offset:         64
        .size:           4
        .value_kind:     hidden_block_count_x
      - .offset:         68
        .size:           4
        .value_kind:     hidden_block_count_y
      - .offset:         72
        .size:           4
        .value_kind:     hidden_block_count_z
      - .offset:         76
        .size:           2
        .value_kind:     hidden_group_size_x
      - .offset:         78
        .size:           2
        .value_kind:     hidden_group_size_y
      - .offset:         80
        .size:           2
        .value_kind:     hidden_group_size_z
      - .offset:         82
        .size:           2
        .value_kind:     hidden_remainder_x
      - .offset:         84
        .size:           2
        .value_kind:     hidden_remainder_y
      - .offset:         86
        .size:           2
        .value_kind:     hidden_remainder_z
      - .offset:         104
        .size:           8
        .value_kind:     hidden_global_offset_x
      - .offset:         112
        .size:           8
        .value_kind:     hidden_global_offset_y
      - .offset:         120
        .size:           8
        .value_kind:     hidden_global_offset_z
      - .offset:         128
        .size:           2
        .value_kind:     hidden_grid_dims
    .group_segment_fixed_size: 0
    .kernarg_segment_align: 8
    .kernarg_segment_size: 320
    .language:       OpenCL C
    .language_version:
      - 2
      - 0
    .max_flat_workgroup_size: 32
    .name:           _ZN2at6native12_GLOBAL__N_135GammaBetaBackwardCUDAKernelTemplateIddLj32ELj1ELj32ELb1ELb0ELb0EEEvllPKT_S5_PKT0_S8_PS3_S9_
    .private_segment_fixed_size: 612
    .sgpr_count:     38
    .sgpr_spill_count: 0
    .symbol:         _ZN2at6native12_GLOBAL__N_135GammaBetaBackwardCUDAKernelTemplateIddLj32ELj1ELj32ELb1ELb0ELb0EEEvllPKT_S5_PKT0_S8_PS3_S9_.kd
    .uniform_work_group_size: 1
    .uses_dynamic_stack: false
    .vgpr_count:     256
    .vgpr_spill_count: 348
    .wavefront_size: 32
    .workgroup_processor_mode: 1
  - .args:
      - .offset:         0
        .size:           8
        .value_kind:     by_value
      - .offset:         8
        .size:           8
        .value_kind:     by_value
      - .actual_access:  read_only
        .address_space:  global
        .offset:         16
        .size:           8
        .value_kind:     global_buffer
      - .actual_access:  read_only
        .address_space:  global
        .offset:         24
        .size:           8
        .value_kind:     global_buffer
      - .actual_access:  read_only
        .address_space:  global
        .offset:         32
        .size:           8
        .value_kind:     global_buffer
      - .actual_access:  read_only
        .address_space:  global
        .offset:         40
        .size:           8
        .value_kind:     global_buffer
      - .actual_access:  write_only
        .address_space:  global
        .offset:         48
        .size:           8
        .value_kind:     global_buffer
      - .actual_access:  write_only
        .address_space:  global
        .offset:         56
        .size:           8
        .value_kind:     global_buffer
      - .offset:         64
        .size:           4
        .value_kind:     hidden_block_count_x
      - .offset:         68
        .size:           4
        .value_kind:     hidden_block_count_y
      - .offset:         72
        .size:           4
        .value_kind:     hidden_block_count_z
      - .offset:         76
        .size:           2
        .value_kind:     hidden_group_size_x
      - .offset:         78
        .size:           2
        .value_kind:     hidden_group_size_y
      - .offset:         80
        .size:           2
        .value_kind:     hidden_group_size_z
      - .offset:         82
        .size:           2
        .value_kind:     hidden_remainder_x
      - .offset:         84
        .size:           2
        .value_kind:     hidden_remainder_y
      - .offset:         86
        .size:           2
        .value_kind:     hidden_remainder_z
      - .offset:         104
        .size:           8
        .value_kind:     hidden_global_offset_x
      - .offset:         112
        .size:           8
        .value_kind:     hidden_global_offset_y
      - .offset:         120
        .size:           8
        .value_kind:     hidden_global_offset_z
      - .offset:         128
        .size:           2
        .value_kind:     hidden_grid_dims
    .group_segment_fixed_size: 0
    .kernarg_segment_align: 8
    .kernarg_segment_size: 320
    .language:       OpenCL C
    .language_version:
      - 2
      - 0
    .max_flat_workgroup_size: 32
    .name:           _ZN2at6native12_GLOBAL__N_135GammaBetaBackwardCUDAKernelTemplateIddLj32ELj1ELj8ELb1ELb1ELb0EEEvllPKT_S5_PKT0_S8_PS3_S9_
    .private_segment_fixed_size: 0
    .sgpr_count:     33
    .sgpr_spill_count: 0
    .symbol:         _ZN2at6native12_GLOBAL__N_135GammaBetaBackwardCUDAKernelTemplateIddLj32ELj1ELj8ELb1ELb1ELb0EEEvllPKT_S5_PKT0_S8_PS3_S9_.kd
    .uniform_work_group_size: 1
    .uses_dynamic_stack: false
    .vgpr_count:     60
    .vgpr_spill_count: 0
    .wavefront_size: 32
    .workgroup_processor_mode: 1
  - .args:
      - .offset:         0
        .size:           8
        .value_kind:     by_value
      - .offset:         8
        .size:           8
        .value_kind:     by_value
      - .actual_access:  read_only
        .address_space:  global
        .offset:         16
        .size:           8
        .value_kind:     global_buffer
      - .actual_access:  read_only
        .address_space:  global
        .offset:         24
        .size:           8
        .value_kind:     global_buffer
      - .actual_access:  read_only
        .address_space:  global
        .offset:         32
        .size:           8
        .value_kind:     global_buffer
      - .actual_access:  read_only
        .address_space:  global
        .offset:         40
        .size:           8
        .value_kind:     global_buffer
      - .actual_access:  write_only
        .address_space:  global
        .offset:         48
        .size:           8
        .value_kind:     global_buffer
      - .actual_access:  write_only
        .address_space:  global
        .offset:         56
        .size:           8
        .value_kind:     global_buffer
      - .offset:         64
        .size:           4
        .value_kind:     hidden_block_count_x
      - .offset:         68
        .size:           4
        .value_kind:     hidden_block_count_y
      - .offset:         72
        .size:           4
        .value_kind:     hidden_block_count_z
      - .offset:         76
        .size:           2
        .value_kind:     hidden_group_size_x
      - .offset:         78
        .size:           2
        .value_kind:     hidden_group_size_y
      - .offset:         80
        .size:           2
        .value_kind:     hidden_group_size_z
      - .offset:         82
        .size:           2
        .value_kind:     hidden_remainder_x
      - .offset:         84
        .size:           2
        .value_kind:     hidden_remainder_y
      - .offset:         86
        .size:           2
        .value_kind:     hidden_remainder_z
      - .offset:         104
        .size:           8
        .value_kind:     hidden_global_offset_x
      - .offset:         112
        .size:           8
        .value_kind:     hidden_global_offset_y
      - .offset:         120
        .size:           8
        .value_kind:     hidden_global_offset_z
      - .offset:         128
        .size:           2
        .value_kind:     hidden_grid_dims
    .group_segment_fixed_size: 0
    .kernarg_segment_align: 8
    .kernarg_segment_size: 320
    .language:       OpenCL C
    .language_version:
      - 2
      - 0
    .max_flat_workgroup_size: 32
    .name:           _ZN2at6native12_GLOBAL__N_135GammaBetaBackwardCUDAKernelTemplateIddLj32ELj1ELj8ELb1ELb0ELb0EEEvllPKT_S5_PKT0_S8_PS3_S9_
    .private_segment_fixed_size: 0
    .sgpr_count:     38
    .sgpr_spill_count: 0
    .symbol:         _ZN2at6native12_GLOBAL__N_135GammaBetaBackwardCUDAKernelTemplateIddLj32ELj1ELj8ELb1ELb0ELb0EEEvllPKT_S5_PKT0_S8_PS3_S9_.kd
    .uniform_work_group_size: 1
    .uses_dynamic_stack: false
    .vgpr_count:     114
    .vgpr_spill_count: 0
    .wavefront_size: 32
    .workgroup_processor_mode: 1
  - .args:
      - .offset:         0
        .size:           8
        .value_kind:     by_value
      - .offset:         8
        .size:           8
        .value_kind:     by_value
      - .actual_access:  read_only
        .address_space:  global
        .offset:         16
        .size:           8
        .value_kind:     global_buffer
      - .actual_access:  read_only
        .address_space:  global
        .offset:         24
        .size:           8
        .value_kind:     global_buffer
      - .actual_access:  read_only
        .address_space:  global
        .offset:         32
        .size:           8
        .value_kind:     global_buffer
      - .actual_access:  read_only
        .address_space:  global
        .offset:         40
        .size:           8
        .value_kind:     global_buffer
      - .actual_access:  write_only
        .address_space:  global
        .offset:         48
        .size:           8
        .value_kind:     global_buffer
      - .actual_access:  write_only
        .address_space:  global
        .offset:         56
        .size:           8
        .value_kind:     global_buffer
      - .offset:         64
        .size:           4
        .value_kind:     hidden_block_count_x
      - .offset:         68
        .size:           4
        .value_kind:     hidden_block_count_y
      - .offset:         72
        .size:           4
        .value_kind:     hidden_block_count_z
      - .offset:         76
        .size:           2
        .value_kind:     hidden_group_size_x
      - .offset:         78
        .size:           2
        .value_kind:     hidden_group_size_y
      - .offset:         80
        .size:           2
        .value_kind:     hidden_group_size_z
      - .offset:         82
        .size:           2
        .value_kind:     hidden_remainder_x
      - .offset:         84
        .size:           2
        .value_kind:     hidden_remainder_y
      - .offset:         86
        .size:           2
        .value_kind:     hidden_remainder_z
      - .offset:         104
        .size:           8
        .value_kind:     hidden_global_offset_x
      - .offset:         112
        .size:           8
        .value_kind:     hidden_global_offset_y
      - .offset:         120
        .size:           8
        .value_kind:     hidden_global_offset_z
      - .offset:         128
        .size:           2
        .value_kind:     hidden_grid_dims
      - .offset:         184
        .size:           4
        .value_kind:     hidden_dynamic_lds_size
    .group_segment_fixed_size: 0
    .kernarg_segment_align: 8
    .kernarg_segment_size: 320
    .language:       OpenCL C
    .language_version:
      - 2
      - 0
    .max_flat_workgroup_size: 256
    .name:           _ZN2at6native12_GLOBAL__N_135GammaBetaBackwardCUDAKernelTemplateIddLj32ELj8ELj64ELb0ELb1ELb0EEEvllPKT_S5_PKT0_S8_PS3_S9_
    .private_segment_fixed_size: 0
    .sgpr_count:     29
    .sgpr_spill_count: 0
    .symbol:         _ZN2at6native12_GLOBAL__N_135GammaBetaBackwardCUDAKernelTemplateIddLj32ELj8ELj64ELb0ELb1ELb0EEEvllPKT_S5_PKT0_S8_PS3_S9_.kd
    .uniform_work_group_size: 1
    .uses_dynamic_stack: false
    .vgpr_count:     60
    .vgpr_spill_count: 0
    .wavefront_size: 32
    .workgroup_processor_mode: 1
  - .args:
      - .offset:         0
        .size:           8
        .value_kind:     by_value
      - .offset:         8
        .size:           8
        .value_kind:     by_value
      - .actual_access:  read_only
        .address_space:  global
        .offset:         16
        .size:           8
        .value_kind:     global_buffer
      - .actual_access:  read_only
        .address_space:  global
        .offset:         24
        .size:           8
        .value_kind:     global_buffer
      - .actual_access:  read_only
        .address_space:  global
        .offset:         32
        .size:           8
        .value_kind:     global_buffer
      - .actual_access:  read_only
        .address_space:  global
        .offset:         40
        .size:           8
        .value_kind:     global_buffer
      - .actual_access:  write_only
        .address_space:  global
        .offset:         48
        .size:           8
        .value_kind:     global_buffer
      - .actual_access:  write_only
        .address_space:  global
        .offset:         56
        .size:           8
        .value_kind:     global_buffer
      - .offset:         64
        .size:           4
        .value_kind:     hidden_block_count_x
      - .offset:         68
        .size:           4
        .value_kind:     hidden_block_count_y
      - .offset:         72
        .size:           4
        .value_kind:     hidden_block_count_z
      - .offset:         76
        .size:           2
        .value_kind:     hidden_group_size_x
      - .offset:         78
        .size:           2
        .value_kind:     hidden_group_size_y
      - .offset:         80
        .size:           2
        .value_kind:     hidden_group_size_z
      - .offset:         82
        .size:           2
        .value_kind:     hidden_remainder_x
      - .offset:         84
        .size:           2
        .value_kind:     hidden_remainder_y
      - .offset:         86
        .size:           2
        .value_kind:     hidden_remainder_z
      - .offset:         104
        .size:           8
        .value_kind:     hidden_global_offset_x
      - .offset:         112
        .size:           8
        .value_kind:     hidden_global_offset_y
      - .offset:         120
        .size:           8
        .value_kind:     hidden_global_offset_z
      - .offset:         128
        .size:           2
        .value_kind:     hidden_grid_dims
      - .offset:         184
        .size:           4
        .value_kind:     hidden_dynamic_lds_size
    .group_segment_fixed_size: 0
    .kernarg_segment_align: 8
    .kernarg_segment_size: 320
    .language:       OpenCL C
    .language_version:
      - 2
      - 0
    .max_flat_workgroup_size: 256
    .name:           _ZN2at6native12_GLOBAL__N_135GammaBetaBackwardCUDAKernelTemplateIddLj32ELj8ELj64ELb0ELb0ELb0EEEvllPKT_S5_PKT0_S8_PS3_S9_
    .private_segment_fixed_size: 0
    .sgpr_count:     38
    .sgpr_spill_count: 0
    .symbol:         _ZN2at6native12_GLOBAL__N_135GammaBetaBackwardCUDAKernelTemplateIddLj32ELj8ELj64ELb0ELb0ELb0EEEvllPKT_S5_PKT0_S8_PS3_S9_.kd
    .uniform_work_group_size: 1
    .uses_dynamic_stack: false
    .vgpr_count:     113
    .vgpr_spill_count: 0
    .wavefront_size: 32
    .workgroup_processor_mode: 1
  - .args:
      - .offset:         0
        .size:           8
        .value_kind:     by_value
      - .offset:         8
        .size:           8
        .value_kind:     by_value
      - .actual_access:  read_only
        .address_space:  global
        .offset:         16
        .size:           8
        .value_kind:     global_buffer
      - .actual_access:  read_only
        .address_space:  global
        .offset:         24
        .size:           8
        .value_kind:     global_buffer
      - .actual_access:  read_only
        .address_space:  global
        .offset:         32
        .size:           8
        .value_kind:     global_buffer
      - .actual_access:  read_only
        .address_space:  global
        .offset:         40
        .size:           8
        .value_kind:     global_buffer
      - .actual_access:  write_only
        .address_space:  global
        .offset:         48
        .size:           8
        .value_kind:     global_buffer
      - .actual_access:  write_only
        .address_space:  global
        .offset:         56
        .size:           8
        .value_kind:     global_buffer
      - .offset:         64
        .size:           4
        .value_kind:     hidden_block_count_x
      - .offset:         68
        .size:           4
        .value_kind:     hidden_block_count_y
      - .offset:         72
        .size:           4
        .value_kind:     hidden_block_count_z
      - .offset:         76
        .size:           2
        .value_kind:     hidden_group_size_x
      - .offset:         78
        .size:           2
        .value_kind:     hidden_group_size_y
      - .offset:         80
        .size:           2
        .value_kind:     hidden_group_size_z
      - .offset:         82
        .size:           2
        .value_kind:     hidden_remainder_x
      - .offset:         84
        .size:           2
        .value_kind:     hidden_remainder_y
      - .offset:         86
        .size:           2
        .value_kind:     hidden_remainder_z
      - .offset:         104
        .size:           8
        .value_kind:     hidden_global_offset_x
      - .offset:         112
        .size:           8
        .value_kind:     hidden_global_offset_y
      - .offset:         120
        .size:           8
        .value_kind:     hidden_global_offset_z
      - .offset:         128
        .size:           2
        .value_kind:     hidden_grid_dims
      - .offset:         184
        .size:           4
        .value_kind:     hidden_dynamic_lds_size
    .group_segment_fixed_size: 0
    .kernarg_segment_align: 8
    .kernarg_segment_size: 320
    .language:       OpenCL C
    .language_version:
      - 2
      - 0
    .max_flat_workgroup_size: 512
    .name:           _ZN2at6native12_GLOBAL__N_135GammaBetaBackwardCUDAKernelTemplateIddLj32ELj16ELj128ELb0ELb1ELb0EEEvllPKT_S5_PKT0_S8_PS3_S9_
    .private_segment_fixed_size: 0
    .sgpr_count:     29
    .sgpr_spill_count: 0
    .symbol:         _ZN2at6native12_GLOBAL__N_135GammaBetaBackwardCUDAKernelTemplateIddLj32ELj16ELj128ELb0ELb1ELb0EEEvllPKT_S5_PKT0_S8_PS3_S9_.kd
    .uniform_work_group_size: 1
    .uses_dynamic_stack: false
    .vgpr_count:     60
    .vgpr_spill_count: 0
    .wavefront_size: 32
    .workgroup_processor_mode: 1
  - .args:
      - .offset:         0
        .size:           8
        .value_kind:     by_value
      - .offset:         8
        .size:           8
        .value_kind:     by_value
      - .actual_access:  read_only
        .address_space:  global
        .offset:         16
        .size:           8
        .value_kind:     global_buffer
      - .actual_access:  read_only
        .address_space:  global
        .offset:         24
        .size:           8
        .value_kind:     global_buffer
      - .actual_access:  read_only
        .address_space:  global
        .offset:         32
        .size:           8
        .value_kind:     global_buffer
      - .actual_access:  read_only
        .address_space:  global
        .offset:         40
        .size:           8
        .value_kind:     global_buffer
      - .actual_access:  write_only
        .address_space:  global
        .offset:         48
        .size:           8
        .value_kind:     global_buffer
      - .actual_access:  write_only
        .address_space:  global
        .offset:         56
        .size:           8
        .value_kind:     global_buffer
      - .offset:         64
        .size:           4
        .value_kind:     hidden_block_count_x
      - .offset:         68
        .size:           4
        .value_kind:     hidden_block_count_y
      - .offset:         72
        .size:           4
        .value_kind:     hidden_block_count_z
      - .offset:         76
        .size:           2
        .value_kind:     hidden_group_size_x
      - .offset:         78
        .size:           2
        .value_kind:     hidden_group_size_y
      - .offset:         80
        .size:           2
        .value_kind:     hidden_group_size_z
      - .offset:         82
        .size:           2
        .value_kind:     hidden_remainder_x
      - .offset:         84
        .size:           2
        .value_kind:     hidden_remainder_y
      - .offset:         86
        .size:           2
        .value_kind:     hidden_remainder_z
      - .offset:         104
        .size:           8
        .value_kind:     hidden_global_offset_x
      - .offset:         112
        .size:           8
        .value_kind:     hidden_global_offset_y
      - .offset:         120
        .size:           8
        .value_kind:     hidden_global_offset_z
      - .offset:         128
        .size:           2
        .value_kind:     hidden_grid_dims
      - .offset:         184
        .size:           4
        .value_kind:     hidden_dynamic_lds_size
    .group_segment_fixed_size: 0
    .kernarg_segment_align: 8
    .kernarg_segment_size: 320
    .language:       OpenCL C
    .language_version:
      - 2
      - 0
    .max_flat_workgroup_size: 512
    .name:           _ZN2at6native12_GLOBAL__N_135GammaBetaBackwardCUDAKernelTemplateIddLj32ELj16ELj128ELb0ELb0ELb0EEEvllPKT_S5_PKT0_S8_PS3_S9_
    .private_segment_fixed_size: 0
    .sgpr_count:     38
    .sgpr_spill_count: 0
    .symbol:         _ZN2at6native12_GLOBAL__N_135GammaBetaBackwardCUDAKernelTemplateIddLj32ELj16ELj128ELb0ELb0ELb0EEEvllPKT_S5_PKT0_S8_PS3_S9_.kd
    .uniform_work_group_size: 1
    .uses_dynamic_stack: false
    .vgpr_count:     113
    .vgpr_spill_count: 0
    .wavefront_size: 32
    .workgroup_processor_mode: 1
  - .args:
      - .offset:         0
        .size:           8
        .value_kind:     by_value
      - .offset:         8
        .size:           8
        .value_kind:     by_value
      - .actual_access:  read_only
        .address_space:  global
        .offset:         16
        .size:           8
        .value_kind:     global_buffer
      - .actual_access:  read_only
        .address_space:  global
        .offset:         24
        .size:           8
        .value_kind:     global_buffer
      - .actual_access:  read_only
        .address_space:  global
        .offset:         32
        .size:           8
        .value_kind:     global_buffer
      - .actual_access:  read_only
        .address_space:  global
        .offset:         40
        .size:           8
        .value_kind:     global_buffer
      - .actual_access:  write_only
        .address_space:  global
        .offset:         48
        .size:           8
        .value_kind:     global_buffer
      - .actual_access:  write_only
        .address_space:  global
        .offset:         56
        .size:           8
        .value_kind:     global_buffer
      - .offset:         64
        .size:           4
        .value_kind:     hidden_block_count_x
      - .offset:         68
        .size:           4
        .value_kind:     hidden_block_count_y
      - .offset:         72
        .size:           4
        .value_kind:     hidden_block_count_z
      - .offset:         76
        .size:           2
        .value_kind:     hidden_group_size_x
      - .offset:         78
        .size:           2
        .value_kind:     hidden_group_size_y
      - .offset:         80
        .size:           2
        .value_kind:     hidden_group_size_z
      - .offset:         82
        .size:           2
        .value_kind:     hidden_remainder_x
      - .offset:         84
        .size:           2
        .value_kind:     hidden_remainder_y
      - .offset:         86
        .size:           2
        .value_kind:     hidden_remainder_z
      - .offset:         104
        .size:           8
        .value_kind:     hidden_global_offset_x
      - .offset:         112
        .size:           8
        .value_kind:     hidden_global_offset_y
      - .offset:         120
        .size:           8
        .value_kind:     hidden_global_offset_z
      - .offset:         128
        .size:           2
        .value_kind:     hidden_grid_dims
      - .offset:         184
        .size:           4
        .value_kind:     hidden_dynamic_lds_size
    .group_segment_fixed_size: 0
    .kernarg_segment_align: 8
    .kernarg_segment_size: 320
    .language:       OpenCL C
    .language_version:
      - 2
      - 0
    .max_flat_workgroup_size: 1024
    .name:           _ZN2at6native12_GLOBAL__N_135GammaBetaBackwardCUDAKernelTemplateIddLj32ELj32ELj256ELb0ELb1ELb0EEEvllPKT_S5_PKT0_S8_PS3_S9_
    .private_segment_fixed_size: 0
    .sgpr_count:     29
    .sgpr_spill_count: 0
    .symbol:         _ZN2at6native12_GLOBAL__N_135GammaBetaBackwardCUDAKernelTemplateIddLj32ELj32ELj256ELb0ELb1ELb0EEEvllPKT_S5_PKT0_S8_PS3_S9_.kd
    .uniform_work_group_size: 1
    .uses_dynamic_stack: false
    .vgpr_count:     60
    .vgpr_spill_count: 0
    .wavefront_size: 32
    .workgroup_processor_mode: 1
  - .args:
      - .offset:         0
        .size:           8
        .value_kind:     by_value
      - .offset:         8
        .size:           8
        .value_kind:     by_value
      - .actual_access:  read_only
        .address_space:  global
        .offset:         16
        .size:           8
        .value_kind:     global_buffer
      - .actual_access:  read_only
        .address_space:  global
        .offset:         24
        .size:           8
        .value_kind:     global_buffer
      - .actual_access:  read_only
        .address_space:  global
        .offset:         32
        .size:           8
        .value_kind:     global_buffer
      - .actual_access:  read_only
        .address_space:  global
        .offset:         40
        .size:           8
        .value_kind:     global_buffer
      - .actual_access:  write_only
        .address_space:  global
        .offset:         48
        .size:           8
        .value_kind:     global_buffer
      - .actual_access:  write_only
        .address_space:  global
        .offset:         56
        .size:           8
        .value_kind:     global_buffer
      - .offset:         64
        .size:           4
        .value_kind:     hidden_block_count_x
      - .offset:         68
        .size:           4
        .value_kind:     hidden_block_count_y
      - .offset:         72
        .size:           4
        .value_kind:     hidden_block_count_z
      - .offset:         76
        .size:           2
        .value_kind:     hidden_group_size_x
      - .offset:         78
        .size:           2
        .value_kind:     hidden_group_size_y
      - .offset:         80
        .size:           2
        .value_kind:     hidden_group_size_z
      - .offset:         82
        .size:           2
        .value_kind:     hidden_remainder_x
      - .offset:         84
        .size:           2
        .value_kind:     hidden_remainder_y
      - .offset:         86
        .size:           2
        .value_kind:     hidden_remainder_z
      - .offset:         104
        .size:           8
        .value_kind:     hidden_global_offset_x
      - .offset:         112
        .size:           8
        .value_kind:     hidden_global_offset_y
      - .offset:         120
        .size:           8
        .value_kind:     hidden_global_offset_z
      - .offset:         128
        .size:           2
        .value_kind:     hidden_grid_dims
      - .offset:         184
        .size:           4
        .value_kind:     hidden_dynamic_lds_size
    .group_segment_fixed_size: 0
    .kernarg_segment_align: 8
    .kernarg_segment_size: 320
    .language:       OpenCL C
    .language_version:
      - 2
      - 0
    .max_flat_workgroup_size: 1024
    .name:           _ZN2at6native12_GLOBAL__N_135GammaBetaBackwardCUDAKernelTemplateIddLj32ELj32ELj256ELb0ELb0ELb0EEEvllPKT_S5_PKT0_S8_PS3_S9_
    .private_segment_fixed_size: 0
    .sgpr_count:     38
    .sgpr_spill_count: 0
    .symbol:         _ZN2at6native12_GLOBAL__N_135GammaBetaBackwardCUDAKernelTemplateIddLj32ELj32ELj256ELb0ELb0ELb0EEEvllPKT_S5_PKT0_S8_PS3_S9_.kd
    .uniform_work_group_size: 1
    .uses_dynamic_stack: false
    .vgpr_count:     113
    .vgpr_spill_count: 0
    .wavefront_size: 32
    .workgroup_processor_mode: 1
  - .args:
      - .actual_access:  read_only
        .address_space:  global
        .offset:         0
        .size:           8
        .value_kind:     global_buffer
      - .actual_access:  read_only
        .address_space:  global
        .offset:         8
        .size:           8
        .value_kind:     global_buffer
      - .offset:         16
        .size:           8
        .value_kind:     by_value
      - .offset:         24
        .size:           8
        .value_kind:     by_value
      - .actual_access:  read_only
        .address_space:  global
        .offset:         32
        .size:           8
        .value_kind:     global_buffer
      - .actual_access:  read_only
        .address_space:  global
        .offset:         40
        .size:           8
        .value_kind:     global_buffer
      - .address_space:  global
        .offset:         48
        .size:           8
        .value_kind:     global_buffer
      - .address_space:  global
        .offset:         56
        .size:           8
        .value_kind:     global_buffer
      - .offset:         64
        .size:           4
        .value_kind:     hidden_block_count_x
      - .offset:         68
        .size:           4
        .value_kind:     hidden_block_count_y
      - .offset:         72
        .size:           4
        .value_kind:     hidden_block_count_z
      - .offset:         76
        .size:           2
        .value_kind:     hidden_group_size_x
      - .offset:         78
        .size:           2
        .value_kind:     hidden_group_size_y
      - .offset:         80
        .size:           2
        .value_kind:     hidden_group_size_z
      - .offset:         82
        .size:           2
        .value_kind:     hidden_remainder_x
      - .offset:         84
        .size:           2
        .value_kind:     hidden_remainder_y
      - .offset:         86
        .size:           2
        .value_kind:     hidden_remainder_z
      - .offset:         104
        .size:           8
        .value_kind:     hidden_global_offset_x
      - .offset:         112
        .size:           8
        .value_kind:     hidden_global_offset_y
      - .offset:         120
        .size:           8
        .value_kind:     hidden_global_offset_z
      - .offset:         128
        .size:           2
        .value_kind:     hidden_grid_dims
      - .offset:         184
        .size:           4
        .value_kind:     hidden_dynamic_lds_size
    .group_segment_fixed_size: 0
    .kernarg_segment_align: 8
    .kernarg_segment_size: 320
    .language:       OpenCL C
    .language_version:
      - 2
      - 0
    .max_flat_workgroup_size: 1024
    .name:           _ZN2at6native12_GLOBAL__N_118cuComputeGradInputIffLb0EEEvPKT_S5_llPKT0_S8_S5_PS3_
    .private_segment_fixed_size: 0
    .sgpr_count:     44
    .sgpr_spill_count: 0
    .symbol:         _ZN2at6native12_GLOBAL__N_118cuComputeGradInputIffLb0EEEvPKT_S5_llPKT0_S8_S5_PS3_.kd
    .uniform_work_group_size: 1
    .uses_dynamic_stack: false
    .vgpr_count:     25
    .vgpr_spill_count: 0
    .wavefront_size: 32
    .workgroup_processor_mode: 1
  - .args:
      - .actual_access:  read_only
        .address_space:  global
        .offset:         0
        .size:           8
        .value_kind:     global_buffer
      - .actual_access:  read_only
        .address_space:  global
        .offset:         8
        .size:           8
        .value_kind:     global_buffer
      - .actual_access:  read_only
        .address_space:  global
        .offset:         16
        .size:           8
        .value_kind:     global_buffer
      - .actual_access:  read_only
        .address_space:  global
        .offset:         24
        .size:           8
        .value_kind:     global_buffer
      - .actual_access:  read_only
        .address_space:  global
        .offset:         32
        .size:           8
        .value_kind:     global_buffer
      - .address_space:  global
        .offset:         40
        .size:           8
        .value_kind:     global_buffer
      - .offset:         48
        .size:           4
        .value_kind:     by_value
      - .offset:         56
        .size:           4
        .value_kind:     hidden_block_count_x
      - .offset:         60
        .size:           4
        .value_kind:     hidden_block_count_y
      - .offset:         64
        .size:           4
        .value_kind:     hidden_block_count_z
      - .offset:         68
        .size:           2
        .value_kind:     hidden_group_size_x
      - .offset:         70
        .size:           2
        .value_kind:     hidden_group_size_y
      - .offset:         72
        .size:           2
        .value_kind:     hidden_group_size_z
      - .offset:         74
        .size:           2
        .value_kind:     hidden_remainder_x
      - .offset:         76
        .size:           2
        .value_kind:     hidden_remainder_y
      - .offset:         78
        .size:           2
        .value_kind:     hidden_remainder_z
      - .offset:         96
        .size:           8
        .value_kind:     hidden_global_offset_x
      - .offset:         104
        .size:           8
        .value_kind:     hidden_global_offset_y
      - .offset:         112
        .size:           8
        .value_kind:     hidden_global_offset_z
      - .offset:         120
        .size:           2
        .value_kind:     hidden_grid_dims
      - .offset:         176
        .size:           4
        .value_kind:     hidden_dynamic_lds_size
    .group_segment_fixed_size: 0
    .kernarg_segment_align: 8
    .kernarg_segment_size: 312
    .language:       OpenCL C
    .language_version:
      - 2
      - 0
    .max_flat_workgroup_size: 1024
    .name:           _ZN2at6native12_GLOBAL__N_128layer_norm_grad_input_kernelIffLb0EEEvPKT_S5_PKT0_S8_S5_PS3_i
    .private_segment_fixed_size: 0
    .sgpr_count:     23
    .sgpr_spill_count: 0
    .symbol:         _ZN2at6native12_GLOBAL__N_128layer_norm_grad_input_kernelIffLb0EEEvPKT_S5_PKT0_S8_S5_PS3_i.kd
    .uniform_work_group_size: 1
    .uses_dynamic_stack: false
    .vgpr_count:     21
    .vgpr_spill_count: 0
    .wavefront_size: 32
    .workgroup_processor_mode: 1
  - .args:
      - .offset:         0
        .size:           8
        .value_kind:     by_value
      - .offset:         8
        .size:           8
        .value_kind:     by_value
      - .address_space:  global
        .offset:         16
        .size:           8
        .value_kind:     global_buffer
      - .address_space:  global
        .offset:         24
        .size:           8
        .value_kind:     global_buffer
      - .address_space:  global
        .offset:         32
        .size:           8
        .value_kind:     global_buffer
      - .address_space:  global
        .offset:         40
        .size:           8
        .value_kind:     global_buffer
      - .address_space:  global
        .offset:         48
        .size:           8
        .value_kind:     global_buffer
      - .address_space:  global
        .offset:         56
        .size:           8
        .value_kind:     global_buffer
      - .offset:         64
        .size:           4
        .value_kind:     hidden_block_count_x
      - .offset:         68
        .size:           4
        .value_kind:     hidden_block_count_y
      - .offset:         72
        .size:           4
        .value_kind:     hidden_block_count_z
      - .offset:         76
        .size:           2
        .value_kind:     hidden_group_size_x
      - .offset:         78
        .size:           2
        .value_kind:     hidden_group_size_y
      - .offset:         80
        .size:           2
        .value_kind:     hidden_group_size_z
      - .offset:         82
        .size:           2
        .value_kind:     hidden_remainder_x
      - .offset:         84
        .size:           2
        .value_kind:     hidden_remainder_y
      - .offset:         86
        .size:           2
        .value_kind:     hidden_remainder_z
      - .offset:         104
        .size:           8
        .value_kind:     hidden_global_offset_x
      - .offset:         112
        .size:           8
        .value_kind:     hidden_global_offset_y
      - .offset:         120
        .size:           8
        .value_kind:     hidden_global_offset_z
      - .offset:         128
        .size:           2
        .value_kind:     hidden_grid_dims
    .group_segment_fixed_size: 0
    .kernarg_segment_align: 8
    .kernarg_segment_size: 320
    .language:       OpenCL C
    .language_version:
      - 2
      - 0
    .max_flat_workgroup_size: 1024
    .name:           _ZN2at6native12_GLOBAL__N_133GammaBetaBackwardSimpleCUDAKernelIffLb0EEEvllPKT_S5_PKT0_S8_PS3_S9_
    .private_segment_fixed_size: 0
    .sgpr_count:     22
    .sgpr_spill_count: 0
    .symbol:         _ZN2at6native12_GLOBAL__N_133GammaBetaBackwardSimpleCUDAKernelIffLb0EEEvllPKT_S5_PKT0_S8_PS3_S9_.kd
    .uniform_work_group_size: 1
    .uses_dynamic_stack: false
    .vgpr_count:     10
    .vgpr_spill_count: 0
    .wavefront_size: 32
    .workgroup_processor_mode: 1
  - .args:
      - .offset:         0
        .size:           8
        .value_kind:     by_value
      - .offset:         8
        .size:           8
        .value_kind:     by_value
      - .actual_access:  read_only
        .address_space:  global
        .offset:         16
        .size:           8
        .value_kind:     global_buffer
      - .actual_access:  read_only
        .address_space:  global
        .offset:         24
        .size:           8
        .value_kind:     global_buffer
      - .actual_access:  read_only
        .address_space:  global
        .offset:         32
        .size:           8
        .value_kind:     global_buffer
      - .actual_access:  read_only
        .address_space:  global
        .offset:         40
        .size:           8
        .value_kind:     global_buffer
      - .actual_access:  write_only
        .address_space:  global
        .offset:         48
        .size:           8
        .value_kind:     global_buffer
      - .actual_access:  write_only
        .address_space:  global
        .offset:         56
        .size:           8
        .value_kind:     global_buffer
      - .offset:         64
        .size:           4
        .value_kind:     hidden_block_count_x
      - .offset:         68
        .size:           4
        .value_kind:     hidden_block_count_y
      - .offset:         72
        .size:           4
        .value_kind:     hidden_block_count_z
      - .offset:         76
        .size:           2
        .value_kind:     hidden_group_size_x
      - .offset:         78
        .size:           2
        .value_kind:     hidden_group_size_y
      - .offset:         80
        .size:           2
        .value_kind:     hidden_group_size_z
      - .offset:         82
        .size:           2
        .value_kind:     hidden_remainder_x
      - .offset:         84
        .size:           2
        .value_kind:     hidden_remainder_y
      - .offset:         86
        .size:           2
        .value_kind:     hidden_remainder_z
      - .offset:         104
        .size:           8
        .value_kind:     hidden_global_offset_x
      - .offset:         112
        .size:           8
        .value_kind:     hidden_global_offset_y
      - .offset:         120
        .size:           8
        .value_kind:     hidden_global_offset_z
      - .offset:         128
        .size:           2
        .value_kind:     hidden_grid_dims
    .group_segment_fixed_size: 0
    .kernarg_segment_align: 8
    .kernarg_segment_size: 320
    .language:       OpenCL C
    .language_version:
      - 2
      - 0
    .max_flat_workgroup_size: 64
    .name:           _ZN2at6native12_GLOBAL__N_135GammaBetaBackwardCUDAKernelTemplateIffLj64ELj1ELj32ELb1ELb1ELb0EEEvllPKT_S5_PKT0_S8_PS3_S9_
    .private_segment_fixed_size: 0
    .sgpr_count:     31
    .sgpr_spill_count: 0
    .symbol:         _ZN2at6native12_GLOBAL__N_135GammaBetaBackwardCUDAKernelTemplateIffLj64ELj1ELj32ELb1ELb1ELb0EEEvllPKT_S5_PKT0_S8_PS3_S9_.kd
    .uniform_work_group_size: 1
    .uses_dynamic_stack: false
    .vgpr_count:     116
    .vgpr_spill_count: 0
    .wavefront_size: 32
    .workgroup_processor_mode: 1
  - .args:
      - .offset:         0
        .size:           8
        .value_kind:     by_value
      - .offset:         8
        .size:           8
        .value_kind:     by_value
      - .actual_access:  read_only
        .address_space:  global
        .offset:         16
        .size:           8
        .value_kind:     global_buffer
      - .actual_access:  read_only
        .address_space:  global
        .offset:         24
        .size:           8
        .value_kind:     global_buffer
      - .actual_access:  read_only
        .address_space:  global
        .offset:         32
        .size:           8
        .value_kind:     global_buffer
      - .actual_access:  read_only
        .address_space:  global
        .offset:         40
        .size:           8
        .value_kind:     global_buffer
      - .actual_access:  write_only
        .address_space:  global
        .offset:         48
        .size:           8
        .value_kind:     global_buffer
      - .actual_access:  write_only
        .address_space:  global
        .offset:         56
        .size:           8
        .value_kind:     global_buffer
      - .offset:         64
        .size:           4
        .value_kind:     hidden_block_count_x
      - .offset:         68
        .size:           4
        .value_kind:     hidden_block_count_y
      - .offset:         72
        .size:           4
        .value_kind:     hidden_block_count_z
      - .offset:         76
        .size:           2
        .value_kind:     hidden_group_size_x
      - .offset:         78
        .size:           2
        .value_kind:     hidden_group_size_y
      - .offset:         80
        .size:           2
        .value_kind:     hidden_group_size_z
      - .offset:         82
        .size:           2
        .value_kind:     hidden_remainder_x
      - .offset:         84
        .size:           2
        .value_kind:     hidden_remainder_y
      - .offset:         86
        .size:           2
        .value_kind:     hidden_remainder_z
      - .offset:         104
        .size:           8
        .value_kind:     hidden_global_offset_x
      - .offset:         112
        .size:           8
        .value_kind:     hidden_global_offset_y
      - .offset:         120
        .size:           8
        .value_kind:     hidden_global_offset_z
      - .offset:         128
        .size:           2
        .value_kind:     hidden_grid_dims
    .group_segment_fixed_size: 0
    .kernarg_segment_align: 8
    .kernarg_segment_size: 320
    .language:       OpenCL C
    .language_version:
      - 2
      - 0
    .max_flat_workgroup_size: 64
    .name:           _ZN2at6native12_GLOBAL__N_135GammaBetaBackwardCUDAKernelTemplateIffLj64ELj1ELj32ELb1ELb0ELb0EEEvllPKT_S5_PKT0_S8_PS3_S9_
    .private_segment_fixed_size: 320
    .sgpr_count:     38
    .sgpr_spill_count: 0
    .symbol:         _ZN2at6native12_GLOBAL__N_135GammaBetaBackwardCUDAKernelTemplateIffLj64ELj1ELj32ELb1ELb0ELb0EEEvllPKT_S5_PKT0_S8_PS3_S9_.kd
    .uniform_work_group_size: 1
    .uses_dynamic_stack: false
    .vgpr_count:     256
    .vgpr_spill_count: 154
    .wavefront_size: 32
    .workgroup_processor_mode: 1
  - .args:
      - .offset:         0
        .size:           8
        .value_kind:     by_value
      - .offset:         8
        .size:           8
        .value_kind:     by_value
      - .actual_access:  read_only
        .address_space:  global
        .offset:         16
        .size:           8
        .value_kind:     global_buffer
      - .actual_access:  read_only
        .address_space:  global
        .offset:         24
        .size:           8
        .value_kind:     global_buffer
      - .actual_access:  read_only
        .address_space:  global
        .offset:         32
        .size:           8
        .value_kind:     global_buffer
      - .actual_access:  read_only
        .address_space:  global
        .offset:         40
        .size:           8
        .value_kind:     global_buffer
      - .actual_access:  write_only
        .address_space:  global
        .offset:         48
        .size:           8
        .value_kind:     global_buffer
      - .actual_access:  write_only
        .address_space:  global
        .offset:         56
        .size:           8
        .value_kind:     global_buffer
      - .offset:         64
        .size:           4
        .value_kind:     hidden_block_count_x
      - .offset:         68
        .size:           4
        .value_kind:     hidden_block_count_y
      - .offset:         72
        .size:           4
        .value_kind:     hidden_block_count_z
      - .offset:         76
        .size:           2
        .value_kind:     hidden_group_size_x
      - .offset:         78
        .size:           2
        .value_kind:     hidden_group_size_y
      - .offset:         80
        .size:           2
        .value_kind:     hidden_group_size_z
      - .offset:         82
        .size:           2
        .value_kind:     hidden_remainder_x
      - .offset:         84
        .size:           2
        .value_kind:     hidden_remainder_y
      - .offset:         86
        .size:           2
        .value_kind:     hidden_remainder_z
      - .offset:         104
        .size:           8
        .value_kind:     hidden_global_offset_x
      - .offset:         112
        .size:           8
        .value_kind:     hidden_global_offset_y
      - .offset:         120
        .size:           8
        .value_kind:     hidden_global_offset_z
      - .offset:         128
        .size:           2
        .value_kind:     hidden_grid_dims
    .group_segment_fixed_size: 0
    .kernarg_segment_align: 8
    .kernarg_segment_size: 320
    .language:       OpenCL C
    .language_version:
      - 2
      - 0
    .max_flat_workgroup_size: 64
    .name:           _ZN2at6native12_GLOBAL__N_135GammaBetaBackwardCUDAKernelTemplateIffLj64ELj1ELj8ELb1ELb1ELb0EEEvllPKT_S5_PKT0_S8_PS3_S9_
    .private_segment_fixed_size: 0
    .sgpr_count:     33
    .sgpr_spill_count: 0
    .symbol:         _ZN2at6native12_GLOBAL__N_135GammaBetaBackwardCUDAKernelTemplateIffLj64ELj1ELj8ELb1ELb1ELb0EEEvllPKT_S5_PKT0_S8_PS3_S9_.kd
    .uniform_work_group_size: 1
    .uses_dynamic_stack: false
    .vgpr_count:     44
    .vgpr_spill_count: 0
    .wavefront_size: 32
    .workgroup_processor_mode: 1
  - .args:
      - .offset:         0
        .size:           8
        .value_kind:     by_value
      - .offset:         8
        .size:           8
        .value_kind:     by_value
      - .actual_access:  read_only
        .address_space:  global
        .offset:         16
        .size:           8
        .value_kind:     global_buffer
      - .actual_access:  read_only
        .address_space:  global
        .offset:         24
        .size:           8
        .value_kind:     global_buffer
      - .actual_access:  read_only
        .address_space:  global
        .offset:         32
        .size:           8
        .value_kind:     global_buffer
      - .actual_access:  read_only
        .address_space:  global
        .offset:         40
        .size:           8
        .value_kind:     global_buffer
      - .actual_access:  write_only
        .address_space:  global
        .offset:         48
        .size:           8
        .value_kind:     global_buffer
      - .actual_access:  write_only
        .address_space:  global
        .offset:         56
        .size:           8
        .value_kind:     global_buffer
      - .offset:         64
        .size:           4
        .value_kind:     hidden_block_count_x
      - .offset:         68
        .size:           4
        .value_kind:     hidden_block_count_y
      - .offset:         72
        .size:           4
        .value_kind:     hidden_block_count_z
      - .offset:         76
        .size:           2
        .value_kind:     hidden_group_size_x
      - .offset:         78
        .size:           2
        .value_kind:     hidden_group_size_y
      - .offset:         80
        .size:           2
        .value_kind:     hidden_group_size_z
      - .offset:         82
        .size:           2
        .value_kind:     hidden_remainder_x
      - .offset:         84
        .size:           2
        .value_kind:     hidden_remainder_y
      - .offset:         86
        .size:           2
        .value_kind:     hidden_remainder_z
      - .offset:         104
        .size:           8
        .value_kind:     hidden_global_offset_x
      - .offset:         112
        .size:           8
        .value_kind:     hidden_global_offset_y
      - .offset:         120
        .size:           8
        .value_kind:     hidden_global_offset_z
      - .offset:         128
        .size:           2
        .value_kind:     hidden_grid_dims
    .group_segment_fixed_size: 0
    .kernarg_segment_align: 8
    .kernarg_segment_size: 320
    .language:       OpenCL C
    .language_version:
      - 2
      - 0
    .max_flat_workgroup_size: 64
    .name:           _ZN2at6native12_GLOBAL__N_135GammaBetaBackwardCUDAKernelTemplateIffLj64ELj1ELj8ELb1ELb0ELb0EEEvllPKT_S5_PKT0_S8_PS3_S9_
    .private_segment_fixed_size: 0
    .sgpr_count:     38
    .sgpr_spill_count: 0
    .symbol:         _ZN2at6native12_GLOBAL__N_135GammaBetaBackwardCUDAKernelTemplateIffLj64ELj1ELj8ELb1ELb0ELb0EEEvllPKT_S5_PKT0_S8_PS3_S9_.kd
    .uniform_work_group_size: 1
    .uses_dynamic_stack: false
    .vgpr_count:     102
    .vgpr_spill_count: 0
    .wavefront_size: 32
    .workgroup_processor_mode: 1
  - .args:
      - .offset:         0
        .size:           8
        .value_kind:     by_value
      - .offset:         8
        .size:           8
        .value_kind:     by_value
      - .actual_access:  read_only
        .address_space:  global
        .offset:         16
        .size:           8
        .value_kind:     global_buffer
      - .actual_access:  read_only
        .address_space:  global
        .offset:         24
        .size:           8
        .value_kind:     global_buffer
      - .actual_access:  read_only
        .address_space:  global
        .offset:         32
        .size:           8
        .value_kind:     global_buffer
      - .actual_access:  read_only
        .address_space:  global
        .offset:         40
        .size:           8
        .value_kind:     global_buffer
      - .actual_access:  write_only
        .address_space:  global
        .offset:         48
        .size:           8
        .value_kind:     global_buffer
      - .actual_access:  write_only
        .address_space:  global
        .offset:         56
        .size:           8
        .value_kind:     global_buffer
      - .offset:         64
        .size:           4
        .value_kind:     hidden_block_count_x
      - .offset:         68
        .size:           4
        .value_kind:     hidden_block_count_y
      - .offset:         72
        .size:           4
        .value_kind:     hidden_block_count_z
      - .offset:         76
        .size:           2
        .value_kind:     hidden_group_size_x
      - .offset:         78
        .size:           2
        .value_kind:     hidden_group_size_y
      - .offset:         80
        .size:           2
        .value_kind:     hidden_group_size_z
      - .offset:         82
        .size:           2
        .value_kind:     hidden_remainder_x
      - .offset:         84
        .size:           2
        .value_kind:     hidden_remainder_y
      - .offset:         86
        .size:           2
        .value_kind:     hidden_remainder_z
      - .offset:         104
        .size:           8
        .value_kind:     hidden_global_offset_x
      - .offset:         112
        .size:           8
        .value_kind:     hidden_global_offset_y
      - .offset:         120
        .size:           8
        .value_kind:     hidden_global_offset_z
      - .offset:         128
        .size:           2
        .value_kind:     hidden_grid_dims
      - .offset:         184
        .size:           4
        .value_kind:     hidden_dynamic_lds_size
    .group_segment_fixed_size: 0
    .kernarg_segment_align: 8
    .kernarg_segment_size: 320
    .language:       OpenCL C
    .language_version:
      - 2
      - 0
    .max_flat_workgroup_size: 512
    .name:           _ZN2at6native12_GLOBAL__N_135GammaBetaBackwardCUDAKernelTemplateIffLj64ELj8ELj64ELb0ELb1ELb0EEEvllPKT_S5_PKT0_S8_PS3_S9_
    .private_segment_fixed_size: 0
    .sgpr_count:     29
    .sgpr_spill_count: 0
    .symbol:         _ZN2at6native12_GLOBAL__N_135GammaBetaBackwardCUDAKernelTemplateIffLj64ELj8ELj64ELb0ELb1ELb0EEEvllPKT_S5_PKT0_S8_PS3_S9_.kd
    .uniform_work_group_size: 1
    .uses_dynamic_stack: false
    .vgpr_count:     44
    .vgpr_spill_count: 0
    .wavefront_size: 32
    .workgroup_processor_mode: 1
  - .args:
      - .offset:         0
        .size:           8
        .value_kind:     by_value
      - .offset:         8
        .size:           8
        .value_kind:     by_value
      - .actual_access:  read_only
        .address_space:  global
        .offset:         16
        .size:           8
        .value_kind:     global_buffer
      - .actual_access:  read_only
        .address_space:  global
        .offset:         24
        .size:           8
        .value_kind:     global_buffer
      - .actual_access:  read_only
        .address_space:  global
        .offset:         32
        .size:           8
        .value_kind:     global_buffer
      - .actual_access:  read_only
        .address_space:  global
        .offset:         40
        .size:           8
        .value_kind:     global_buffer
      - .actual_access:  write_only
        .address_space:  global
        .offset:         48
        .size:           8
        .value_kind:     global_buffer
      - .actual_access:  write_only
        .address_space:  global
        .offset:         56
        .size:           8
        .value_kind:     global_buffer
      - .offset:         64
        .size:           4
        .value_kind:     hidden_block_count_x
      - .offset:         68
        .size:           4
        .value_kind:     hidden_block_count_y
      - .offset:         72
        .size:           4
        .value_kind:     hidden_block_count_z
      - .offset:         76
        .size:           2
        .value_kind:     hidden_group_size_x
      - .offset:         78
        .size:           2
        .value_kind:     hidden_group_size_y
      - .offset:         80
        .size:           2
        .value_kind:     hidden_group_size_z
      - .offset:         82
        .size:           2
        .value_kind:     hidden_remainder_x
      - .offset:         84
        .size:           2
        .value_kind:     hidden_remainder_y
      - .offset:         86
        .size:           2
        .value_kind:     hidden_remainder_z
      - .offset:         104
        .size:           8
        .value_kind:     hidden_global_offset_x
      - .offset:         112
        .size:           8
        .value_kind:     hidden_global_offset_y
      - .offset:         120
        .size:           8
        .value_kind:     hidden_global_offset_z
      - .offset:         128
        .size:           2
        .value_kind:     hidden_grid_dims
      - .offset:         184
        .size:           4
        .value_kind:     hidden_dynamic_lds_size
    .group_segment_fixed_size: 0
    .kernarg_segment_align: 8
    .kernarg_segment_size: 320
    .language:       OpenCL C
    .language_version:
      - 2
      - 0
    .max_flat_workgroup_size: 512
    .name:           _ZN2at6native12_GLOBAL__N_135GammaBetaBackwardCUDAKernelTemplateIffLj64ELj8ELj64ELb0ELb0ELb0EEEvllPKT_S5_PKT0_S8_PS3_S9_
    .private_segment_fixed_size: 0
    .sgpr_count:     38
    .sgpr_spill_count: 0
    .symbol:         _ZN2at6native12_GLOBAL__N_135GammaBetaBackwardCUDAKernelTemplateIffLj64ELj8ELj64ELb0ELb0ELb0EEEvllPKT_S5_PKT0_S8_PS3_S9_.kd
    .uniform_work_group_size: 1
    .uses_dynamic_stack: false
    .vgpr_count:     93
    .vgpr_spill_count: 0
    .wavefront_size: 32
    .workgroup_processor_mode: 1
  - .args:
      - .offset:         0
        .size:           8
        .value_kind:     by_value
      - .offset:         8
        .size:           8
        .value_kind:     by_value
      - .actual_access:  read_only
        .address_space:  global
        .offset:         16
        .size:           8
        .value_kind:     global_buffer
      - .actual_access:  read_only
        .address_space:  global
        .offset:         24
        .size:           8
        .value_kind:     global_buffer
      - .actual_access:  read_only
        .address_space:  global
        .offset:         32
        .size:           8
        .value_kind:     global_buffer
      - .actual_access:  read_only
        .address_space:  global
        .offset:         40
        .size:           8
        .value_kind:     global_buffer
      - .actual_access:  write_only
        .address_space:  global
        .offset:         48
        .size:           8
        .value_kind:     global_buffer
      - .actual_access:  write_only
        .address_space:  global
        .offset:         56
        .size:           8
        .value_kind:     global_buffer
      - .offset:         64
        .size:           4
        .value_kind:     hidden_block_count_x
      - .offset:         68
        .size:           4
        .value_kind:     hidden_block_count_y
      - .offset:         72
        .size:           4
        .value_kind:     hidden_block_count_z
      - .offset:         76
        .size:           2
        .value_kind:     hidden_group_size_x
      - .offset:         78
        .size:           2
        .value_kind:     hidden_group_size_y
      - .offset:         80
        .size:           2
        .value_kind:     hidden_group_size_z
      - .offset:         82
        .size:           2
        .value_kind:     hidden_remainder_x
      - .offset:         84
        .size:           2
        .value_kind:     hidden_remainder_y
      - .offset:         86
        .size:           2
        .value_kind:     hidden_remainder_z
      - .offset:         104
        .size:           8
        .value_kind:     hidden_global_offset_x
      - .offset:         112
        .size:           8
        .value_kind:     hidden_global_offset_y
      - .offset:         120
        .size:           8
        .value_kind:     hidden_global_offset_z
      - .offset:         128
        .size:           2
        .value_kind:     hidden_grid_dims
      - .offset:         184
        .size:           4
        .value_kind:     hidden_dynamic_lds_size
    .group_segment_fixed_size: 0
    .kernarg_segment_align: 8
    .kernarg_segment_size: 320
    .language:       OpenCL C
    .language_version:
      - 2
      - 0
    .max_flat_workgroup_size: 1024
    .name:           _ZN2at6native12_GLOBAL__N_135GammaBetaBackwardCUDAKernelTemplateIffLj64ELj16ELj128ELb0ELb1ELb0EEEvllPKT_S5_PKT0_S8_PS3_S9_
    .private_segment_fixed_size: 0
    .sgpr_count:     29
    .sgpr_spill_count: 0
    .symbol:         _ZN2at6native12_GLOBAL__N_135GammaBetaBackwardCUDAKernelTemplateIffLj64ELj16ELj128ELb0ELb1ELb0EEEvllPKT_S5_PKT0_S8_PS3_S9_.kd
    .uniform_work_group_size: 1
    .uses_dynamic_stack: false
    .vgpr_count:     44
    .vgpr_spill_count: 0
    .wavefront_size: 32
    .workgroup_processor_mode: 1
  - .args:
      - .offset:         0
        .size:           8
        .value_kind:     by_value
      - .offset:         8
        .size:           8
        .value_kind:     by_value
      - .actual_access:  read_only
        .address_space:  global
        .offset:         16
        .size:           8
        .value_kind:     global_buffer
      - .actual_access:  read_only
        .address_space:  global
        .offset:         24
        .size:           8
        .value_kind:     global_buffer
      - .actual_access:  read_only
        .address_space:  global
        .offset:         32
        .size:           8
        .value_kind:     global_buffer
      - .actual_access:  read_only
        .address_space:  global
        .offset:         40
        .size:           8
        .value_kind:     global_buffer
      - .actual_access:  write_only
        .address_space:  global
        .offset:         48
        .size:           8
        .value_kind:     global_buffer
      - .actual_access:  write_only
        .address_space:  global
        .offset:         56
        .size:           8
        .value_kind:     global_buffer
      - .offset:         64
        .size:           4
        .value_kind:     hidden_block_count_x
      - .offset:         68
        .size:           4
        .value_kind:     hidden_block_count_y
      - .offset:         72
        .size:           4
        .value_kind:     hidden_block_count_z
      - .offset:         76
        .size:           2
        .value_kind:     hidden_group_size_x
      - .offset:         78
        .size:           2
        .value_kind:     hidden_group_size_y
      - .offset:         80
        .size:           2
        .value_kind:     hidden_group_size_z
      - .offset:         82
        .size:           2
        .value_kind:     hidden_remainder_x
      - .offset:         84
        .size:           2
        .value_kind:     hidden_remainder_y
      - .offset:         86
        .size:           2
        .value_kind:     hidden_remainder_z
      - .offset:         104
        .size:           8
        .value_kind:     hidden_global_offset_x
      - .offset:         112
        .size:           8
        .value_kind:     hidden_global_offset_y
      - .offset:         120
        .size:           8
        .value_kind:     hidden_global_offset_z
      - .offset:         128
        .size:           2
        .value_kind:     hidden_grid_dims
      - .offset:         184
        .size:           4
        .value_kind:     hidden_dynamic_lds_size
    .group_segment_fixed_size: 0
    .kernarg_segment_align: 8
    .kernarg_segment_size: 320
    .language:       OpenCL C
    .language_version:
      - 2
      - 0
    .max_flat_workgroup_size: 1024
    .name:           _ZN2at6native12_GLOBAL__N_135GammaBetaBackwardCUDAKernelTemplateIffLj64ELj16ELj128ELb0ELb0ELb0EEEvllPKT_S5_PKT0_S8_PS3_S9_
    .private_segment_fixed_size: 0
    .sgpr_count:     38
    .sgpr_spill_count: 0
    .symbol:         _ZN2at6native12_GLOBAL__N_135GammaBetaBackwardCUDAKernelTemplateIffLj64ELj16ELj128ELb0ELb0ELb0EEEvllPKT_S5_PKT0_S8_PS3_S9_.kd
    .uniform_work_group_size: 1
    .uses_dynamic_stack: false
    .vgpr_count:     93
    .vgpr_spill_count: 0
    .wavefront_size: 32
    .workgroup_processor_mode: 1
  - .args:
      - .offset:         0
        .size:           8
        .value_kind:     by_value
      - .offset:         8
        .size:           8
        .value_kind:     by_value
      - .actual_access:  read_only
        .address_space:  global
        .offset:         16
        .size:           8
        .value_kind:     global_buffer
      - .actual_access:  read_only
        .address_space:  global
        .offset:         24
        .size:           8
        .value_kind:     global_buffer
      - .actual_access:  read_only
        .address_space:  global
        .offset:         32
        .size:           8
        .value_kind:     global_buffer
      - .actual_access:  read_only
        .address_space:  global
        .offset:         40
        .size:           8
        .value_kind:     global_buffer
      - .actual_access:  write_only
        .address_space:  global
        .offset:         48
        .size:           8
        .value_kind:     global_buffer
      - .actual_access:  write_only
        .address_space:  global
        .offset:         56
        .size:           8
        .value_kind:     global_buffer
      - .offset:         64
        .size:           4
        .value_kind:     hidden_block_count_x
      - .offset:         68
        .size:           4
        .value_kind:     hidden_block_count_y
      - .offset:         72
        .size:           4
        .value_kind:     hidden_block_count_z
      - .offset:         76
        .size:           2
        .value_kind:     hidden_group_size_x
      - .offset:         78
        .size:           2
        .value_kind:     hidden_group_size_y
      - .offset:         80
        .size:           2
        .value_kind:     hidden_group_size_z
      - .offset:         82
        .size:           2
        .value_kind:     hidden_remainder_x
      - .offset:         84
        .size:           2
        .value_kind:     hidden_remainder_y
      - .offset:         86
        .size:           2
        .value_kind:     hidden_remainder_z
      - .offset:         104
        .size:           8
        .value_kind:     hidden_global_offset_x
      - .offset:         112
        .size:           8
        .value_kind:     hidden_global_offset_y
      - .offset:         120
        .size:           8
        .value_kind:     hidden_global_offset_z
      - .offset:         128
        .size:           2
        .value_kind:     hidden_grid_dims
      - .offset:         184
        .size:           4
        .value_kind:     hidden_dynamic_lds_size
    .group_segment_fixed_size: 0
    .kernarg_segment_align: 8
    .kernarg_segment_size: 320
    .language:       OpenCL C
    .language_version:
      - 2
      - 0
    .max_flat_workgroup_size: 1024
    .name:           _ZN2at6native12_GLOBAL__N_135GammaBetaBackwardCUDAKernelTemplateIffLj64ELj16ELj256ELb0ELb1ELb0EEEvllPKT_S5_PKT0_S8_PS3_S9_
    .private_segment_fixed_size: 0
    .sgpr_count:     29
    .sgpr_spill_count: 0
    .symbol:         _ZN2at6native12_GLOBAL__N_135GammaBetaBackwardCUDAKernelTemplateIffLj64ELj16ELj256ELb0ELb1ELb0EEEvllPKT_S5_PKT0_S8_PS3_S9_.kd
    .uniform_work_group_size: 1
    .uses_dynamic_stack: false
    .vgpr_count:     68
    .vgpr_spill_count: 0
    .wavefront_size: 32
    .workgroup_processor_mode: 1
  - .args:
      - .offset:         0
        .size:           8
        .value_kind:     by_value
      - .offset:         8
        .size:           8
        .value_kind:     by_value
      - .actual_access:  read_only
        .address_space:  global
        .offset:         16
        .size:           8
        .value_kind:     global_buffer
      - .actual_access:  read_only
        .address_space:  global
        .offset:         24
        .size:           8
        .value_kind:     global_buffer
      - .actual_access:  read_only
        .address_space:  global
        .offset:         32
        .size:           8
        .value_kind:     global_buffer
      - .actual_access:  read_only
        .address_space:  global
        .offset:         40
        .size:           8
        .value_kind:     global_buffer
      - .actual_access:  write_only
        .address_space:  global
        .offset:         48
        .size:           8
        .value_kind:     global_buffer
      - .actual_access:  write_only
        .address_space:  global
        .offset:         56
        .size:           8
        .value_kind:     global_buffer
      - .offset:         64
        .size:           4
        .value_kind:     hidden_block_count_x
      - .offset:         68
        .size:           4
        .value_kind:     hidden_block_count_y
      - .offset:         72
        .size:           4
        .value_kind:     hidden_block_count_z
      - .offset:         76
        .size:           2
        .value_kind:     hidden_group_size_x
      - .offset:         78
        .size:           2
        .value_kind:     hidden_group_size_y
      - .offset:         80
        .size:           2
        .value_kind:     hidden_group_size_z
      - .offset:         82
        .size:           2
        .value_kind:     hidden_remainder_x
      - .offset:         84
        .size:           2
        .value_kind:     hidden_remainder_y
      - .offset:         86
        .size:           2
        .value_kind:     hidden_remainder_z
      - .offset:         104
        .size:           8
        .value_kind:     hidden_global_offset_x
      - .offset:         112
        .size:           8
        .value_kind:     hidden_global_offset_y
      - .offset:         120
        .size:           8
        .value_kind:     hidden_global_offset_z
      - .offset:         128
        .size:           2
        .value_kind:     hidden_grid_dims
      - .offset:         184
        .size:           4
        .value_kind:     hidden_dynamic_lds_size
    .group_segment_fixed_size: 0
    .kernarg_segment_align: 8
    .kernarg_segment_size: 320
    .language:       OpenCL C
    .language_version:
      - 2
      - 0
    .max_flat_workgroup_size: 1024
    .name:           _ZN2at6native12_GLOBAL__N_135GammaBetaBackwardCUDAKernelTemplateIffLj64ELj16ELj256ELb0ELb0ELb0EEEvllPKT_S5_PKT0_S8_PS3_S9_
    .private_segment_fixed_size: 0
    .sgpr_count:     38
    .sgpr_spill_count: 0
    .symbol:         _ZN2at6native12_GLOBAL__N_135GammaBetaBackwardCUDAKernelTemplateIffLj64ELj16ELj256ELb0ELb0ELb0EEEvllPKT_S5_PKT0_S8_PS3_S9_.kd
    .uniform_work_group_size: 1
    .uses_dynamic_stack: false
    .vgpr_count:     188
    .vgpr_spill_count: 0
    .wavefront_size: 32
    .workgroup_processor_mode: 1
  - .args:
      - .offset:         0
        .size:           8
        .value_kind:     by_value
      - .offset:         8
        .size:           8
        .value_kind:     by_value
      - .actual_access:  read_only
        .address_space:  global
        .offset:         16
        .size:           8
        .value_kind:     global_buffer
      - .actual_access:  read_only
        .address_space:  global
        .offset:         24
        .size:           8
        .value_kind:     global_buffer
      - .actual_access:  read_only
        .address_space:  global
        .offset:         32
        .size:           8
        .value_kind:     global_buffer
      - .actual_access:  read_only
        .address_space:  global
        .offset:         40
        .size:           8
        .value_kind:     global_buffer
      - .actual_access:  write_only
        .address_space:  global
        .offset:         48
        .size:           8
        .value_kind:     global_buffer
      - .actual_access:  write_only
        .address_space:  global
        .offset:         56
        .size:           8
        .value_kind:     global_buffer
      - .offset:         64
        .size:           4
        .value_kind:     hidden_block_count_x
      - .offset:         68
        .size:           4
        .value_kind:     hidden_block_count_y
      - .offset:         72
        .size:           4
        .value_kind:     hidden_block_count_z
      - .offset:         76
        .size:           2
        .value_kind:     hidden_group_size_x
      - .offset:         78
        .size:           2
        .value_kind:     hidden_group_size_y
      - .offset:         80
        .size:           2
        .value_kind:     hidden_group_size_z
      - .offset:         82
        .size:           2
        .value_kind:     hidden_remainder_x
      - .offset:         84
        .size:           2
        .value_kind:     hidden_remainder_y
      - .offset:         86
        .size:           2
        .value_kind:     hidden_remainder_z
      - .offset:         104
        .size:           8
        .value_kind:     hidden_global_offset_x
      - .offset:         112
        .size:           8
        .value_kind:     hidden_global_offset_y
      - .offset:         120
        .size:           8
        .value_kind:     hidden_global_offset_z
      - .offset:         128
        .size:           2
        .value_kind:     hidden_grid_dims
    .group_segment_fixed_size: 0
    .kernarg_segment_align: 8
    .kernarg_segment_size: 320
    .language:       OpenCL C
    .language_version:
      - 2
      - 0
    .max_flat_workgroup_size: 32
    .name:           _ZN2at6native12_GLOBAL__N_135GammaBetaBackwardCUDAKernelTemplateIffLj32ELj1ELj32ELb1ELb1ELb0EEEvllPKT_S5_PKT0_S8_PS3_S9_
    .private_segment_fixed_size: 0
    .sgpr_count:     31
    .sgpr_spill_count: 0
    .symbol:         _ZN2at6native12_GLOBAL__N_135GammaBetaBackwardCUDAKernelTemplateIffLj32ELj1ELj32ELb1ELb1ELb0EEEvllPKT_S5_PKT0_S8_PS3_S9_.kd
    .uniform_work_group_size: 1
    .uses_dynamic_stack: false
    .vgpr_count:     116
    .vgpr_spill_count: 0
    .wavefront_size: 32
    .workgroup_processor_mode: 1
  - .args:
      - .offset:         0
        .size:           8
        .value_kind:     by_value
      - .offset:         8
        .size:           8
        .value_kind:     by_value
      - .actual_access:  read_only
        .address_space:  global
        .offset:         16
        .size:           8
        .value_kind:     global_buffer
      - .actual_access:  read_only
        .address_space:  global
        .offset:         24
        .size:           8
        .value_kind:     global_buffer
      - .actual_access:  read_only
        .address_space:  global
        .offset:         32
        .size:           8
        .value_kind:     global_buffer
      - .actual_access:  read_only
        .address_space:  global
        .offset:         40
        .size:           8
        .value_kind:     global_buffer
      - .actual_access:  write_only
        .address_space:  global
        .offset:         48
        .size:           8
        .value_kind:     global_buffer
      - .actual_access:  write_only
        .address_space:  global
        .offset:         56
        .size:           8
        .value_kind:     global_buffer
      - .offset:         64
        .size:           4
        .value_kind:     hidden_block_count_x
      - .offset:         68
        .size:           4
        .value_kind:     hidden_block_count_y
      - .offset:         72
        .size:           4
        .value_kind:     hidden_block_count_z
      - .offset:         76
        .size:           2
        .value_kind:     hidden_group_size_x
      - .offset:         78
        .size:           2
        .value_kind:     hidden_group_size_y
      - .offset:         80
        .size:           2
        .value_kind:     hidden_group_size_z
      - .offset:         82
        .size:           2
        .value_kind:     hidden_remainder_x
      - .offset:         84
        .size:           2
        .value_kind:     hidden_remainder_y
      - .offset:         86
        .size:           2
        .value_kind:     hidden_remainder_z
      - .offset:         104
        .size:           8
        .value_kind:     hidden_global_offset_x
      - .offset:         112
        .size:           8
        .value_kind:     hidden_global_offset_y
      - .offset:         120
        .size:           8
        .value_kind:     hidden_global_offset_z
      - .offset:         128
        .size:           2
        .value_kind:     hidden_grid_dims
    .group_segment_fixed_size: 0
    .kernarg_segment_align: 8
    .kernarg_segment_size: 320
    .language:       OpenCL C
    .language_version:
      - 2
      - 0
    .max_flat_workgroup_size: 32
    .name:           _ZN2at6native12_GLOBAL__N_135GammaBetaBackwardCUDAKernelTemplateIffLj32ELj1ELj32ELb1ELb0ELb0EEEvllPKT_S5_PKT0_S8_PS3_S9_
    .private_segment_fixed_size: 320
    .sgpr_count:     38
    .sgpr_spill_count: 0
    .symbol:         _ZN2at6native12_GLOBAL__N_135GammaBetaBackwardCUDAKernelTemplateIffLj32ELj1ELj32ELb1ELb0ELb0EEEvllPKT_S5_PKT0_S8_PS3_S9_.kd
    .uniform_work_group_size: 1
    .uses_dynamic_stack: false
    .vgpr_count:     256
    .vgpr_spill_count: 154
    .wavefront_size: 32
    .workgroup_processor_mode: 1
  - .args:
      - .offset:         0
        .size:           8
        .value_kind:     by_value
      - .offset:         8
        .size:           8
        .value_kind:     by_value
      - .actual_access:  read_only
        .address_space:  global
        .offset:         16
        .size:           8
        .value_kind:     global_buffer
      - .actual_access:  read_only
        .address_space:  global
        .offset:         24
        .size:           8
        .value_kind:     global_buffer
      - .actual_access:  read_only
        .address_space:  global
        .offset:         32
        .size:           8
        .value_kind:     global_buffer
      - .actual_access:  read_only
        .address_space:  global
        .offset:         40
        .size:           8
        .value_kind:     global_buffer
      - .actual_access:  write_only
        .address_space:  global
        .offset:         48
        .size:           8
        .value_kind:     global_buffer
      - .actual_access:  write_only
        .address_space:  global
        .offset:         56
        .size:           8
        .value_kind:     global_buffer
      - .offset:         64
        .size:           4
        .value_kind:     hidden_block_count_x
      - .offset:         68
        .size:           4
        .value_kind:     hidden_block_count_y
      - .offset:         72
        .size:           4
        .value_kind:     hidden_block_count_z
      - .offset:         76
        .size:           2
        .value_kind:     hidden_group_size_x
      - .offset:         78
        .size:           2
        .value_kind:     hidden_group_size_y
      - .offset:         80
        .size:           2
        .value_kind:     hidden_group_size_z
      - .offset:         82
        .size:           2
        .value_kind:     hidden_remainder_x
      - .offset:         84
        .size:           2
        .value_kind:     hidden_remainder_y
      - .offset:         86
        .size:           2
        .value_kind:     hidden_remainder_z
      - .offset:         104
        .size:           8
        .value_kind:     hidden_global_offset_x
      - .offset:         112
        .size:           8
        .value_kind:     hidden_global_offset_y
      - .offset:         120
        .size:           8
        .value_kind:     hidden_global_offset_z
      - .offset:         128
        .size:           2
        .value_kind:     hidden_grid_dims
    .group_segment_fixed_size: 0
    .kernarg_segment_align: 8
    .kernarg_segment_size: 320
    .language:       OpenCL C
    .language_version:
      - 2
      - 0
    .max_flat_workgroup_size: 32
    .name:           _ZN2at6native12_GLOBAL__N_135GammaBetaBackwardCUDAKernelTemplateIffLj32ELj1ELj8ELb1ELb1ELb0EEEvllPKT_S5_PKT0_S8_PS3_S9_
    .private_segment_fixed_size: 0
    .sgpr_count:     33
    .sgpr_spill_count: 0
    .symbol:         _ZN2at6native12_GLOBAL__N_135GammaBetaBackwardCUDAKernelTemplateIffLj32ELj1ELj8ELb1ELb1ELb0EEEvllPKT_S5_PKT0_S8_PS3_S9_.kd
    .uniform_work_group_size: 1
    .uses_dynamic_stack: false
    .vgpr_count:     44
    .vgpr_spill_count: 0
    .wavefront_size: 32
    .workgroup_processor_mode: 1
  - .args:
      - .offset:         0
        .size:           8
        .value_kind:     by_value
      - .offset:         8
        .size:           8
        .value_kind:     by_value
      - .actual_access:  read_only
        .address_space:  global
        .offset:         16
        .size:           8
        .value_kind:     global_buffer
      - .actual_access:  read_only
        .address_space:  global
        .offset:         24
        .size:           8
        .value_kind:     global_buffer
      - .actual_access:  read_only
        .address_space:  global
        .offset:         32
        .size:           8
        .value_kind:     global_buffer
      - .actual_access:  read_only
        .address_space:  global
        .offset:         40
        .size:           8
        .value_kind:     global_buffer
      - .actual_access:  write_only
        .address_space:  global
        .offset:         48
        .size:           8
        .value_kind:     global_buffer
      - .actual_access:  write_only
        .address_space:  global
        .offset:         56
        .size:           8
        .value_kind:     global_buffer
      - .offset:         64
        .size:           4
        .value_kind:     hidden_block_count_x
      - .offset:         68
        .size:           4
        .value_kind:     hidden_block_count_y
      - .offset:         72
        .size:           4
        .value_kind:     hidden_block_count_z
      - .offset:         76
        .size:           2
        .value_kind:     hidden_group_size_x
      - .offset:         78
        .size:           2
        .value_kind:     hidden_group_size_y
      - .offset:         80
        .size:           2
        .value_kind:     hidden_group_size_z
      - .offset:         82
        .size:           2
        .value_kind:     hidden_remainder_x
      - .offset:         84
        .size:           2
        .value_kind:     hidden_remainder_y
      - .offset:         86
        .size:           2
        .value_kind:     hidden_remainder_z
      - .offset:         104
        .size:           8
        .value_kind:     hidden_global_offset_x
      - .offset:         112
        .size:           8
        .value_kind:     hidden_global_offset_y
      - .offset:         120
        .size:           8
        .value_kind:     hidden_global_offset_z
      - .offset:         128
        .size:           2
        .value_kind:     hidden_grid_dims
    .group_segment_fixed_size: 0
    .kernarg_segment_align: 8
    .kernarg_segment_size: 320
    .language:       OpenCL C
    .language_version:
      - 2
      - 0
    .max_flat_workgroup_size: 32
    .name:           _ZN2at6native12_GLOBAL__N_135GammaBetaBackwardCUDAKernelTemplateIffLj32ELj1ELj8ELb1ELb0ELb0EEEvllPKT_S5_PKT0_S8_PS3_S9_
    .private_segment_fixed_size: 0
    .sgpr_count:     38
    .sgpr_spill_count: 0
    .symbol:         _ZN2at6native12_GLOBAL__N_135GammaBetaBackwardCUDAKernelTemplateIffLj32ELj1ELj8ELb1ELb0ELb0EEEvllPKT_S5_PKT0_S8_PS3_S9_.kd
    .uniform_work_group_size: 1
    .uses_dynamic_stack: false
    .vgpr_count:     102
    .vgpr_spill_count: 0
    .wavefront_size: 32
    .workgroup_processor_mode: 1
  - .args:
      - .offset:         0
        .size:           8
        .value_kind:     by_value
      - .offset:         8
        .size:           8
        .value_kind:     by_value
      - .actual_access:  read_only
        .address_space:  global
        .offset:         16
        .size:           8
        .value_kind:     global_buffer
      - .actual_access:  read_only
        .address_space:  global
        .offset:         24
        .size:           8
        .value_kind:     global_buffer
      - .actual_access:  read_only
        .address_space:  global
        .offset:         32
        .size:           8
        .value_kind:     global_buffer
      - .actual_access:  read_only
        .address_space:  global
        .offset:         40
        .size:           8
        .value_kind:     global_buffer
      - .actual_access:  write_only
        .address_space:  global
        .offset:         48
        .size:           8
        .value_kind:     global_buffer
      - .actual_access:  write_only
        .address_space:  global
        .offset:         56
        .size:           8
        .value_kind:     global_buffer
      - .offset:         64
        .size:           4
        .value_kind:     hidden_block_count_x
      - .offset:         68
        .size:           4
        .value_kind:     hidden_block_count_y
      - .offset:         72
        .size:           4
        .value_kind:     hidden_block_count_z
      - .offset:         76
        .size:           2
        .value_kind:     hidden_group_size_x
      - .offset:         78
        .size:           2
        .value_kind:     hidden_group_size_y
      - .offset:         80
        .size:           2
        .value_kind:     hidden_group_size_z
      - .offset:         82
        .size:           2
        .value_kind:     hidden_remainder_x
      - .offset:         84
        .size:           2
        .value_kind:     hidden_remainder_y
      - .offset:         86
        .size:           2
        .value_kind:     hidden_remainder_z
      - .offset:         104
        .size:           8
        .value_kind:     hidden_global_offset_x
      - .offset:         112
        .size:           8
        .value_kind:     hidden_global_offset_y
      - .offset:         120
        .size:           8
        .value_kind:     hidden_global_offset_z
      - .offset:         128
        .size:           2
        .value_kind:     hidden_grid_dims
      - .offset:         184
        .size:           4
        .value_kind:     hidden_dynamic_lds_size
    .group_segment_fixed_size: 0
    .kernarg_segment_align: 8
    .kernarg_segment_size: 320
    .language:       OpenCL C
    .language_version:
      - 2
      - 0
    .max_flat_workgroup_size: 256
    .name:           _ZN2at6native12_GLOBAL__N_135GammaBetaBackwardCUDAKernelTemplateIffLj32ELj8ELj64ELb0ELb1ELb0EEEvllPKT_S5_PKT0_S8_PS3_S9_
    .private_segment_fixed_size: 0
    .sgpr_count:     29
    .sgpr_spill_count: 0
    .symbol:         _ZN2at6native12_GLOBAL__N_135GammaBetaBackwardCUDAKernelTemplateIffLj32ELj8ELj64ELb0ELb1ELb0EEEvllPKT_S5_PKT0_S8_PS3_S9_.kd
    .uniform_work_group_size: 1
    .uses_dynamic_stack: false
    .vgpr_count:     44
    .vgpr_spill_count: 0
    .wavefront_size: 32
    .workgroup_processor_mode: 1
  - .args:
      - .offset:         0
        .size:           8
        .value_kind:     by_value
      - .offset:         8
        .size:           8
        .value_kind:     by_value
      - .actual_access:  read_only
        .address_space:  global
        .offset:         16
        .size:           8
        .value_kind:     global_buffer
      - .actual_access:  read_only
        .address_space:  global
        .offset:         24
        .size:           8
        .value_kind:     global_buffer
      - .actual_access:  read_only
        .address_space:  global
        .offset:         32
        .size:           8
        .value_kind:     global_buffer
      - .actual_access:  read_only
        .address_space:  global
        .offset:         40
        .size:           8
        .value_kind:     global_buffer
      - .actual_access:  write_only
        .address_space:  global
        .offset:         48
        .size:           8
        .value_kind:     global_buffer
      - .actual_access:  write_only
        .address_space:  global
        .offset:         56
        .size:           8
        .value_kind:     global_buffer
      - .offset:         64
        .size:           4
        .value_kind:     hidden_block_count_x
      - .offset:         68
        .size:           4
        .value_kind:     hidden_block_count_y
      - .offset:         72
        .size:           4
        .value_kind:     hidden_block_count_z
      - .offset:         76
        .size:           2
        .value_kind:     hidden_group_size_x
      - .offset:         78
        .size:           2
        .value_kind:     hidden_group_size_y
      - .offset:         80
        .size:           2
        .value_kind:     hidden_group_size_z
      - .offset:         82
        .size:           2
        .value_kind:     hidden_remainder_x
      - .offset:         84
        .size:           2
        .value_kind:     hidden_remainder_y
      - .offset:         86
        .size:           2
        .value_kind:     hidden_remainder_z
      - .offset:         104
        .size:           8
        .value_kind:     hidden_global_offset_x
      - .offset:         112
        .size:           8
        .value_kind:     hidden_global_offset_y
      - .offset:         120
        .size:           8
        .value_kind:     hidden_global_offset_z
      - .offset:         128
        .size:           2
        .value_kind:     hidden_grid_dims
      - .offset:         184
        .size:           4
        .value_kind:     hidden_dynamic_lds_size
    .group_segment_fixed_size: 0
    .kernarg_segment_align: 8
    .kernarg_segment_size: 320
    .language:       OpenCL C
    .language_version:
      - 2
      - 0
    .max_flat_workgroup_size: 256
    .name:           _ZN2at6native12_GLOBAL__N_135GammaBetaBackwardCUDAKernelTemplateIffLj32ELj8ELj64ELb0ELb0ELb0EEEvllPKT_S5_PKT0_S8_PS3_S9_
    .private_segment_fixed_size: 0
    .sgpr_count:     38
    .sgpr_spill_count: 0
    .symbol:         _ZN2at6native12_GLOBAL__N_135GammaBetaBackwardCUDAKernelTemplateIffLj32ELj8ELj64ELb0ELb0ELb0EEEvllPKT_S5_PKT0_S8_PS3_S9_.kd
    .uniform_work_group_size: 1
    .uses_dynamic_stack: false
    .vgpr_count:     93
    .vgpr_spill_count: 0
    .wavefront_size: 32
    .workgroup_processor_mode: 1
  - .args:
      - .offset:         0
        .size:           8
        .value_kind:     by_value
      - .offset:         8
        .size:           8
        .value_kind:     by_value
      - .actual_access:  read_only
        .address_space:  global
        .offset:         16
        .size:           8
        .value_kind:     global_buffer
      - .actual_access:  read_only
        .address_space:  global
        .offset:         24
        .size:           8
        .value_kind:     global_buffer
      - .actual_access:  read_only
        .address_space:  global
        .offset:         32
        .size:           8
        .value_kind:     global_buffer
      - .actual_access:  read_only
        .address_space:  global
        .offset:         40
        .size:           8
        .value_kind:     global_buffer
      - .actual_access:  write_only
        .address_space:  global
        .offset:         48
        .size:           8
        .value_kind:     global_buffer
      - .actual_access:  write_only
        .address_space:  global
        .offset:         56
        .size:           8
        .value_kind:     global_buffer
      - .offset:         64
        .size:           4
        .value_kind:     hidden_block_count_x
      - .offset:         68
        .size:           4
        .value_kind:     hidden_block_count_y
      - .offset:         72
        .size:           4
        .value_kind:     hidden_block_count_z
      - .offset:         76
        .size:           2
        .value_kind:     hidden_group_size_x
      - .offset:         78
        .size:           2
        .value_kind:     hidden_group_size_y
      - .offset:         80
        .size:           2
        .value_kind:     hidden_group_size_z
      - .offset:         82
        .size:           2
        .value_kind:     hidden_remainder_x
      - .offset:         84
        .size:           2
        .value_kind:     hidden_remainder_y
      - .offset:         86
        .size:           2
        .value_kind:     hidden_remainder_z
      - .offset:         104
        .size:           8
        .value_kind:     hidden_global_offset_x
      - .offset:         112
        .size:           8
        .value_kind:     hidden_global_offset_y
      - .offset:         120
        .size:           8
        .value_kind:     hidden_global_offset_z
      - .offset:         128
        .size:           2
        .value_kind:     hidden_grid_dims
      - .offset:         184
        .size:           4
        .value_kind:     hidden_dynamic_lds_size
    .group_segment_fixed_size: 0
    .kernarg_segment_align: 8
    .kernarg_segment_size: 320
    .language:       OpenCL C
    .language_version:
      - 2
      - 0
    .max_flat_workgroup_size: 512
    .name:           _ZN2at6native12_GLOBAL__N_135GammaBetaBackwardCUDAKernelTemplateIffLj32ELj16ELj128ELb0ELb1ELb0EEEvllPKT_S5_PKT0_S8_PS3_S9_
    .private_segment_fixed_size: 0
    .sgpr_count:     29
    .sgpr_spill_count: 0
    .symbol:         _ZN2at6native12_GLOBAL__N_135GammaBetaBackwardCUDAKernelTemplateIffLj32ELj16ELj128ELb0ELb1ELb0EEEvllPKT_S5_PKT0_S8_PS3_S9_.kd
    .uniform_work_group_size: 1
    .uses_dynamic_stack: false
    .vgpr_count:     44
    .vgpr_spill_count: 0
    .wavefront_size: 32
    .workgroup_processor_mode: 1
  - .args:
      - .offset:         0
        .size:           8
        .value_kind:     by_value
      - .offset:         8
        .size:           8
        .value_kind:     by_value
      - .actual_access:  read_only
        .address_space:  global
        .offset:         16
        .size:           8
        .value_kind:     global_buffer
      - .actual_access:  read_only
        .address_space:  global
        .offset:         24
        .size:           8
        .value_kind:     global_buffer
      - .actual_access:  read_only
        .address_space:  global
        .offset:         32
        .size:           8
        .value_kind:     global_buffer
      - .actual_access:  read_only
        .address_space:  global
        .offset:         40
        .size:           8
        .value_kind:     global_buffer
      - .actual_access:  write_only
        .address_space:  global
        .offset:         48
        .size:           8
        .value_kind:     global_buffer
      - .actual_access:  write_only
        .address_space:  global
        .offset:         56
        .size:           8
        .value_kind:     global_buffer
      - .offset:         64
        .size:           4
        .value_kind:     hidden_block_count_x
      - .offset:         68
        .size:           4
        .value_kind:     hidden_block_count_y
      - .offset:         72
        .size:           4
        .value_kind:     hidden_block_count_z
      - .offset:         76
        .size:           2
        .value_kind:     hidden_group_size_x
      - .offset:         78
        .size:           2
        .value_kind:     hidden_group_size_y
      - .offset:         80
        .size:           2
        .value_kind:     hidden_group_size_z
      - .offset:         82
        .size:           2
        .value_kind:     hidden_remainder_x
      - .offset:         84
        .size:           2
        .value_kind:     hidden_remainder_y
      - .offset:         86
        .size:           2
        .value_kind:     hidden_remainder_z
      - .offset:         104
        .size:           8
        .value_kind:     hidden_global_offset_x
      - .offset:         112
        .size:           8
        .value_kind:     hidden_global_offset_y
      - .offset:         120
        .size:           8
        .value_kind:     hidden_global_offset_z
      - .offset:         128
        .size:           2
        .value_kind:     hidden_grid_dims
      - .offset:         184
        .size:           4
        .value_kind:     hidden_dynamic_lds_size
    .group_segment_fixed_size: 0
    .kernarg_segment_align: 8
    .kernarg_segment_size: 320
    .language:       OpenCL C
    .language_version:
      - 2
      - 0
    .max_flat_workgroup_size: 512
    .name:           _ZN2at6native12_GLOBAL__N_135GammaBetaBackwardCUDAKernelTemplateIffLj32ELj16ELj128ELb0ELb0ELb0EEEvllPKT_S5_PKT0_S8_PS3_S9_
    .private_segment_fixed_size: 0
    .sgpr_count:     38
    .sgpr_spill_count: 0
    .symbol:         _ZN2at6native12_GLOBAL__N_135GammaBetaBackwardCUDAKernelTemplateIffLj32ELj16ELj128ELb0ELb0ELb0EEEvllPKT_S5_PKT0_S8_PS3_S9_.kd
    .uniform_work_group_size: 1
    .uses_dynamic_stack: false
    .vgpr_count:     93
    .vgpr_spill_count: 0
    .wavefront_size: 32
    .workgroup_processor_mode: 1
  - .args:
      - .offset:         0
        .size:           8
        .value_kind:     by_value
      - .offset:         8
        .size:           8
        .value_kind:     by_value
      - .actual_access:  read_only
        .address_space:  global
        .offset:         16
        .size:           8
        .value_kind:     global_buffer
      - .actual_access:  read_only
        .address_space:  global
        .offset:         24
        .size:           8
        .value_kind:     global_buffer
      - .actual_access:  read_only
        .address_space:  global
        .offset:         32
        .size:           8
        .value_kind:     global_buffer
      - .actual_access:  read_only
        .address_space:  global
        .offset:         40
        .size:           8
        .value_kind:     global_buffer
      - .actual_access:  write_only
        .address_space:  global
        .offset:         48
        .size:           8
        .value_kind:     global_buffer
      - .actual_access:  write_only
        .address_space:  global
        .offset:         56
        .size:           8
        .value_kind:     global_buffer
      - .offset:         64
        .size:           4
        .value_kind:     hidden_block_count_x
      - .offset:         68
        .size:           4
        .value_kind:     hidden_block_count_y
      - .offset:         72
        .size:           4
        .value_kind:     hidden_block_count_z
      - .offset:         76
        .size:           2
        .value_kind:     hidden_group_size_x
      - .offset:         78
        .size:           2
        .value_kind:     hidden_group_size_y
      - .offset:         80
        .size:           2
        .value_kind:     hidden_group_size_z
      - .offset:         82
        .size:           2
        .value_kind:     hidden_remainder_x
      - .offset:         84
        .size:           2
        .value_kind:     hidden_remainder_y
      - .offset:         86
        .size:           2
        .value_kind:     hidden_remainder_z
      - .offset:         104
        .size:           8
        .value_kind:     hidden_global_offset_x
      - .offset:         112
        .size:           8
        .value_kind:     hidden_global_offset_y
      - .offset:         120
        .size:           8
        .value_kind:     hidden_global_offset_z
      - .offset:         128
        .size:           2
        .value_kind:     hidden_grid_dims
      - .offset:         184
        .size:           4
        .value_kind:     hidden_dynamic_lds_size
    .group_segment_fixed_size: 0
    .kernarg_segment_align: 8
    .kernarg_segment_size: 320
    .language:       OpenCL C
    .language_version:
      - 2
      - 0
    .max_flat_workgroup_size: 1024
    .name:           _ZN2at6native12_GLOBAL__N_135GammaBetaBackwardCUDAKernelTemplateIffLj32ELj32ELj256ELb0ELb1ELb0EEEvllPKT_S5_PKT0_S8_PS3_S9_
    .private_segment_fixed_size: 0
    .sgpr_count:     29
    .sgpr_spill_count: 0
    .symbol:         _ZN2at6native12_GLOBAL__N_135GammaBetaBackwardCUDAKernelTemplateIffLj32ELj32ELj256ELb0ELb1ELb0EEEvllPKT_S5_PKT0_S8_PS3_S9_.kd
    .uniform_work_group_size: 1
    .uses_dynamic_stack: false
    .vgpr_count:     44
    .vgpr_spill_count: 0
    .wavefront_size: 32
    .workgroup_processor_mode: 1
  - .args:
      - .offset:         0
        .size:           8
        .value_kind:     by_value
      - .offset:         8
        .size:           8
        .value_kind:     by_value
      - .actual_access:  read_only
        .address_space:  global
        .offset:         16
        .size:           8
        .value_kind:     global_buffer
      - .actual_access:  read_only
        .address_space:  global
        .offset:         24
        .size:           8
        .value_kind:     global_buffer
      - .actual_access:  read_only
        .address_space:  global
        .offset:         32
        .size:           8
        .value_kind:     global_buffer
      - .actual_access:  read_only
        .address_space:  global
        .offset:         40
        .size:           8
        .value_kind:     global_buffer
      - .actual_access:  write_only
        .address_space:  global
        .offset:         48
        .size:           8
        .value_kind:     global_buffer
      - .actual_access:  write_only
        .address_space:  global
        .offset:         56
        .size:           8
        .value_kind:     global_buffer
      - .offset:         64
        .size:           4
        .value_kind:     hidden_block_count_x
      - .offset:         68
        .size:           4
        .value_kind:     hidden_block_count_y
      - .offset:         72
        .size:           4
        .value_kind:     hidden_block_count_z
      - .offset:         76
        .size:           2
        .value_kind:     hidden_group_size_x
      - .offset:         78
        .size:           2
        .value_kind:     hidden_group_size_y
      - .offset:         80
        .size:           2
        .value_kind:     hidden_group_size_z
      - .offset:         82
        .size:           2
        .value_kind:     hidden_remainder_x
      - .offset:         84
        .size:           2
        .value_kind:     hidden_remainder_y
      - .offset:         86
        .size:           2
        .value_kind:     hidden_remainder_z
      - .offset:         104
        .size:           8
        .value_kind:     hidden_global_offset_x
      - .offset:         112
        .size:           8
        .value_kind:     hidden_global_offset_y
      - .offset:         120
        .size:           8
        .value_kind:     hidden_global_offset_z
      - .offset:         128
        .size:           2
        .value_kind:     hidden_grid_dims
      - .offset:         184
        .size:           4
        .value_kind:     hidden_dynamic_lds_size
    .group_segment_fixed_size: 0
    .kernarg_segment_align: 8
    .kernarg_segment_size: 320
    .language:       OpenCL C
    .language_version:
      - 2
      - 0
    .max_flat_workgroup_size: 1024
    .name:           _ZN2at6native12_GLOBAL__N_135GammaBetaBackwardCUDAKernelTemplateIffLj32ELj32ELj256ELb0ELb0ELb0EEEvllPKT_S5_PKT0_S8_PS3_S9_
    .private_segment_fixed_size: 0
    .sgpr_count:     38
    .sgpr_spill_count: 0
    .symbol:         _ZN2at6native12_GLOBAL__N_135GammaBetaBackwardCUDAKernelTemplateIffLj32ELj32ELj256ELb0ELb0ELb0EEEvllPKT_S5_PKT0_S8_PS3_S9_.kd
    .uniform_work_group_size: 1
    .uses_dynamic_stack: false
    .vgpr_count:     93
    .vgpr_spill_count: 0
    .wavefront_size: 32
    .workgroup_processor_mode: 1
  - .args:
      - .actual_access:  read_only
        .address_space:  global
        .offset:         0
        .size:           8
        .value_kind:     global_buffer
      - .actual_access:  read_only
        .address_space:  global
        .offset:         8
        .size:           8
        .value_kind:     global_buffer
      - .offset:         16
        .size:           8
        .value_kind:     by_value
      - .offset:         24
        .size:           8
        .value_kind:     by_value
      - .actual_access:  read_only
        .address_space:  global
        .offset:         32
        .size:           8
        .value_kind:     global_buffer
      - .actual_access:  read_only
        .address_space:  global
        .offset:         40
        .size:           8
        .value_kind:     global_buffer
      - .address_space:  global
        .offset:         48
        .size:           8
        .value_kind:     global_buffer
      - .address_space:  global
        .offset:         56
        .size:           8
        .value_kind:     global_buffer
      - .offset:         64
        .size:           4
        .value_kind:     hidden_block_count_x
      - .offset:         68
        .size:           4
        .value_kind:     hidden_block_count_y
      - .offset:         72
        .size:           4
        .value_kind:     hidden_block_count_z
      - .offset:         76
        .size:           2
        .value_kind:     hidden_group_size_x
      - .offset:         78
        .size:           2
        .value_kind:     hidden_group_size_y
      - .offset:         80
        .size:           2
        .value_kind:     hidden_group_size_z
      - .offset:         82
        .size:           2
        .value_kind:     hidden_remainder_x
      - .offset:         84
        .size:           2
        .value_kind:     hidden_remainder_y
      - .offset:         86
        .size:           2
        .value_kind:     hidden_remainder_z
      - .offset:         104
        .size:           8
        .value_kind:     hidden_global_offset_x
      - .offset:         112
        .size:           8
        .value_kind:     hidden_global_offset_y
      - .offset:         120
        .size:           8
        .value_kind:     hidden_global_offset_z
      - .offset:         128
        .size:           2
        .value_kind:     hidden_grid_dims
      - .offset:         184
        .size:           4
        .value_kind:     hidden_dynamic_lds_size
    .group_segment_fixed_size: 0
    .kernarg_segment_align: 8
    .kernarg_segment_size: 320
    .language:       OpenCL C
    .language_version:
      - 2
      - 0
    .max_flat_workgroup_size: 1024
    .name:           _ZN2at6native12_GLOBAL__N_118cuComputeGradInputIN3c104HalfEfLb0EEEvPKT_S7_llPKT0_SA_S7_PS5_
    .private_segment_fixed_size: 0
    .sgpr_count:     44
    .sgpr_spill_count: 0
    .symbol:         _ZN2at6native12_GLOBAL__N_118cuComputeGradInputIN3c104HalfEfLb0EEEvPKT_S7_llPKT0_SA_S7_PS5_.kd
    .uniform_work_group_size: 1
    .uses_dynamic_stack: false
    .vgpr_count:     26
    .vgpr_spill_count: 0
    .wavefront_size: 32
    .workgroup_processor_mode: 1
  - .args:
      - .actual_access:  read_only
        .address_space:  global
        .offset:         0
        .size:           8
        .value_kind:     global_buffer
      - .actual_access:  read_only
        .address_space:  global
        .offset:         8
        .size:           8
        .value_kind:     global_buffer
      - .actual_access:  read_only
        .address_space:  global
        .offset:         16
        .size:           8
        .value_kind:     global_buffer
      - .actual_access:  read_only
        .address_space:  global
        .offset:         24
        .size:           8
        .value_kind:     global_buffer
      - .actual_access:  read_only
        .address_space:  global
        .offset:         32
        .size:           8
        .value_kind:     global_buffer
      - .address_space:  global
        .offset:         40
        .size:           8
        .value_kind:     global_buffer
      - .offset:         48
        .size:           4
        .value_kind:     by_value
      - .offset:         56
        .size:           4
        .value_kind:     hidden_block_count_x
      - .offset:         60
        .size:           4
        .value_kind:     hidden_block_count_y
      - .offset:         64
        .size:           4
        .value_kind:     hidden_block_count_z
      - .offset:         68
        .size:           2
        .value_kind:     hidden_group_size_x
      - .offset:         70
        .size:           2
        .value_kind:     hidden_group_size_y
      - .offset:         72
        .size:           2
        .value_kind:     hidden_group_size_z
      - .offset:         74
        .size:           2
        .value_kind:     hidden_remainder_x
      - .offset:         76
        .size:           2
        .value_kind:     hidden_remainder_y
      - .offset:         78
        .size:           2
        .value_kind:     hidden_remainder_z
      - .offset:         96
        .size:           8
        .value_kind:     hidden_global_offset_x
      - .offset:         104
        .size:           8
        .value_kind:     hidden_global_offset_y
      - .offset:         112
        .size:           8
        .value_kind:     hidden_global_offset_z
      - .offset:         120
        .size:           2
        .value_kind:     hidden_grid_dims
      - .offset:         176
        .size:           4
        .value_kind:     hidden_dynamic_lds_size
    .group_segment_fixed_size: 0
    .kernarg_segment_align: 8
    .kernarg_segment_size: 312
    .language:       OpenCL C
    .language_version:
      - 2
      - 0
    .max_flat_workgroup_size: 1024
    .name:           _ZN2at6native12_GLOBAL__N_128layer_norm_grad_input_kernelIN3c104HalfEfLb0EEEvPKT_S7_PKT0_SA_S7_PS5_i
    .private_segment_fixed_size: 0
    .sgpr_count:     23
    .sgpr_spill_count: 0
    .symbol:         _ZN2at6native12_GLOBAL__N_128layer_norm_grad_input_kernelIN3c104HalfEfLb0EEEvPKT_S7_PKT0_SA_S7_PS5_i.kd
    .uniform_work_group_size: 1
    .uses_dynamic_stack: false
    .vgpr_count:     22
    .vgpr_spill_count: 0
    .wavefront_size: 32
    .workgroup_processor_mode: 1
  - .args:
      - .offset:         0
        .size:           8
        .value_kind:     by_value
      - .offset:         8
        .size:           8
        .value_kind:     by_value
      - .address_space:  global
        .offset:         16
        .size:           8
        .value_kind:     global_buffer
      - .address_space:  global
        .offset:         24
        .size:           8
        .value_kind:     global_buffer
      - .address_space:  global
        .offset:         32
        .size:           8
        .value_kind:     global_buffer
      - .address_space:  global
        .offset:         40
        .size:           8
        .value_kind:     global_buffer
      - .address_space:  global
        .offset:         48
        .size:           8
        .value_kind:     global_buffer
      - .address_space:  global
        .offset:         56
        .size:           8
        .value_kind:     global_buffer
      - .offset:         64
        .size:           4
        .value_kind:     hidden_block_count_x
      - .offset:         68
        .size:           4
        .value_kind:     hidden_block_count_y
      - .offset:         72
        .size:           4
        .value_kind:     hidden_block_count_z
      - .offset:         76
        .size:           2
        .value_kind:     hidden_group_size_x
      - .offset:         78
        .size:           2
        .value_kind:     hidden_group_size_y
      - .offset:         80
        .size:           2
        .value_kind:     hidden_group_size_z
      - .offset:         82
        .size:           2
        .value_kind:     hidden_remainder_x
      - .offset:         84
        .size:           2
        .value_kind:     hidden_remainder_y
      - .offset:         86
        .size:           2
        .value_kind:     hidden_remainder_z
      - .offset:         104
        .size:           8
        .value_kind:     hidden_global_offset_x
      - .offset:         112
        .size:           8
        .value_kind:     hidden_global_offset_y
      - .offset:         120
        .size:           8
        .value_kind:     hidden_global_offset_z
      - .offset:         128
        .size:           2
        .value_kind:     hidden_grid_dims
    .group_segment_fixed_size: 0
    .kernarg_segment_align: 8
    .kernarg_segment_size: 320
    .language:       OpenCL C
    .language_version:
      - 2
      - 0
    .max_flat_workgroup_size: 1024
    .name:           _ZN2at6native12_GLOBAL__N_133GammaBetaBackwardSimpleCUDAKernelIN3c104HalfEfLb0EEEvllPKT_S7_PKT0_SA_PS5_SB_
    .private_segment_fixed_size: 0
    .sgpr_count:     22
    .sgpr_spill_count: 0
    .symbol:         _ZN2at6native12_GLOBAL__N_133GammaBetaBackwardSimpleCUDAKernelIN3c104HalfEfLb0EEEvllPKT_S7_PKT0_SA_PS5_SB_.kd
    .uniform_work_group_size: 1
    .uses_dynamic_stack: false
    .vgpr_count:     10
    .vgpr_spill_count: 0
    .wavefront_size: 32
    .workgroup_processor_mode: 1
  - .args:
      - .offset:         0
        .size:           8
        .value_kind:     by_value
      - .offset:         8
        .size:           8
        .value_kind:     by_value
      - .actual_access:  read_only
        .address_space:  global
        .offset:         16
        .size:           8
        .value_kind:     global_buffer
      - .actual_access:  read_only
        .address_space:  global
        .offset:         24
        .size:           8
        .value_kind:     global_buffer
      - .actual_access:  read_only
        .address_space:  global
        .offset:         32
        .size:           8
        .value_kind:     global_buffer
      - .actual_access:  read_only
        .address_space:  global
        .offset:         40
        .size:           8
        .value_kind:     global_buffer
      - .actual_access:  write_only
        .address_space:  global
        .offset:         48
        .size:           8
        .value_kind:     global_buffer
      - .actual_access:  write_only
        .address_space:  global
        .offset:         56
        .size:           8
        .value_kind:     global_buffer
      - .offset:         64
        .size:           4
        .value_kind:     hidden_block_count_x
      - .offset:         68
        .size:           4
        .value_kind:     hidden_block_count_y
      - .offset:         72
        .size:           4
        .value_kind:     hidden_block_count_z
      - .offset:         76
        .size:           2
        .value_kind:     hidden_group_size_x
      - .offset:         78
        .size:           2
        .value_kind:     hidden_group_size_y
      - .offset:         80
        .size:           2
        .value_kind:     hidden_group_size_z
      - .offset:         82
        .size:           2
        .value_kind:     hidden_remainder_x
      - .offset:         84
        .size:           2
        .value_kind:     hidden_remainder_y
      - .offset:         86
        .size:           2
        .value_kind:     hidden_remainder_z
      - .offset:         104
        .size:           8
        .value_kind:     hidden_global_offset_x
      - .offset:         112
        .size:           8
        .value_kind:     hidden_global_offset_y
      - .offset:         120
        .size:           8
        .value_kind:     hidden_global_offset_z
      - .offset:         128
        .size:           2
        .value_kind:     hidden_grid_dims
    .group_segment_fixed_size: 0
    .kernarg_segment_align: 8
    .kernarg_segment_size: 320
    .language:       OpenCL C
    .language_version:
      - 2
      - 0
    .max_flat_workgroup_size: 64
    .name:           _ZN2at6native12_GLOBAL__N_135GammaBetaBackwardCUDAKernelTemplateIN3c104HalfEfLj64ELj1ELj32ELb1ELb1ELb0EEEvllPKT_S7_PKT0_SA_PS5_SB_
    .private_segment_fixed_size: 0
    .sgpr_count:     31
    .sgpr_spill_count: 0
    .symbol:         _ZN2at6native12_GLOBAL__N_135GammaBetaBackwardCUDAKernelTemplateIN3c104HalfEfLj64ELj1ELj32ELb1ELb1ELb0EEEvllPKT_S7_PKT0_SA_PS5_SB_.kd
    .uniform_work_group_size: 1
    .uses_dynamic_stack: false
    .vgpr_count:     115
    .vgpr_spill_count: 0
    .wavefront_size: 32
    .workgroup_processor_mode: 1
  - .args:
      - .offset:         0
        .size:           8
        .value_kind:     by_value
      - .offset:         8
        .size:           8
        .value_kind:     by_value
      - .actual_access:  read_only
        .address_space:  global
        .offset:         16
        .size:           8
        .value_kind:     global_buffer
      - .actual_access:  read_only
        .address_space:  global
        .offset:         24
        .size:           8
        .value_kind:     global_buffer
      - .actual_access:  read_only
        .address_space:  global
        .offset:         32
        .size:           8
        .value_kind:     global_buffer
      - .actual_access:  read_only
        .address_space:  global
        .offset:         40
        .size:           8
        .value_kind:     global_buffer
      - .actual_access:  write_only
        .address_space:  global
        .offset:         48
        .size:           8
        .value_kind:     global_buffer
      - .actual_access:  write_only
        .address_space:  global
        .offset:         56
        .size:           8
        .value_kind:     global_buffer
      - .offset:         64
        .size:           4
        .value_kind:     hidden_block_count_x
      - .offset:         68
        .size:           4
        .value_kind:     hidden_block_count_y
      - .offset:         72
        .size:           4
        .value_kind:     hidden_block_count_z
      - .offset:         76
        .size:           2
        .value_kind:     hidden_group_size_x
      - .offset:         78
        .size:           2
        .value_kind:     hidden_group_size_y
      - .offset:         80
        .size:           2
        .value_kind:     hidden_group_size_z
      - .offset:         82
        .size:           2
        .value_kind:     hidden_remainder_x
      - .offset:         84
        .size:           2
        .value_kind:     hidden_remainder_y
      - .offset:         86
        .size:           2
        .value_kind:     hidden_remainder_z
      - .offset:         104
        .size:           8
        .value_kind:     hidden_global_offset_x
      - .offset:         112
        .size:           8
        .value_kind:     hidden_global_offset_y
      - .offset:         120
        .size:           8
        .value_kind:     hidden_global_offset_z
      - .offset:         128
        .size:           2
        .value_kind:     hidden_grid_dims
    .group_segment_fixed_size: 0
    .kernarg_segment_align: 8
    .kernarg_segment_size: 320
    .language:       OpenCL C
    .language_version:
      - 2
      - 0
    .max_flat_workgroup_size: 64
    .name:           _ZN2at6native12_GLOBAL__N_135GammaBetaBackwardCUDAKernelTemplateIN3c104HalfEfLj64ELj1ELj32ELb1ELb0ELb0EEEvllPKT_S7_PKT0_SA_PS5_SB_
    .private_segment_fixed_size: 312
    .sgpr_count:     38
    .sgpr_spill_count: 0
    .symbol:         _ZN2at6native12_GLOBAL__N_135GammaBetaBackwardCUDAKernelTemplateIN3c104HalfEfLj64ELj1ELj32ELb1ELb0ELb0EEEvllPKT_S7_PKT0_SA_PS5_SB_.kd
    .uniform_work_group_size: 1
    .uses_dynamic_stack: false
    .vgpr_count:     256
    .vgpr_spill_count: 151
    .wavefront_size: 32
    .workgroup_processor_mode: 1
  - .args:
      - .offset:         0
        .size:           8
        .value_kind:     by_value
      - .offset:         8
        .size:           8
        .value_kind:     by_value
      - .actual_access:  read_only
        .address_space:  global
        .offset:         16
        .size:           8
        .value_kind:     global_buffer
      - .actual_access:  read_only
        .address_space:  global
        .offset:         24
        .size:           8
        .value_kind:     global_buffer
      - .actual_access:  read_only
        .address_space:  global
        .offset:         32
        .size:           8
        .value_kind:     global_buffer
      - .actual_access:  read_only
        .address_space:  global
        .offset:         40
        .size:           8
        .value_kind:     global_buffer
      - .actual_access:  write_only
        .address_space:  global
        .offset:         48
        .size:           8
        .value_kind:     global_buffer
      - .actual_access:  write_only
        .address_space:  global
        .offset:         56
        .size:           8
        .value_kind:     global_buffer
      - .offset:         64
        .size:           4
        .value_kind:     hidden_block_count_x
      - .offset:         68
        .size:           4
        .value_kind:     hidden_block_count_y
      - .offset:         72
        .size:           4
        .value_kind:     hidden_block_count_z
      - .offset:         76
        .size:           2
        .value_kind:     hidden_group_size_x
      - .offset:         78
        .size:           2
        .value_kind:     hidden_group_size_y
      - .offset:         80
        .size:           2
        .value_kind:     hidden_group_size_z
      - .offset:         82
        .size:           2
        .value_kind:     hidden_remainder_x
      - .offset:         84
        .size:           2
        .value_kind:     hidden_remainder_y
      - .offset:         86
        .size:           2
        .value_kind:     hidden_remainder_z
      - .offset:         104
        .size:           8
        .value_kind:     hidden_global_offset_x
      - .offset:         112
        .size:           8
        .value_kind:     hidden_global_offset_y
      - .offset:         120
        .size:           8
        .value_kind:     hidden_global_offset_z
      - .offset:         128
        .size:           2
        .value_kind:     hidden_grid_dims
    .group_segment_fixed_size: 0
    .kernarg_segment_align: 8
    .kernarg_segment_size: 320
    .language:       OpenCL C
    .language_version:
      - 2
      - 0
    .max_flat_workgroup_size: 64
    .name:           _ZN2at6native12_GLOBAL__N_135GammaBetaBackwardCUDAKernelTemplateIN3c104HalfEfLj64ELj1ELj8ELb1ELb1ELb0EEEvllPKT_S7_PKT0_SA_PS5_SB_
    .private_segment_fixed_size: 0
    .sgpr_count:     33
    .sgpr_spill_count: 0
    .symbol:         _ZN2at6native12_GLOBAL__N_135GammaBetaBackwardCUDAKernelTemplateIN3c104HalfEfLj64ELj1ELj8ELb1ELb1ELb0EEEvllPKT_S7_PKT0_SA_PS5_SB_.kd
    .uniform_work_group_size: 1
    .uses_dynamic_stack: false
    .vgpr_count:     50
    .vgpr_spill_count: 0
    .wavefront_size: 32
    .workgroup_processor_mode: 1
  - .args:
      - .offset:         0
        .size:           8
        .value_kind:     by_value
      - .offset:         8
        .size:           8
        .value_kind:     by_value
      - .actual_access:  read_only
        .address_space:  global
        .offset:         16
        .size:           8
        .value_kind:     global_buffer
      - .actual_access:  read_only
        .address_space:  global
        .offset:         24
        .size:           8
        .value_kind:     global_buffer
      - .actual_access:  read_only
        .address_space:  global
        .offset:         32
        .size:           8
        .value_kind:     global_buffer
      - .actual_access:  read_only
        .address_space:  global
        .offset:         40
        .size:           8
        .value_kind:     global_buffer
      - .actual_access:  write_only
        .address_space:  global
        .offset:         48
        .size:           8
        .value_kind:     global_buffer
      - .actual_access:  write_only
        .address_space:  global
        .offset:         56
        .size:           8
        .value_kind:     global_buffer
      - .offset:         64
        .size:           4
        .value_kind:     hidden_block_count_x
      - .offset:         68
        .size:           4
        .value_kind:     hidden_block_count_y
      - .offset:         72
        .size:           4
        .value_kind:     hidden_block_count_z
      - .offset:         76
        .size:           2
        .value_kind:     hidden_group_size_x
      - .offset:         78
        .size:           2
        .value_kind:     hidden_group_size_y
      - .offset:         80
        .size:           2
        .value_kind:     hidden_group_size_z
      - .offset:         82
        .size:           2
        .value_kind:     hidden_remainder_x
      - .offset:         84
        .size:           2
        .value_kind:     hidden_remainder_y
      - .offset:         86
        .size:           2
        .value_kind:     hidden_remainder_z
      - .offset:         104
        .size:           8
        .value_kind:     hidden_global_offset_x
      - .offset:         112
        .size:           8
        .value_kind:     hidden_global_offset_y
      - .offset:         120
        .size:           8
        .value_kind:     hidden_global_offset_z
      - .offset:         128
        .size:           2
        .value_kind:     hidden_grid_dims
    .group_segment_fixed_size: 0
    .kernarg_segment_align: 8
    .kernarg_segment_size: 320
    .language:       OpenCL C
    .language_version:
      - 2
      - 0
    .max_flat_workgroup_size: 64
    .name:           _ZN2at6native12_GLOBAL__N_135GammaBetaBackwardCUDAKernelTemplateIN3c104HalfEfLj64ELj1ELj8ELb1ELb0ELb0EEEvllPKT_S7_PKT0_SA_PS5_SB_
    .private_segment_fixed_size: 0
    .sgpr_count:     38
    .sgpr_spill_count: 0
    .symbol:         _ZN2at6native12_GLOBAL__N_135GammaBetaBackwardCUDAKernelTemplateIN3c104HalfEfLj64ELj1ELj8ELb1ELb0ELb0EEEvllPKT_S7_PKT0_SA_PS5_SB_.kd
    .uniform_work_group_size: 1
    .uses_dynamic_stack: false
    .vgpr_count:     101
    .vgpr_spill_count: 0
    .wavefront_size: 32
    .workgroup_processor_mode: 1
  - .args:
      - .offset:         0
        .size:           8
        .value_kind:     by_value
      - .offset:         8
        .size:           8
        .value_kind:     by_value
      - .actual_access:  read_only
        .address_space:  global
        .offset:         16
        .size:           8
        .value_kind:     global_buffer
      - .actual_access:  read_only
        .address_space:  global
        .offset:         24
        .size:           8
        .value_kind:     global_buffer
      - .actual_access:  read_only
        .address_space:  global
        .offset:         32
        .size:           8
        .value_kind:     global_buffer
      - .actual_access:  read_only
        .address_space:  global
        .offset:         40
        .size:           8
        .value_kind:     global_buffer
      - .actual_access:  write_only
        .address_space:  global
        .offset:         48
        .size:           8
        .value_kind:     global_buffer
      - .actual_access:  write_only
        .address_space:  global
        .offset:         56
        .size:           8
        .value_kind:     global_buffer
      - .offset:         64
        .size:           4
        .value_kind:     hidden_block_count_x
      - .offset:         68
        .size:           4
        .value_kind:     hidden_block_count_y
      - .offset:         72
        .size:           4
        .value_kind:     hidden_block_count_z
      - .offset:         76
        .size:           2
        .value_kind:     hidden_group_size_x
      - .offset:         78
        .size:           2
        .value_kind:     hidden_group_size_y
      - .offset:         80
        .size:           2
        .value_kind:     hidden_group_size_z
      - .offset:         82
        .size:           2
        .value_kind:     hidden_remainder_x
      - .offset:         84
        .size:           2
        .value_kind:     hidden_remainder_y
      - .offset:         86
        .size:           2
        .value_kind:     hidden_remainder_z
      - .offset:         104
        .size:           8
        .value_kind:     hidden_global_offset_x
      - .offset:         112
        .size:           8
        .value_kind:     hidden_global_offset_y
      - .offset:         120
        .size:           8
        .value_kind:     hidden_global_offset_z
      - .offset:         128
        .size:           2
        .value_kind:     hidden_grid_dims
      - .offset:         184
        .size:           4
        .value_kind:     hidden_dynamic_lds_size
    .group_segment_fixed_size: 0
    .kernarg_segment_align: 8
    .kernarg_segment_size: 320
    .language:       OpenCL C
    .language_version:
      - 2
      - 0
    .max_flat_workgroup_size: 512
    .name:           _ZN2at6native12_GLOBAL__N_135GammaBetaBackwardCUDAKernelTemplateIN3c104HalfEfLj64ELj8ELj64ELb0ELb1ELb0EEEvllPKT_S7_PKT0_SA_PS5_SB_
    .private_segment_fixed_size: 0
    .sgpr_count:     29
    .sgpr_spill_count: 0
    .symbol:         _ZN2at6native12_GLOBAL__N_135GammaBetaBackwardCUDAKernelTemplateIN3c104HalfEfLj64ELj8ELj64ELb0ELb1ELb0EEEvllPKT_S7_PKT0_SA_PS5_SB_.kd
    .uniform_work_group_size: 1
    .uses_dynamic_stack: false
    .vgpr_count:     50
    .vgpr_spill_count: 0
    .wavefront_size: 32
    .workgroup_processor_mode: 1
  - .args:
      - .offset:         0
        .size:           8
        .value_kind:     by_value
      - .offset:         8
        .size:           8
        .value_kind:     by_value
      - .actual_access:  read_only
        .address_space:  global
        .offset:         16
        .size:           8
        .value_kind:     global_buffer
      - .actual_access:  read_only
        .address_space:  global
        .offset:         24
        .size:           8
        .value_kind:     global_buffer
      - .actual_access:  read_only
        .address_space:  global
        .offset:         32
        .size:           8
        .value_kind:     global_buffer
      - .actual_access:  read_only
        .address_space:  global
        .offset:         40
        .size:           8
        .value_kind:     global_buffer
      - .actual_access:  write_only
        .address_space:  global
        .offset:         48
        .size:           8
        .value_kind:     global_buffer
      - .actual_access:  write_only
        .address_space:  global
        .offset:         56
        .size:           8
        .value_kind:     global_buffer
      - .offset:         64
        .size:           4
        .value_kind:     hidden_block_count_x
      - .offset:         68
        .size:           4
        .value_kind:     hidden_block_count_y
      - .offset:         72
        .size:           4
        .value_kind:     hidden_block_count_z
      - .offset:         76
        .size:           2
        .value_kind:     hidden_group_size_x
      - .offset:         78
        .size:           2
        .value_kind:     hidden_group_size_y
      - .offset:         80
        .size:           2
        .value_kind:     hidden_group_size_z
      - .offset:         82
        .size:           2
        .value_kind:     hidden_remainder_x
      - .offset:         84
        .size:           2
        .value_kind:     hidden_remainder_y
      - .offset:         86
        .size:           2
        .value_kind:     hidden_remainder_z
      - .offset:         104
        .size:           8
        .value_kind:     hidden_global_offset_x
      - .offset:         112
        .size:           8
        .value_kind:     hidden_global_offset_y
      - .offset:         120
        .size:           8
        .value_kind:     hidden_global_offset_z
      - .offset:         128
        .size:           2
        .value_kind:     hidden_grid_dims
      - .offset:         184
        .size:           4
        .value_kind:     hidden_dynamic_lds_size
    .group_segment_fixed_size: 0
    .kernarg_segment_align: 8
    .kernarg_segment_size: 320
    .language:       OpenCL C
    .language_version:
      - 2
      - 0
    .max_flat_workgroup_size: 512
    .name:           _ZN2at6native12_GLOBAL__N_135GammaBetaBackwardCUDAKernelTemplateIN3c104HalfEfLj64ELj8ELj64ELb0ELb0ELb0EEEvllPKT_S7_PKT0_SA_PS5_SB_
    .private_segment_fixed_size: 0
    .sgpr_count:     38
    .sgpr_spill_count: 0
    .symbol:         _ZN2at6native12_GLOBAL__N_135GammaBetaBackwardCUDAKernelTemplateIN3c104HalfEfLj64ELj8ELj64ELb0ELb0ELb0EEEvllPKT_S7_PKT0_SA_PS5_SB_.kd
    .uniform_work_group_size: 1
    .uses_dynamic_stack: false
    .vgpr_count:     93
    .vgpr_spill_count: 0
    .wavefront_size: 32
    .workgroup_processor_mode: 1
  - .args:
      - .offset:         0
        .size:           8
        .value_kind:     by_value
      - .offset:         8
        .size:           8
        .value_kind:     by_value
      - .actual_access:  read_only
        .address_space:  global
        .offset:         16
        .size:           8
        .value_kind:     global_buffer
      - .actual_access:  read_only
        .address_space:  global
        .offset:         24
        .size:           8
        .value_kind:     global_buffer
      - .actual_access:  read_only
        .address_space:  global
        .offset:         32
        .size:           8
        .value_kind:     global_buffer
      - .actual_access:  read_only
        .address_space:  global
        .offset:         40
        .size:           8
        .value_kind:     global_buffer
      - .actual_access:  write_only
        .address_space:  global
        .offset:         48
        .size:           8
        .value_kind:     global_buffer
      - .actual_access:  write_only
        .address_space:  global
        .offset:         56
        .size:           8
        .value_kind:     global_buffer
      - .offset:         64
        .size:           4
        .value_kind:     hidden_block_count_x
      - .offset:         68
        .size:           4
        .value_kind:     hidden_block_count_y
      - .offset:         72
        .size:           4
        .value_kind:     hidden_block_count_z
      - .offset:         76
        .size:           2
        .value_kind:     hidden_group_size_x
      - .offset:         78
        .size:           2
        .value_kind:     hidden_group_size_y
      - .offset:         80
        .size:           2
        .value_kind:     hidden_group_size_z
      - .offset:         82
        .size:           2
        .value_kind:     hidden_remainder_x
      - .offset:         84
        .size:           2
        .value_kind:     hidden_remainder_y
      - .offset:         86
        .size:           2
        .value_kind:     hidden_remainder_z
      - .offset:         104
        .size:           8
        .value_kind:     hidden_global_offset_x
      - .offset:         112
        .size:           8
        .value_kind:     hidden_global_offset_y
      - .offset:         120
        .size:           8
        .value_kind:     hidden_global_offset_z
      - .offset:         128
        .size:           2
        .value_kind:     hidden_grid_dims
      - .offset:         184
        .size:           4
        .value_kind:     hidden_dynamic_lds_size
    .group_segment_fixed_size: 0
    .kernarg_segment_align: 8
    .kernarg_segment_size: 320
    .language:       OpenCL C
    .language_version:
      - 2
      - 0
    .max_flat_workgroup_size: 1024
    .name:           _ZN2at6native12_GLOBAL__N_135GammaBetaBackwardCUDAKernelTemplateIN3c104HalfEfLj64ELj16ELj128ELb0ELb1ELb0EEEvllPKT_S7_PKT0_SA_PS5_SB_
    .private_segment_fixed_size: 0
    .sgpr_count:     29
    .sgpr_spill_count: 0
    .symbol:         _ZN2at6native12_GLOBAL__N_135GammaBetaBackwardCUDAKernelTemplateIN3c104HalfEfLj64ELj16ELj128ELb0ELb1ELb0EEEvllPKT_S7_PKT0_SA_PS5_SB_.kd
    .uniform_work_group_size: 1
    .uses_dynamic_stack: false
    .vgpr_count:     50
    .vgpr_spill_count: 0
    .wavefront_size: 32
    .workgroup_processor_mode: 1
  - .args:
      - .offset:         0
        .size:           8
        .value_kind:     by_value
      - .offset:         8
        .size:           8
        .value_kind:     by_value
      - .actual_access:  read_only
        .address_space:  global
        .offset:         16
        .size:           8
        .value_kind:     global_buffer
      - .actual_access:  read_only
        .address_space:  global
        .offset:         24
        .size:           8
        .value_kind:     global_buffer
      - .actual_access:  read_only
        .address_space:  global
        .offset:         32
        .size:           8
        .value_kind:     global_buffer
      - .actual_access:  read_only
        .address_space:  global
        .offset:         40
        .size:           8
        .value_kind:     global_buffer
      - .actual_access:  write_only
        .address_space:  global
        .offset:         48
        .size:           8
        .value_kind:     global_buffer
      - .actual_access:  write_only
        .address_space:  global
        .offset:         56
        .size:           8
        .value_kind:     global_buffer
      - .offset:         64
        .size:           4
        .value_kind:     hidden_block_count_x
      - .offset:         68
        .size:           4
        .value_kind:     hidden_block_count_y
      - .offset:         72
        .size:           4
        .value_kind:     hidden_block_count_z
      - .offset:         76
        .size:           2
        .value_kind:     hidden_group_size_x
      - .offset:         78
        .size:           2
        .value_kind:     hidden_group_size_y
      - .offset:         80
        .size:           2
        .value_kind:     hidden_group_size_z
      - .offset:         82
        .size:           2
        .value_kind:     hidden_remainder_x
      - .offset:         84
        .size:           2
        .value_kind:     hidden_remainder_y
      - .offset:         86
        .size:           2
        .value_kind:     hidden_remainder_z
      - .offset:         104
        .size:           8
        .value_kind:     hidden_global_offset_x
      - .offset:         112
        .size:           8
        .value_kind:     hidden_global_offset_y
      - .offset:         120
        .size:           8
        .value_kind:     hidden_global_offset_z
      - .offset:         128
        .size:           2
        .value_kind:     hidden_grid_dims
      - .offset:         184
        .size:           4
        .value_kind:     hidden_dynamic_lds_size
    .group_segment_fixed_size: 0
    .kernarg_segment_align: 8
    .kernarg_segment_size: 320
    .language:       OpenCL C
    .language_version:
      - 2
      - 0
    .max_flat_workgroup_size: 1024
    .name:           _ZN2at6native12_GLOBAL__N_135GammaBetaBackwardCUDAKernelTemplateIN3c104HalfEfLj64ELj16ELj128ELb0ELb0ELb0EEEvllPKT_S7_PKT0_SA_PS5_SB_
    .private_segment_fixed_size: 0
    .sgpr_count:     38
    .sgpr_spill_count: 0
    .symbol:         _ZN2at6native12_GLOBAL__N_135GammaBetaBackwardCUDAKernelTemplateIN3c104HalfEfLj64ELj16ELj128ELb0ELb0ELb0EEEvllPKT_S7_PKT0_SA_PS5_SB_.kd
    .uniform_work_group_size: 1
    .uses_dynamic_stack: false
    .vgpr_count:     93
    .vgpr_spill_count: 0
    .wavefront_size: 32
    .workgroup_processor_mode: 1
  - .args:
      - .offset:         0
        .size:           8
        .value_kind:     by_value
      - .offset:         8
        .size:           8
        .value_kind:     by_value
      - .actual_access:  read_only
        .address_space:  global
        .offset:         16
        .size:           8
        .value_kind:     global_buffer
      - .actual_access:  read_only
        .address_space:  global
        .offset:         24
        .size:           8
        .value_kind:     global_buffer
      - .actual_access:  read_only
        .address_space:  global
        .offset:         32
        .size:           8
        .value_kind:     global_buffer
      - .actual_access:  read_only
        .address_space:  global
        .offset:         40
        .size:           8
        .value_kind:     global_buffer
      - .actual_access:  write_only
        .address_space:  global
        .offset:         48
        .size:           8
        .value_kind:     global_buffer
      - .actual_access:  write_only
        .address_space:  global
        .offset:         56
        .size:           8
        .value_kind:     global_buffer
      - .offset:         64
        .size:           4
        .value_kind:     hidden_block_count_x
      - .offset:         68
        .size:           4
        .value_kind:     hidden_block_count_y
      - .offset:         72
        .size:           4
        .value_kind:     hidden_block_count_z
      - .offset:         76
        .size:           2
        .value_kind:     hidden_group_size_x
      - .offset:         78
        .size:           2
        .value_kind:     hidden_group_size_y
      - .offset:         80
        .size:           2
        .value_kind:     hidden_group_size_z
      - .offset:         82
        .size:           2
        .value_kind:     hidden_remainder_x
      - .offset:         84
        .size:           2
        .value_kind:     hidden_remainder_y
      - .offset:         86
        .size:           2
        .value_kind:     hidden_remainder_z
      - .offset:         104
        .size:           8
        .value_kind:     hidden_global_offset_x
      - .offset:         112
        .size:           8
        .value_kind:     hidden_global_offset_y
      - .offset:         120
        .size:           8
        .value_kind:     hidden_global_offset_z
      - .offset:         128
        .size:           2
        .value_kind:     hidden_grid_dims
      - .offset:         184
        .size:           4
        .value_kind:     hidden_dynamic_lds_size
    .group_segment_fixed_size: 0
    .kernarg_segment_align: 8
    .kernarg_segment_size: 320
    .language:       OpenCL C
    .language_version:
      - 2
      - 0
    .max_flat_workgroup_size: 1024
    .name:           _ZN2at6native12_GLOBAL__N_135GammaBetaBackwardCUDAKernelTemplateIN3c104HalfEfLj64ELj16ELj256ELb0ELb1ELb0EEEvllPKT_S7_PKT0_SA_PS5_SB_
    .private_segment_fixed_size: 0
    .sgpr_count:     29
    .sgpr_spill_count: 0
    .symbol:         _ZN2at6native12_GLOBAL__N_135GammaBetaBackwardCUDAKernelTemplateIN3c104HalfEfLj64ELj16ELj256ELb0ELb1ELb0EEEvllPKT_S7_PKT0_SA_PS5_SB_.kd
    .uniform_work_group_size: 1
    .uses_dynamic_stack: false
    .vgpr_count:     90
    .vgpr_spill_count: 0
    .wavefront_size: 32
    .workgroup_processor_mode: 1
  - .args:
      - .offset:         0
        .size:           8
        .value_kind:     by_value
      - .offset:         8
        .size:           8
        .value_kind:     by_value
      - .actual_access:  read_only
        .address_space:  global
        .offset:         16
        .size:           8
        .value_kind:     global_buffer
      - .actual_access:  read_only
        .address_space:  global
        .offset:         24
        .size:           8
        .value_kind:     global_buffer
      - .actual_access:  read_only
        .address_space:  global
        .offset:         32
        .size:           8
        .value_kind:     global_buffer
      - .actual_access:  read_only
        .address_space:  global
        .offset:         40
        .size:           8
        .value_kind:     global_buffer
      - .actual_access:  write_only
        .address_space:  global
        .offset:         48
        .size:           8
        .value_kind:     global_buffer
      - .actual_access:  write_only
        .address_space:  global
        .offset:         56
        .size:           8
        .value_kind:     global_buffer
      - .offset:         64
        .size:           4
        .value_kind:     hidden_block_count_x
      - .offset:         68
        .size:           4
        .value_kind:     hidden_block_count_y
      - .offset:         72
        .size:           4
        .value_kind:     hidden_block_count_z
      - .offset:         76
        .size:           2
        .value_kind:     hidden_group_size_x
      - .offset:         78
        .size:           2
        .value_kind:     hidden_group_size_y
      - .offset:         80
        .size:           2
        .value_kind:     hidden_group_size_z
      - .offset:         82
        .size:           2
        .value_kind:     hidden_remainder_x
      - .offset:         84
        .size:           2
        .value_kind:     hidden_remainder_y
      - .offset:         86
        .size:           2
        .value_kind:     hidden_remainder_z
      - .offset:         104
        .size:           8
        .value_kind:     hidden_global_offset_x
      - .offset:         112
        .size:           8
        .value_kind:     hidden_global_offset_y
      - .offset:         120
        .size:           8
        .value_kind:     hidden_global_offset_z
      - .offset:         128
        .size:           2
        .value_kind:     hidden_grid_dims
      - .offset:         184
        .size:           4
        .value_kind:     hidden_dynamic_lds_size
    .group_segment_fixed_size: 0
    .kernarg_segment_align: 8
    .kernarg_segment_size: 320
    .language:       OpenCL C
    .language_version:
      - 2
      - 0
    .max_flat_workgroup_size: 1024
    .name:           _ZN2at6native12_GLOBAL__N_135GammaBetaBackwardCUDAKernelTemplateIN3c104HalfEfLj64ELj16ELj256ELb0ELb0ELb0EEEvllPKT_S7_PKT0_SA_PS5_SB_
    .private_segment_fixed_size: 0
    .sgpr_count:     38
    .sgpr_spill_count: 0
    .symbol:         _ZN2at6native12_GLOBAL__N_135GammaBetaBackwardCUDAKernelTemplateIN3c104HalfEfLj64ELj16ELj256ELb0ELb0ELb0EEEvllPKT_S7_PKT0_SA_PS5_SB_.kd
    .uniform_work_group_size: 1
    .uses_dynamic_stack: false
    .vgpr_count:     187
    .vgpr_spill_count: 0
    .wavefront_size: 32
    .workgroup_processor_mode: 1
  - .args:
      - .offset:         0
        .size:           8
        .value_kind:     by_value
      - .offset:         8
        .size:           8
        .value_kind:     by_value
      - .actual_access:  read_only
        .address_space:  global
        .offset:         16
        .size:           8
        .value_kind:     global_buffer
      - .actual_access:  read_only
        .address_space:  global
        .offset:         24
        .size:           8
        .value_kind:     global_buffer
      - .actual_access:  read_only
        .address_space:  global
        .offset:         32
        .size:           8
        .value_kind:     global_buffer
      - .actual_access:  read_only
        .address_space:  global
        .offset:         40
        .size:           8
        .value_kind:     global_buffer
      - .actual_access:  write_only
        .address_space:  global
        .offset:         48
        .size:           8
        .value_kind:     global_buffer
      - .actual_access:  write_only
        .address_space:  global
        .offset:         56
        .size:           8
        .value_kind:     global_buffer
      - .offset:         64
        .size:           4
        .value_kind:     hidden_block_count_x
      - .offset:         68
        .size:           4
        .value_kind:     hidden_block_count_y
      - .offset:         72
        .size:           4
        .value_kind:     hidden_block_count_z
      - .offset:         76
        .size:           2
        .value_kind:     hidden_group_size_x
      - .offset:         78
        .size:           2
        .value_kind:     hidden_group_size_y
      - .offset:         80
        .size:           2
        .value_kind:     hidden_group_size_z
      - .offset:         82
        .size:           2
        .value_kind:     hidden_remainder_x
      - .offset:         84
        .size:           2
        .value_kind:     hidden_remainder_y
      - .offset:         86
        .size:           2
        .value_kind:     hidden_remainder_z
      - .offset:         104
        .size:           8
        .value_kind:     hidden_global_offset_x
      - .offset:         112
        .size:           8
        .value_kind:     hidden_global_offset_y
      - .offset:         120
        .size:           8
        .value_kind:     hidden_global_offset_z
      - .offset:         128
        .size:           2
        .value_kind:     hidden_grid_dims
    .group_segment_fixed_size: 0
    .kernarg_segment_align: 8
    .kernarg_segment_size: 320
    .language:       OpenCL C
    .language_version:
      - 2
      - 0
    .max_flat_workgroup_size: 32
    .name:           _ZN2at6native12_GLOBAL__N_135GammaBetaBackwardCUDAKernelTemplateIN3c104HalfEfLj32ELj1ELj32ELb1ELb1ELb0EEEvllPKT_S7_PKT0_SA_PS5_SB_
    .private_segment_fixed_size: 0
    .sgpr_count:     31
    .sgpr_spill_count: 0
    .symbol:         _ZN2at6native12_GLOBAL__N_135GammaBetaBackwardCUDAKernelTemplateIN3c104HalfEfLj32ELj1ELj32ELb1ELb1ELb0EEEvllPKT_S7_PKT0_SA_PS5_SB_.kd
    .uniform_work_group_size: 1
    .uses_dynamic_stack: false
    .vgpr_count:     115
    .vgpr_spill_count: 0
    .wavefront_size: 32
    .workgroup_processor_mode: 1
  - .args:
      - .offset:         0
        .size:           8
        .value_kind:     by_value
      - .offset:         8
        .size:           8
        .value_kind:     by_value
      - .actual_access:  read_only
        .address_space:  global
        .offset:         16
        .size:           8
        .value_kind:     global_buffer
      - .actual_access:  read_only
        .address_space:  global
        .offset:         24
        .size:           8
        .value_kind:     global_buffer
      - .actual_access:  read_only
        .address_space:  global
        .offset:         32
        .size:           8
        .value_kind:     global_buffer
      - .actual_access:  read_only
        .address_space:  global
        .offset:         40
        .size:           8
        .value_kind:     global_buffer
      - .actual_access:  write_only
        .address_space:  global
        .offset:         48
        .size:           8
        .value_kind:     global_buffer
      - .actual_access:  write_only
        .address_space:  global
        .offset:         56
        .size:           8
        .value_kind:     global_buffer
      - .offset:         64
        .size:           4
        .value_kind:     hidden_block_count_x
      - .offset:         68
        .size:           4
        .value_kind:     hidden_block_count_y
      - .offset:         72
        .size:           4
        .value_kind:     hidden_block_count_z
      - .offset:         76
        .size:           2
        .value_kind:     hidden_group_size_x
      - .offset:         78
        .size:           2
        .value_kind:     hidden_group_size_y
      - .offset:         80
        .size:           2
        .value_kind:     hidden_group_size_z
      - .offset:         82
        .size:           2
        .value_kind:     hidden_remainder_x
      - .offset:         84
        .size:           2
        .value_kind:     hidden_remainder_y
      - .offset:         86
        .size:           2
        .value_kind:     hidden_remainder_z
      - .offset:         104
        .size:           8
        .value_kind:     hidden_global_offset_x
      - .offset:         112
        .size:           8
        .value_kind:     hidden_global_offset_y
      - .offset:         120
        .size:           8
        .value_kind:     hidden_global_offset_z
      - .offset:         128
        .size:           2
        .value_kind:     hidden_grid_dims
    .group_segment_fixed_size: 0
    .kernarg_segment_align: 8
    .kernarg_segment_size: 320
    .language:       OpenCL C
    .language_version:
      - 2
      - 0
    .max_flat_workgroup_size: 32
    .name:           _ZN2at6native12_GLOBAL__N_135GammaBetaBackwardCUDAKernelTemplateIN3c104HalfEfLj32ELj1ELj32ELb1ELb0ELb0EEEvllPKT_S7_PKT0_SA_PS5_SB_
    .private_segment_fixed_size: 312
    .sgpr_count:     38
    .sgpr_spill_count: 0
    .symbol:         _ZN2at6native12_GLOBAL__N_135GammaBetaBackwardCUDAKernelTemplateIN3c104HalfEfLj32ELj1ELj32ELb1ELb0ELb0EEEvllPKT_S7_PKT0_SA_PS5_SB_.kd
    .uniform_work_group_size: 1
    .uses_dynamic_stack: false
    .vgpr_count:     256
    .vgpr_spill_count: 151
    .wavefront_size: 32
    .workgroup_processor_mode: 1
  - .args:
      - .offset:         0
        .size:           8
        .value_kind:     by_value
      - .offset:         8
        .size:           8
        .value_kind:     by_value
      - .actual_access:  read_only
        .address_space:  global
        .offset:         16
        .size:           8
        .value_kind:     global_buffer
      - .actual_access:  read_only
        .address_space:  global
        .offset:         24
        .size:           8
        .value_kind:     global_buffer
      - .actual_access:  read_only
        .address_space:  global
        .offset:         32
        .size:           8
        .value_kind:     global_buffer
      - .actual_access:  read_only
        .address_space:  global
        .offset:         40
        .size:           8
        .value_kind:     global_buffer
      - .actual_access:  write_only
        .address_space:  global
        .offset:         48
        .size:           8
        .value_kind:     global_buffer
      - .actual_access:  write_only
        .address_space:  global
        .offset:         56
        .size:           8
        .value_kind:     global_buffer
      - .offset:         64
        .size:           4
        .value_kind:     hidden_block_count_x
      - .offset:         68
        .size:           4
        .value_kind:     hidden_block_count_y
      - .offset:         72
        .size:           4
        .value_kind:     hidden_block_count_z
      - .offset:         76
        .size:           2
        .value_kind:     hidden_group_size_x
      - .offset:         78
        .size:           2
        .value_kind:     hidden_group_size_y
      - .offset:         80
        .size:           2
        .value_kind:     hidden_group_size_z
      - .offset:         82
        .size:           2
        .value_kind:     hidden_remainder_x
      - .offset:         84
        .size:           2
        .value_kind:     hidden_remainder_y
      - .offset:         86
        .size:           2
        .value_kind:     hidden_remainder_z
      - .offset:         104
        .size:           8
        .value_kind:     hidden_global_offset_x
      - .offset:         112
        .size:           8
        .value_kind:     hidden_global_offset_y
      - .offset:         120
        .size:           8
        .value_kind:     hidden_global_offset_z
      - .offset:         128
        .size:           2
        .value_kind:     hidden_grid_dims
    .group_segment_fixed_size: 0
    .kernarg_segment_align: 8
    .kernarg_segment_size: 320
    .language:       OpenCL C
    .language_version:
      - 2
      - 0
    .max_flat_workgroup_size: 32
    .name:           _ZN2at6native12_GLOBAL__N_135GammaBetaBackwardCUDAKernelTemplateIN3c104HalfEfLj32ELj1ELj8ELb1ELb1ELb0EEEvllPKT_S7_PKT0_SA_PS5_SB_
    .private_segment_fixed_size: 0
    .sgpr_count:     33
    .sgpr_spill_count: 0
    .symbol:         _ZN2at6native12_GLOBAL__N_135GammaBetaBackwardCUDAKernelTemplateIN3c104HalfEfLj32ELj1ELj8ELb1ELb1ELb0EEEvllPKT_S7_PKT0_SA_PS5_SB_.kd
    .uniform_work_group_size: 1
    .uses_dynamic_stack: false
    .vgpr_count:     50
    .vgpr_spill_count: 0
    .wavefront_size: 32
    .workgroup_processor_mode: 1
  - .args:
      - .offset:         0
        .size:           8
        .value_kind:     by_value
      - .offset:         8
        .size:           8
        .value_kind:     by_value
      - .actual_access:  read_only
        .address_space:  global
        .offset:         16
        .size:           8
        .value_kind:     global_buffer
      - .actual_access:  read_only
        .address_space:  global
        .offset:         24
        .size:           8
        .value_kind:     global_buffer
      - .actual_access:  read_only
        .address_space:  global
        .offset:         32
        .size:           8
        .value_kind:     global_buffer
      - .actual_access:  read_only
        .address_space:  global
        .offset:         40
        .size:           8
        .value_kind:     global_buffer
      - .actual_access:  write_only
        .address_space:  global
        .offset:         48
        .size:           8
        .value_kind:     global_buffer
      - .actual_access:  write_only
        .address_space:  global
        .offset:         56
        .size:           8
        .value_kind:     global_buffer
      - .offset:         64
        .size:           4
        .value_kind:     hidden_block_count_x
      - .offset:         68
        .size:           4
        .value_kind:     hidden_block_count_y
      - .offset:         72
        .size:           4
        .value_kind:     hidden_block_count_z
      - .offset:         76
        .size:           2
        .value_kind:     hidden_group_size_x
      - .offset:         78
        .size:           2
        .value_kind:     hidden_group_size_y
      - .offset:         80
        .size:           2
        .value_kind:     hidden_group_size_z
      - .offset:         82
        .size:           2
        .value_kind:     hidden_remainder_x
      - .offset:         84
        .size:           2
        .value_kind:     hidden_remainder_y
      - .offset:         86
        .size:           2
        .value_kind:     hidden_remainder_z
      - .offset:         104
        .size:           8
        .value_kind:     hidden_global_offset_x
      - .offset:         112
        .size:           8
        .value_kind:     hidden_global_offset_y
      - .offset:         120
        .size:           8
        .value_kind:     hidden_global_offset_z
      - .offset:         128
        .size:           2
        .value_kind:     hidden_grid_dims
    .group_segment_fixed_size: 0
    .kernarg_segment_align: 8
    .kernarg_segment_size: 320
    .language:       OpenCL C
    .language_version:
      - 2
      - 0
    .max_flat_workgroup_size: 32
    .name:           _ZN2at6native12_GLOBAL__N_135GammaBetaBackwardCUDAKernelTemplateIN3c104HalfEfLj32ELj1ELj8ELb1ELb0ELb0EEEvllPKT_S7_PKT0_SA_PS5_SB_
    .private_segment_fixed_size: 0
    .sgpr_count:     38
    .sgpr_spill_count: 0
    .symbol:         _ZN2at6native12_GLOBAL__N_135GammaBetaBackwardCUDAKernelTemplateIN3c104HalfEfLj32ELj1ELj8ELb1ELb0ELb0EEEvllPKT_S7_PKT0_SA_PS5_SB_.kd
    .uniform_work_group_size: 1
    .uses_dynamic_stack: false
    .vgpr_count:     101
    .vgpr_spill_count: 0
    .wavefront_size: 32
    .workgroup_processor_mode: 1
  - .args:
      - .offset:         0
        .size:           8
        .value_kind:     by_value
      - .offset:         8
        .size:           8
        .value_kind:     by_value
      - .actual_access:  read_only
        .address_space:  global
        .offset:         16
        .size:           8
        .value_kind:     global_buffer
      - .actual_access:  read_only
        .address_space:  global
        .offset:         24
        .size:           8
        .value_kind:     global_buffer
      - .actual_access:  read_only
        .address_space:  global
        .offset:         32
        .size:           8
        .value_kind:     global_buffer
      - .actual_access:  read_only
        .address_space:  global
        .offset:         40
        .size:           8
        .value_kind:     global_buffer
      - .actual_access:  write_only
        .address_space:  global
        .offset:         48
        .size:           8
        .value_kind:     global_buffer
      - .actual_access:  write_only
        .address_space:  global
        .offset:         56
        .size:           8
        .value_kind:     global_buffer
      - .offset:         64
        .size:           4
        .value_kind:     hidden_block_count_x
      - .offset:         68
        .size:           4
        .value_kind:     hidden_block_count_y
      - .offset:         72
        .size:           4
        .value_kind:     hidden_block_count_z
      - .offset:         76
        .size:           2
        .value_kind:     hidden_group_size_x
      - .offset:         78
        .size:           2
        .value_kind:     hidden_group_size_y
      - .offset:         80
        .size:           2
        .value_kind:     hidden_group_size_z
      - .offset:         82
        .size:           2
        .value_kind:     hidden_remainder_x
      - .offset:         84
        .size:           2
        .value_kind:     hidden_remainder_y
      - .offset:         86
        .size:           2
        .value_kind:     hidden_remainder_z
      - .offset:         104
        .size:           8
        .value_kind:     hidden_global_offset_x
      - .offset:         112
        .size:           8
        .value_kind:     hidden_global_offset_y
      - .offset:         120
        .size:           8
        .value_kind:     hidden_global_offset_z
      - .offset:         128
        .size:           2
        .value_kind:     hidden_grid_dims
      - .offset:         184
        .size:           4
        .value_kind:     hidden_dynamic_lds_size
    .group_segment_fixed_size: 0
    .kernarg_segment_align: 8
    .kernarg_segment_size: 320
    .language:       OpenCL C
    .language_version:
      - 2
      - 0
    .max_flat_workgroup_size: 256
    .name:           _ZN2at6native12_GLOBAL__N_135GammaBetaBackwardCUDAKernelTemplateIN3c104HalfEfLj32ELj8ELj64ELb0ELb1ELb0EEEvllPKT_S7_PKT0_SA_PS5_SB_
    .private_segment_fixed_size: 0
    .sgpr_count:     29
    .sgpr_spill_count: 0
    .symbol:         _ZN2at6native12_GLOBAL__N_135GammaBetaBackwardCUDAKernelTemplateIN3c104HalfEfLj32ELj8ELj64ELb0ELb1ELb0EEEvllPKT_S7_PKT0_SA_PS5_SB_.kd
    .uniform_work_group_size: 1
    .uses_dynamic_stack: false
    .vgpr_count:     50
    .vgpr_spill_count: 0
    .wavefront_size: 32
    .workgroup_processor_mode: 1
  - .args:
      - .offset:         0
        .size:           8
        .value_kind:     by_value
      - .offset:         8
        .size:           8
        .value_kind:     by_value
      - .actual_access:  read_only
        .address_space:  global
        .offset:         16
        .size:           8
        .value_kind:     global_buffer
      - .actual_access:  read_only
        .address_space:  global
        .offset:         24
        .size:           8
        .value_kind:     global_buffer
      - .actual_access:  read_only
        .address_space:  global
        .offset:         32
        .size:           8
        .value_kind:     global_buffer
      - .actual_access:  read_only
        .address_space:  global
        .offset:         40
        .size:           8
        .value_kind:     global_buffer
      - .actual_access:  write_only
        .address_space:  global
        .offset:         48
        .size:           8
        .value_kind:     global_buffer
      - .actual_access:  write_only
        .address_space:  global
        .offset:         56
        .size:           8
        .value_kind:     global_buffer
      - .offset:         64
        .size:           4
        .value_kind:     hidden_block_count_x
      - .offset:         68
        .size:           4
        .value_kind:     hidden_block_count_y
      - .offset:         72
        .size:           4
        .value_kind:     hidden_block_count_z
      - .offset:         76
        .size:           2
        .value_kind:     hidden_group_size_x
      - .offset:         78
        .size:           2
        .value_kind:     hidden_group_size_y
      - .offset:         80
        .size:           2
        .value_kind:     hidden_group_size_z
      - .offset:         82
        .size:           2
        .value_kind:     hidden_remainder_x
      - .offset:         84
        .size:           2
        .value_kind:     hidden_remainder_y
      - .offset:         86
        .size:           2
        .value_kind:     hidden_remainder_z
      - .offset:         104
        .size:           8
        .value_kind:     hidden_global_offset_x
      - .offset:         112
        .size:           8
        .value_kind:     hidden_global_offset_y
      - .offset:         120
        .size:           8
        .value_kind:     hidden_global_offset_z
      - .offset:         128
        .size:           2
        .value_kind:     hidden_grid_dims
      - .offset:         184
        .size:           4
        .value_kind:     hidden_dynamic_lds_size
    .group_segment_fixed_size: 0
    .kernarg_segment_align: 8
    .kernarg_segment_size: 320
    .language:       OpenCL C
    .language_version:
      - 2
      - 0
    .max_flat_workgroup_size: 256
    .name:           _ZN2at6native12_GLOBAL__N_135GammaBetaBackwardCUDAKernelTemplateIN3c104HalfEfLj32ELj8ELj64ELb0ELb0ELb0EEEvllPKT_S7_PKT0_SA_PS5_SB_
    .private_segment_fixed_size: 0
    .sgpr_count:     38
    .sgpr_spill_count: 0
    .symbol:         _ZN2at6native12_GLOBAL__N_135GammaBetaBackwardCUDAKernelTemplateIN3c104HalfEfLj32ELj8ELj64ELb0ELb0ELb0EEEvllPKT_S7_PKT0_SA_PS5_SB_.kd
    .uniform_work_group_size: 1
    .uses_dynamic_stack: false
    .vgpr_count:     93
    .vgpr_spill_count: 0
    .wavefront_size: 32
    .workgroup_processor_mode: 1
  - .args:
      - .offset:         0
        .size:           8
        .value_kind:     by_value
      - .offset:         8
        .size:           8
        .value_kind:     by_value
      - .actual_access:  read_only
        .address_space:  global
        .offset:         16
        .size:           8
        .value_kind:     global_buffer
      - .actual_access:  read_only
        .address_space:  global
        .offset:         24
        .size:           8
        .value_kind:     global_buffer
      - .actual_access:  read_only
        .address_space:  global
        .offset:         32
        .size:           8
        .value_kind:     global_buffer
      - .actual_access:  read_only
        .address_space:  global
        .offset:         40
        .size:           8
        .value_kind:     global_buffer
      - .actual_access:  write_only
        .address_space:  global
        .offset:         48
        .size:           8
        .value_kind:     global_buffer
      - .actual_access:  write_only
        .address_space:  global
        .offset:         56
        .size:           8
        .value_kind:     global_buffer
      - .offset:         64
        .size:           4
        .value_kind:     hidden_block_count_x
      - .offset:         68
        .size:           4
        .value_kind:     hidden_block_count_y
      - .offset:         72
        .size:           4
        .value_kind:     hidden_block_count_z
      - .offset:         76
        .size:           2
        .value_kind:     hidden_group_size_x
      - .offset:         78
        .size:           2
        .value_kind:     hidden_group_size_y
      - .offset:         80
        .size:           2
        .value_kind:     hidden_group_size_z
      - .offset:         82
        .size:           2
        .value_kind:     hidden_remainder_x
      - .offset:         84
        .size:           2
        .value_kind:     hidden_remainder_y
      - .offset:         86
        .size:           2
        .value_kind:     hidden_remainder_z
      - .offset:         104
        .size:           8
        .value_kind:     hidden_global_offset_x
      - .offset:         112
        .size:           8
        .value_kind:     hidden_global_offset_y
      - .offset:         120
        .size:           8
        .value_kind:     hidden_global_offset_z
      - .offset:         128
        .size:           2
        .value_kind:     hidden_grid_dims
      - .offset:         184
        .size:           4
        .value_kind:     hidden_dynamic_lds_size
    .group_segment_fixed_size: 0
    .kernarg_segment_align: 8
    .kernarg_segment_size: 320
    .language:       OpenCL C
    .language_version:
      - 2
      - 0
    .max_flat_workgroup_size: 512
    .name:           _ZN2at6native12_GLOBAL__N_135GammaBetaBackwardCUDAKernelTemplateIN3c104HalfEfLj32ELj16ELj128ELb0ELb1ELb0EEEvllPKT_S7_PKT0_SA_PS5_SB_
    .private_segment_fixed_size: 0
    .sgpr_count:     29
    .sgpr_spill_count: 0
    .symbol:         _ZN2at6native12_GLOBAL__N_135GammaBetaBackwardCUDAKernelTemplateIN3c104HalfEfLj32ELj16ELj128ELb0ELb1ELb0EEEvllPKT_S7_PKT0_SA_PS5_SB_.kd
    .uniform_work_group_size: 1
    .uses_dynamic_stack: false
    .vgpr_count:     50
    .vgpr_spill_count: 0
    .wavefront_size: 32
    .workgroup_processor_mode: 1
  - .args:
      - .offset:         0
        .size:           8
        .value_kind:     by_value
      - .offset:         8
        .size:           8
        .value_kind:     by_value
      - .actual_access:  read_only
        .address_space:  global
        .offset:         16
        .size:           8
        .value_kind:     global_buffer
      - .actual_access:  read_only
        .address_space:  global
        .offset:         24
        .size:           8
        .value_kind:     global_buffer
      - .actual_access:  read_only
        .address_space:  global
        .offset:         32
        .size:           8
        .value_kind:     global_buffer
      - .actual_access:  read_only
        .address_space:  global
        .offset:         40
        .size:           8
        .value_kind:     global_buffer
      - .actual_access:  write_only
        .address_space:  global
        .offset:         48
        .size:           8
        .value_kind:     global_buffer
      - .actual_access:  write_only
        .address_space:  global
        .offset:         56
        .size:           8
        .value_kind:     global_buffer
      - .offset:         64
        .size:           4
        .value_kind:     hidden_block_count_x
      - .offset:         68
        .size:           4
        .value_kind:     hidden_block_count_y
      - .offset:         72
        .size:           4
        .value_kind:     hidden_block_count_z
      - .offset:         76
        .size:           2
        .value_kind:     hidden_group_size_x
      - .offset:         78
        .size:           2
        .value_kind:     hidden_group_size_y
      - .offset:         80
        .size:           2
        .value_kind:     hidden_group_size_z
      - .offset:         82
        .size:           2
        .value_kind:     hidden_remainder_x
      - .offset:         84
        .size:           2
        .value_kind:     hidden_remainder_y
      - .offset:         86
        .size:           2
        .value_kind:     hidden_remainder_z
      - .offset:         104
        .size:           8
        .value_kind:     hidden_global_offset_x
      - .offset:         112
        .size:           8
        .value_kind:     hidden_global_offset_y
      - .offset:         120
        .size:           8
        .value_kind:     hidden_global_offset_z
      - .offset:         128
        .size:           2
        .value_kind:     hidden_grid_dims
      - .offset:         184
        .size:           4
        .value_kind:     hidden_dynamic_lds_size
    .group_segment_fixed_size: 0
    .kernarg_segment_align: 8
    .kernarg_segment_size: 320
    .language:       OpenCL C
    .language_version:
      - 2
      - 0
    .max_flat_workgroup_size: 512
    .name:           _ZN2at6native12_GLOBAL__N_135GammaBetaBackwardCUDAKernelTemplateIN3c104HalfEfLj32ELj16ELj128ELb0ELb0ELb0EEEvllPKT_S7_PKT0_SA_PS5_SB_
    .private_segment_fixed_size: 0
    .sgpr_count:     38
    .sgpr_spill_count: 0
    .symbol:         _ZN2at6native12_GLOBAL__N_135GammaBetaBackwardCUDAKernelTemplateIN3c104HalfEfLj32ELj16ELj128ELb0ELb0ELb0EEEvllPKT_S7_PKT0_SA_PS5_SB_.kd
    .uniform_work_group_size: 1
    .uses_dynamic_stack: false
    .vgpr_count:     93
    .vgpr_spill_count: 0
    .wavefront_size: 32
    .workgroup_processor_mode: 1
  - .args:
      - .offset:         0
        .size:           8
        .value_kind:     by_value
      - .offset:         8
        .size:           8
        .value_kind:     by_value
      - .actual_access:  read_only
        .address_space:  global
        .offset:         16
        .size:           8
        .value_kind:     global_buffer
      - .actual_access:  read_only
        .address_space:  global
        .offset:         24
        .size:           8
        .value_kind:     global_buffer
      - .actual_access:  read_only
        .address_space:  global
        .offset:         32
        .size:           8
        .value_kind:     global_buffer
      - .actual_access:  read_only
        .address_space:  global
        .offset:         40
        .size:           8
        .value_kind:     global_buffer
      - .actual_access:  write_only
        .address_space:  global
        .offset:         48
        .size:           8
        .value_kind:     global_buffer
      - .actual_access:  write_only
        .address_space:  global
        .offset:         56
        .size:           8
        .value_kind:     global_buffer
      - .offset:         64
        .size:           4
        .value_kind:     hidden_block_count_x
      - .offset:         68
        .size:           4
        .value_kind:     hidden_block_count_y
      - .offset:         72
        .size:           4
        .value_kind:     hidden_block_count_z
      - .offset:         76
        .size:           2
        .value_kind:     hidden_group_size_x
      - .offset:         78
        .size:           2
        .value_kind:     hidden_group_size_y
      - .offset:         80
        .size:           2
        .value_kind:     hidden_group_size_z
      - .offset:         82
        .size:           2
        .value_kind:     hidden_remainder_x
      - .offset:         84
        .size:           2
        .value_kind:     hidden_remainder_y
      - .offset:         86
        .size:           2
        .value_kind:     hidden_remainder_z
      - .offset:         104
        .size:           8
        .value_kind:     hidden_global_offset_x
      - .offset:         112
        .size:           8
        .value_kind:     hidden_global_offset_y
      - .offset:         120
        .size:           8
        .value_kind:     hidden_global_offset_z
      - .offset:         128
        .size:           2
        .value_kind:     hidden_grid_dims
      - .offset:         184
        .size:           4
        .value_kind:     hidden_dynamic_lds_size
    .group_segment_fixed_size: 0
    .kernarg_segment_align: 8
    .kernarg_segment_size: 320
    .language:       OpenCL C
    .language_version:
      - 2
      - 0
    .max_flat_workgroup_size: 1024
    .name:           _ZN2at6native12_GLOBAL__N_135GammaBetaBackwardCUDAKernelTemplateIN3c104HalfEfLj32ELj32ELj256ELb0ELb1ELb0EEEvllPKT_S7_PKT0_SA_PS5_SB_
    .private_segment_fixed_size: 0
    .sgpr_count:     29
    .sgpr_spill_count: 0
    .symbol:         _ZN2at6native12_GLOBAL__N_135GammaBetaBackwardCUDAKernelTemplateIN3c104HalfEfLj32ELj32ELj256ELb0ELb1ELb0EEEvllPKT_S7_PKT0_SA_PS5_SB_.kd
    .uniform_work_group_size: 1
    .uses_dynamic_stack: false
    .vgpr_count:     50
    .vgpr_spill_count: 0
    .wavefront_size: 32
    .workgroup_processor_mode: 1
  - .args:
      - .offset:         0
        .size:           8
        .value_kind:     by_value
      - .offset:         8
        .size:           8
        .value_kind:     by_value
      - .actual_access:  read_only
        .address_space:  global
        .offset:         16
        .size:           8
        .value_kind:     global_buffer
      - .actual_access:  read_only
        .address_space:  global
        .offset:         24
        .size:           8
        .value_kind:     global_buffer
      - .actual_access:  read_only
        .address_space:  global
        .offset:         32
        .size:           8
        .value_kind:     global_buffer
      - .actual_access:  read_only
        .address_space:  global
        .offset:         40
        .size:           8
        .value_kind:     global_buffer
      - .actual_access:  write_only
        .address_space:  global
        .offset:         48
        .size:           8
        .value_kind:     global_buffer
      - .actual_access:  write_only
        .address_space:  global
        .offset:         56
        .size:           8
        .value_kind:     global_buffer
      - .offset:         64
        .size:           4
        .value_kind:     hidden_block_count_x
      - .offset:         68
        .size:           4
        .value_kind:     hidden_block_count_y
      - .offset:         72
        .size:           4
        .value_kind:     hidden_block_count_z
      - .offset:         76
        .size:           2
        .value_kind:     hidden_group_size_x
      - .offset:         78
        .size:           2
        .value_kind:     hidden_group_size_y
      - .offset:         80
        .size:           2
        .value_kind:     hidden_group_size_z
      - .offset:         82
        .size:           2
        .value_kind:     hidden_remainder_x
      - .offset:         84
        .size:           2
        .value_kind:     hidden_remainder_y
      - .offset:         86
        .size:           2
        .value_kind:     hidden_remainder_z
      - .offset:         104
        .size:           8
        .value_kind:     hidden_global_offset_x
      - .offset:         112
        .size:           8
        .value_kind:     hidden_global_offset_y
      - .offset:         120
        .size:           8
        .value_kind:     hidden_global_offset_z
      - .offset:         128
        .size:           2
        .value_kind:     hidden_grid_dims
      - .offset:         184
        .size:           4
        .value_kind:     hidden_dynamic_lds_size
    .group_segment_fixed_size: 0
    .kernarg_segment_align: 8
    .kernarg_segment_size: 320
    .language:       OpenCL C
    .language_version:
      - 2
      - 0
    .max_flat_workgroup_size: 1024
    .name:           _ZN2at6native12_GLOBAL__N_135GammaBetaBackwardCUDAKernelTemplateIN3c104HalfEfLj32ELj32ELj256ELb0ELb0ELb0EEEvllPKT_S7_PKT0_SA_PS5_SB_
    .private_segment_fixed_size: 0
    .sgpr_count:     38
    .sgpr_spill_count: 0
    .symbol:         _ZN2at6native12_GLOBAL__N_135GammaBetaBackwardCUDAKernelTemplateIN3c104HalfEfLj32ELj32ELj256ELb0ELb0ELb0EEEvllPKT_S7_PKT0_SA_PS5_SB_.kd
    .uniform_work_group_size: 1
    .uses_dynamic_stack: false
    .vgpr_count:     93
    .vgpr_spill_count: 0
    .wavefront_size: 32
    .workgroup_processor_mode: 1
  - .args:
      - .actual_access:  read_only
        .address_space:  global
        .offset:         0
        .size:           8
        .value_kind:     global_buffer
      - .actual_access:  read_only
        .address_space:  global
        .offset:         8
        .size:           8
        .value_kind:     global_buffer
      - .offset:         16
        .size:           8
        .value_kind:     by_value
      - .offset:         24
        .size:           8
        .value_kind:     by_value
      - .actual_access:  read_only
        .address_space:  global
        .offset:         32
        .size:           8
        .value_kind:     global_buffer
      - .actual_access:  read_only
        .address_space:  global
        .offset:         40
        .size:           8
        .value_kind:     global_buffer
      - .address_space:  global
        .offset:         48
        .size:           8
        .value_kind:     global_buffer
      - .address_space:  global
        .offset:         56
        .size:           8
        .value_kind:     global_buffer
      - .offset:         64
        .size:           4
        .value_kind:     hidden_block_count_x
      - .offset:         68
        .size:           4
        .value_kind:     hidden_block_count_y
      - .offset:         72
        .size:           4
        .value_kind:     hidden_block_count_z
      - .offset:         76
        .size:           2
        .value_kind:     hidden_group_size_x
      - .offset:         78
        .size:           2
        .value_kind:     hidden_group_size_y
      - .offset:         80
        .size:           2
        .value_kind:     hidden_group_size_z
      - .offset:         82
        .size:           2
        .value_kind:     hidden_remainder_x
      - .offset:         84
        .size:           2
        .value_kind:     hidden_remainder_y
      - .offset:         86
        .size:           2
        .value_kind:     hidden_remainder_z
      - .offset:         104
        .size:           8
        .value_kind:     hidden_global_offset_x
      - .offset:         112
        .size:           8
        .value_kind:     hidden_global_offset_y
      - .offset:         120
        .size:           8
        .value_kind:     hidden_global_offset_z
      - .offset:         128
        .size:           2
        .value_kind:     hidden_grid_dims
      - .offset:         184
        .size:           4
        .value_kind:     hidden_dynamic_lds_size
    .group_segment_fixed_size: 0
    .kernarg_segment_align: 8
    .kernarg_segment_size: 320
    .language:       OpenCL C
    .language_version:
      - 2
      - 0
    .max_flat_workgroup_size: 1024
    .name:           _ZN2at6native12_GLOBAL__N_118cuComputeGradInputIN3c108BFloat16EfLb0EEEvPKT_S7_llPKT0_SA_S7_PS5_
    .private_segment_fixed_size: 0
    .sgpr_count:     43
    .sgpr_spill_count: 0
    .symbol:         _ZN2at6native12_GLOBAL__N_118cuComputeGradInputIN3c108BFloat16EfLb0EEEvPKT_S7_llPKT0_SA_S7_PS5_.kd
    .uniform_work_group_size: 1
    .uses_dynamic_stack: false
    .vgpr_count:     25
    .vgpr_spill_count: 0
    .wavefront_size: 32
    .workgroup_processor_mode: 1
  - .args:
      - .actual_access:  read_only
        .address_space:  global
        .offset:         0
        .size:           8
        .value_kind:     global_buffer
      - .actual_access:  read_only
        .address_space:  global
        .offset:         8
        .size:           8
        .value_kind:     global_buffer
      - .actual_access:  read_only
        .address_space:  global
        .offset:         16
        .size:           8
        .value_kind:     global_buffer
      - .actual_access:  read_only
        .address_space:  global
        .offset:         24
        .size:           8
        .value_kind:     global_buffer
      - .actual_access:  read_only
        .address_space:  global
        .offset:         32
        .size:           8
        .value_kind:     global_buffer
      - .address_space:  global
        .offset:         40
        .size:           8
        .value_kind:     global_buffer
      - .offset:         48
        .size:           4
        .value_kind:     by_value
      - .offset:         56
        .size:           4
        .value_kind:     hidden_block_count_x
      - .offset:         60
        .size:           4
        .value_kind:     hidden_block_count_y
      - .offset:         64
        .size:           4
        .value_kind:     hidden_block_count_z
      - .offset:         68
        .size:           2
        .value_kind:     hidden_group_size_x
      - .offset:         70
        .size:           2
        .value_kind:     hidden_group_size_y
      - .offset:         72
        .size:           2
        .value_kind:     hidden_group_size_z
      - .offset:         74
        .size:           2
        .value_kind:     hidden_remainder_x
      - .offset:         76
        .size:           2
        .value_kind:     hidden_remainder_y
      - .offset:         78
        .size:           2
        .value_kind:     hidden_remainder_z
      - .offset:         96
        .size:           8
        .value_kind:     hidden_global_offset_x
      - .offset:         104
        .size:           8
        .value_kind:     hidden_global_offset_y
      - .offset:         112
        .size:           8
        .value_kind:     hidden_global_offset_z
      - .offset:         120
        .size:           2
        .value_kind:     hidden_grid_dims
      - .offset:         176
        .size:           4
        .value_kind:     hidden_dynamic_lds_size
    .group_segment_fixed_size: 0
    .kernarg_segment_align: 8
    .kernarg_segment_size: 312
    .language:       OpenCL C
    .language_version:
      - 2
      - 0
    .max_flat_workgroup_size: 1024
    .name:           _ZN2at6native12_GLOBAL__N_128layer_norm_grad_input_kernelIN3c108BFloat16EfLb0EEEvPKT_S7_PKT0_SA_S7_PS5_i
    .private_segment_fixed_size: 0
    .sgpr_count:     23
    .sgpr_spill_count: 0
    .symbol:         _ZN2at6native12_GLOBAL__N_128layer_norm_grad_input_kernelIN3c108BFloat16EfLb0EEEvPKT_S7_PKT0_SA_S7_PS5_i.kd
    .uniform_work_group_size: 1
    .uses_dynamic_stack: false
    .vgpr_count:     21
    .vgpr_spill_count: 0
    .wavefront_size: 32
    .workgroup_processor_mode: 1
  - .args:
      - .offset:         0
        .size:           8
        .value_kind:     by_value
      - .offset:         8
        .size:           8
        .value_kind:     by_value
      - .address_space:  global
        .offset:         16
        .size:           8
        .value_kind:     global_buffer
      - .address_space:  global
        .offset:         24
        .size:           8
        .value_kind:     global_buffer
      - .address_space:  global
        .offset:         32
        .size:           8
        .value_kind:     global_buffer
      - .address_space:  global
        .offset:         40
        .size:           8
        .value_kind:     global_buffer
      - .address_space:  global
        .offset:         48
        .size:           8
        .value_kind:     global_buffer
      - .address_space:  global
        .offset:         56
        .size:           8
        .value_kind:     global_buffer
      - .offset:         64
        .size:           4
        .value_kind:     hidden_block_count_x
      - .offset:         68
        .size:           4
        .value_kind:     hidden_block_count_y
      - .offset:         72
        .size:           4
        .value_kind:     hidden_block_count_z
      - .offset:         76
        .size:           2
        .value_kind:     hidden_group_size_x
      - .offset:         78
        .size:           2
        .value_kind:     hidden_group_size_y
      - .offset:         80
        .size:           2
        .value_kind:     hidden_group_size_z
      - .offset:         82
        .size:           2
        .value_kind:     hidden_remainder_x
      - .offset:         84
        .size:           2
        .value_kind:     hidden_remainder_y
      - .offset:         86
        .size:           2
        .value_kind:     hidden_remainder_z
      - .offset:         104
        .size:           8
        .value_kind:     hidden_global_offset_x
      - .offset:         112
        .size:           8
        .value_kind:     hidden_global_offset_y
      - .offset:         120
        .size:           8
        .value_kind:     hidden_global_offset_z
      - .offset:         128
        .size:           2
        .value_kind:     hidden_grid_dims
    .group_segment_fixed_size: 0
    .kernarg_segment_align: 8
    .kernarg_segment_size: 320
    .language:       OpenCL C
    .language_version:
      - 2
      - 0
    .max_flat_workgroup_size: 1024
    .name:           _ZN2at6native12_GLOBAL__N_133GammaBetaBackwardSimpleCUDAKernelIN3c108BFloat16EfLb0EEEvllPKT_S7_PKT0_SA_PS5_SB_
    .private_segment_fixed_size: 0
    .sgpr_count:     22
    .sgpr_spill_count: 0
    .symbol:         _ZN2at6native12_GLOBAL__N_133GammaBetaBackwardSimpleCUDAKernelIN3c108BFloat16EfLb0EEEvllPKT_S7_PKT0_SA_PS5_SB_.kd
    .uniform_work_group_size: 1
    .uses_dynamic_stack: false
    .vgpr_count:     10
    .vgpr_spill_count: 0
    .wavefront_size: 32
    .workgroup_processor_mode: 1
  - .args:
      - .offset:         0
        .size:           8
        .value_kind:     by_value
      - .offset:         8
        .size:           8
        .value_kind:     by_value
      - .actual_access:  read_only
        .address_space:  global
        .offset:         16
        .size:           8
        .value_kind:     global_buffer
      - .actual_access:  read_only
        .address_space:  global
        .offset:         24
        .size:           8
        .value_kind:     global_buffer
      - .actual_access:  read_only
        .address_space:  global
        .offset:         32
        .size:           8
        .value_kind:     global_buffer
      - .actual_access:  read_only
        .address_space:  global
        .offset:         40
        .size:           8
        .value_kind:     global_buffer
      - .actual_access:  write_only
        .address_space:  global
        .offset:         48
        .size:           8
        .value_kind:     global_buffer
      - .actual_access:  write_only
        .address_space:  global
        .offset:         56
        .size:           8
        .value_kind:     global_buffer
      - .offset:         64
        .size:           4
        .value_kind:     hidden_block_count_x
      - .offset:         68
        .size:           4
        .value_kind:     hidden_block_count_y
      - .offset:         72
        .size:           4
        .value_kind:     hidden_block_count_z
      - .offset:         76
        .size:           2
        .value_kind:     hidden_group_size_x
      - .offset:         78
        .size:           2
        .value_kind:     hidden_group_size_y
      - .offset:         80
        .size:           2
        .value_kind:     hidden_group_size_z
      - .offset:         82
        .size:           2
        .value_kind:     hidden_remainder_x
      - .offset:         84
        .size:           2
        .value_kind:     hidden_remainder_y
      - .offset:         86
        .size:           2
        .value_kind:     hidden_remainder_z
      - .offset:         104
        .size:           8
        .value_kind:     hidden_global_offset_x
      - .offset:         112
        .size:           8
        .value_kind:     hidden_global_offset_y
      - .offset:         120
        .size:           8
        .value_kind:     hidden_global_offset_z
      - .offset:         128
        .size:           2
        .value_kind:     hidden_grid_dims
    .group_segment_fixed_size: 0
    .kernarg_segment_align: 8
    .kernarg_segment_size: 320
    .language:       OpenCL C
    .language_version:
      - 2
      - 0
    .max_flat_workgroup_size: 64
    .name:           _ZN2at6native12_GLOBAL__N_135GammaBetaBackwardCUDAKernelTemplateIN3c108BFloat16EfLj64ELj1ELj32ELb1ELb1ELb0EEEvllPKT_S7_PKT0_SA_PS5_SB_
    .private_segment_fixed_size: 0
    .sgpr_count:     31
    .sgpr_spill_count: 0
    .symbol:         _ZN2at6native12_GLOBAL__N_135GammaBetaBackwardCUDAKernelTemplateIN3c108BFloat16EfLj64ELj1ELj32ELb1ELb1ELb0EEEvllPKT_S7_PKT0_SA_PS5_SB_.kd
    .uniform_work_group_size: 1
    .uses_dynamic_stack: false
    .vgpr_count:     115
    .vgpr_spill_count: 0
    .wavefront_size: 32
    .workgroup_processor_mode: 1
  - .args:
      - .offset:         0
        .size:           8
        .value_kind:     by_value
      - .offset:         8
        .size:           8
        .value_kind:     by_value
      - .actual_access:  read_only
        .address_space:  global
        .offset:         16
        .size:           8
        .value_kind:     global_buffer
      - .actual_access:  read_only
        .address_space:  global
        .offset:         24
        .size:           8
        .value_kind:     global_buffer
      - .actual_access:  read_only
        .address_space:  global
        .offset:         32
        .size:           8
        .value_kind:     global_buffer
      - .actual_access:  read_only
        .address_space:  global
        .offset:         40
        .size:           8
        .value_kind:     global_buffer
      - .actual_access:  write_only
        .address_space:  global
        .offset:         48
        .size:           8
        .value_kind:     global_buffer
      - .actual_access:  write_only
        .address_space:  global
        .offset:         56
        .size:           8
        .value_kind:     global_buffer
      - .offset:         64
        .size:           4
        .value_kind:     hidden_block_count_x
      - .offset:         68
        .size:           4
        .value_kind:     hidden_block_count_y
      - .offset:         72
        .size:           4
        .value_kind:     hidden_block_count_z
      - .offset:         76
        .size:           2
        .value_kind:     hidden_group_size_x
      - .offset:         78
        .size:           2
        .value_kind:     hidden_group_size_y
      - .offset:         80
        .size:           2
        .value_kind:     hidden_group_size_z
      - .offset:         82
        .size:           2
        .value_kind:     hidden_remainder_x
      - .offset:         84
        .size:           2
        .value_kind:     hidden_remainder_y
      - .offset:         86
        .size:           2
        .value_kind:     hidden_remainder_z
      - .offset:         104
        .size:           8
        .value_kind:     hidden_global_offset_x
      - .offset:         112
        .size:           8
        .value_kind:     hidden_global_offset_y
      - .offset:         120
        .size:           8
        .value_kind:     hidden_global_offset_z
      - .offset:         128
        .size:           2
        .value_kind:     hidden_grid_dims
    .group_segment_fixed_size: 0
    .kernarg_segment_align: 8
    .kernarg_segment_size: 320
    .language:       OpenCL C
    .language_version:
      - 2
      - 0
    .max_flat_workgroup_size: 64
    .name:           _ZN2at6native12_GLOBAL__N_135GammaBetaBackwardCUDAKernelTemplateIN3c108BFloat16EfLj64ELj1ELj32ELb1ELb0ELb0EEEvllPKT_S7_PKT0_SA_PS5_SB_
    .private_segment_fixed_size: 312
    .sgpr_count:     38
    .sgpr_spill_count: 0
    .symbol:         _ZN2at6native12_GLOBAL__N_135GammaBetaBackwardCUDAKernelTemplateIN3c108BFloat16EfLj64ELj1ELj32ELb1ELb0ELb0EEEvllPKT_S7_PKT0_SA_PS5_SB_.kd
    .uniform_work_group_size: 1
    .uses_dynamic_stack: false
    .vgpr_count:     256
    .vgpr_spill_count: 151
    .wavefront_size: 32
    .workgroup_processor_mode: 1
  - .args:
      - .offset:         0
        .size:           8
        .value_kind:     by_value
      - .offset:         8
        .size:           8
        .value_kind:     by_value
      - .actual_access:  read_only
        .address_space:  global
        .offset:         16
        .size:           8
        .value_kind:     global_buffer
      - .actual_access:  read_only
        .address_space:  global
        .offset:         24
        .size:           8
        .value_kind:     global_buffer
      - .actual_access:  read_only
        .address_space:  global
        .offset:         32
        .size:           8
        .value_kind:     global_buffer
      - .actual_access:  read_only
        .address_space:  global
        .offset:         40
        .size:           8
        .value_kind:     global_buffer
      - .actual_access:  write_only
        .address_space:  global
        .offset:         48
        .size:           8
        .value_kind:     global_buffer
      - .actual_access:  write_only
        .address_space:  global
        .offset:         56
        .size:           8
        .value_kind:     global_buffer
      - .offset:         64
        .size:           4
        .value_kind:     hidden_block_count_x
      - .offset:         68
        .size:           4
        .value_kind:     hidden_block_count_y
      - .offset:         72
        .size:           4
        .value_kind:     hidden_block_count_z
      - .offset:         76
        .size:           2
        .value_kind:     hidden_group_size_x
      - .offset:         78
        .size:           2
        .value_kind:     hidden_group_size_y
      - .offset:         80
        .size:           2
        .value_kind:     hidden_group_size_z
      - .offset:         82
        .size:           2
        .value_kind:     hidden_remainder_x
      - .offset:         84
        .size:           2
        .value_kind:     hidden_remainder_y
      - .offset:         86
        .size:           2
        .value_kind:     hidden_remainder_z
      - .offset:         104
        .size:           8
        .value_kind:     hidden_global_offset_x
      - .offset:         112
        .size:           8
        .value_kind:     hidden_global_offset_y
      - .offset:         120
        .size:           8
        .value_kind:     hidden_global_offset_z
      - .offset:         128
        .size:           2
        .value_kind:     hidden_grid_dims
    .group_segment_fixed_size: 0
    .kernarg_segment_align: 8
    .kernarg_segment_size: 320
    .language:       OpenCL C
    .language_version:
      - 2
      - 0
    .max_flat_workgroup_size: 64
    .name:           _ZN2at6native12_GLOBAL__N_135GammaBetaBackwardCUDAKernelTemplateIN3c108BFloat16EfLj64ELj1ELj8ELb1ELb1ELb0EEEvllPKT_S7_PKT0_SA_PS5_SB_
    .private_segment_fixed_size: 0
    .sgpr_count:     33
    .sgpr_spill_count: 0
    .symbol:         _ZN2at6native12_GLOBAL__N_135GammaBetaBackwardCUDAKernelTemplateIN3c108BFloat16EfLj64ELj1ELj8ELb1ELb1ELb0EEEvllPKT_S7_PKT0_SA_PS5_SB_.kd
    .uniform_work_group_size: 1
    .uses_dynamic_stack: false
    .vgpr_count:     50
    .vgpr_spill_count: 0
    .wavefront_size: 32
    .workgroup_processor_mode: 1
  - .args:
      - .offset:         0
        .size:           8
        .value_kind:     by_value
      - .offset:         8
        .size:           8
        .value_kind:     by_value
      - .actual_access:  read_only
        .address_space:  global
        .offset:         16
        .size:           8
        .value_kind:     global_buffer
      - .actual_access:  read_only
        .address_space:  global
        .offset:         24
        .size:           8
        .value_kind:     global_buffer
      - .actual_access:  read_only
        .address_space:  global
        .offset:         32
        .size:           8
        .value_kind:     global_buffer
      - .actual_access:  read_only
        .address_space:  global
        .offset:         40
        .size:           8
        .value_kind:     global_buffer
      - .actual_access:  write_only
        .address_space:  global
        .offset:         48
        .size:           8
        .value_kind:     global_buffer
      - .actual_access:  write_only
        .address_space:  global
        .offset:         56
        .size:           8
        .value_kind:     global_buffer
      - .offset:         64
        .size:           4
        .value_kind:     hidden_block_count_x
      - .offset:         68
        .size:           4
        .value_kind:     hidden_block_count_y
      - .offset:         72
        .size:           4
        .value_kind:     hidden_block_count_z
      - .offset:         76
        .size:           2
        .value_kind:     hidden_group_size_x
      - .offset:         78
        .size:           2
        .value_kind:     hidden_group_size_y
      - .offset:         80
        .size:           2
        .value_kind:     hidden_group_size_z
      - .offset:         82
        .size:           2
        .value_kind:     hidden_remainder_x
      - .offset:         84
        .size:           2
        .value_kind:     hidden_remainder_y
      - .offset:         86
        .size:           2
        .value_kind:     hidden_remainder_z
      - .offset:         104
        .size:           8
        .value_kind:     hidden_global_offset_x
      - .offset:         112
        .size:           8
        .value_kind:     hidden_global_offset_y
      - .offset:         120
        .size:           8
        .value_kind:     hidden_global_offset_z
      - .offset:         128
        .size:           2
        .value_kind:     hidden_grid_dims
    .group_segment_fixed_size: 0
    .kernarg_segment_align: 8
    .kernarg_segment_size: 320
    .language:       OpenCL C
    .language_version:
      - 2
      - 0
    .max_flat_workgroup_size: 64
    .name:           _ZN2at6native12_GLOBAL__N_135GammaBetaBackwardCUDAKernelTemplateIN3c108BFloat16EfLj64ELj1ELj8ELb1ELb0ELb0EEEvllPKT_S7_PKT0_SA_PS5_SB_
    .private_segment_fixed_size: 0
    .sgpr_count:     38
    .sgpr_spill_count: 0
    .symbol:         _ZN2at6native12_GLOBAL__N_135GammaBetaBackwardCUDAKernelTemplateIN3c108BFloat16EfLj64ELj1ELj8ELb1ELb0ELb0EEEvllPKT_S7_PKT0_SA_PS5_SB_.kd
    .uniform_work_group_size: 1
    .uses_dynamic_stack: false
    .vgpr_count:     101
    .vgpr_spill_count: 0
    .wavefront_size: 32
    .workgroup_processor_mode: 1
  - .args:
      - .offset:         0
        .size:           8
        .value_kind:     by_value
      - .offset:         8
        .size:           8
        .value_kind:     by_value
      - .actual_access:  read_only
        .address_space:  global
        .offset:         16
        .size:           8
        .value_kind:     global_buffer
      - .actual_access:  read_only
        .address_space:  global
        .offset:         24
        .size:           8
        .value_kind:     global_buffer
      - .actual_access:  read_only
        .address_space:  global
        .offset:         32
        .size:           8
        .value_kind:     global_buffer
      - .actual_access:  read_only
        .address_space:  global
        .offset:         40
        .size:           8
        .value_kind:     global_buffer
      - .actual_access:  write_only
        .address_space:  global
        .offset:         48
        .size:           8
        .value_kind:     global_buffer
      - .actual_access:  write_only
        .address_space:  global
        .offset:         56
        .size:           8
        .value_kind:     global_buffer
      - .offset:         64
        .size:           4
        .value_kind:     hidden_block_count_x
      - .offset:         68
        .size:           4
        .value_kind:     hidden_block_count_y
      - .offset:         72
        .size:           4
        .value_kind:     hidden_block_count_z
      - .offset:         76
        .size:           2
        .value_kind:     hidden_group_size_x
      - .offset:         78
        .size:           2
        .value_kind:     hidden_group_size_y
      - .offset:         80
        .size:           2
        .value_kind:     hidden_group_size_z
      - .offset:         82
        .size:           2
        .value_kind:     hidden_remainder_x
      - .offset:         84
        .size:           2
        .value_kind:     hidden_remainder_y
      - .offset:         86
        .size:           2
        .value_kind:     hidden_remainder_z
      - .offset:         104
        .size:           8
        .value_kind:     hidden_global_offset_x
      - .offset:         112
        .size:           8
        .value_kind:     hidden_global_offset_y
      - .offset:         120
        .size:           8
        .value_kind:     hidden_global_offset_z
      - .offset:         128
        .size:           2
        .value_kind:     hidden_grid_dims
      - .offset:         184
        .size:           4
        .value_kind:     hidden_dynamic_lds_size
    .group_segment_fixed_size: 0
    .kernarg_segment_align: 8
    .kernarg_segment_size: 320
    .language:       OpenCL C
    .language_version:
      - 2
      - 0
    .max_flat_workgroup_size: 512
    .name:           _ZN2at6native12_GLOBAL__N_135GammaBetaBackwardCUDAKernelTemplateIN3c108BFloat16EfLj64ELj8ELj64ELb0ELb1ELb0EEEvllPKT_S7_PKT0_SA_PS5_SB_
    .private_segment_fixed_size: 0
    .sgpr_count:     29
    .sgpr_spill_count: 0
    .symbol:         _ZN2at6native12_GLOBAL__N_135GammaBetaBackwardCUDAKernelTemplateIN3c108BFloat16EfLj64ELj8ELj64ELb0ELb1ELb0EEEvllPKT_S7_PKT0_SA_PS5_SB_.kd
    .uniform_work_group_size: 1
    .uses_dynamic_stack: false
    .vgpr_count:     50
    .vgpr_spill_count: 0
    .wavefront_size: 32
    .workgroup_processor_mode: 1
  - .args:
      - .offset:         0
        .size:           8
        .value_kind:     by_value
      - .offset:         8
        .size:           8
        .value_kind:     by_value
      - .actual_access:  read_only
        .address_space:  global
        .offset:         16
        .size:           8
        .value_kind:     global_buffer
      - .actual_access:  read_only
        .address_space:  global
        .offset:         24
        .size:           8
        .value_kind:     global_buffer
      - .actual_access:  read_only
        .address_space:  global
        .offset:         32
        .size:           8
        .value_kind:     global_buffer
      - .actual_access:  read_only
        .address_space:  global
        .offset:         40
        .size:           8
        .value_kind:     global_buffer
      - .actual_access:  write_only
        .address_space:  global
        .offset:         48
        .size:           8
        .value_kind:     global_buffer
      - .actual_access:  write_only
        .address_space:  global
        .offset:         56
        .size:           8
        .value_kind:     global_buffer
      - .offset:         64
        .size:           4
        .value_kind:     hidden_block_count_x
      - .offset:         68
        .size:           4
        .value_kind:     hidden_block_count_y
      - .offset:         72
        .size:           4
        .value_kind:     hidden_block_count_z
      - .offset:         76
        .size:           2
        .value_kind:     hidden_group_size_x
      - .offset:         78
        .size:           2
        .value_kind:     hidden_group_size_y
      - .offset:         80
        .size:           2
        .value_kind:     hidden_group_size_z
      - .offset:         82
        .size:           2
        .value_kind:     hidden_remainder_x
      - .offset:         84
        .size:           2
        .value_kind:     hidden_remainder_y
      - .offset:         86
        .size:           2
        .value_kind:     hidden_remainder_z
      - .offset:         104
        .size:           8
        .value_kind:     hidden_global_offset_x
      - .offset:         112
        .size:           8
        .value_kind:     hidden_global_offset_y
      - .offset:         120
        .size:           8
        .value_kind:     hidden_global_offset_z
      - .offset:         128
        .size:           2
        .value_kind:     hidden_grid_dims
      - .offset:         184
        .size:           4
        .value_kind:     hidden_dynamic_lds_size
    .group_segment_fixed_size: 0
    .kernarg_segment_align: 8
    .kernarg_segment_size: 320
    .language:       OpenCL C
    .language_version:
      - 2
      - 0
    .max_flat_workgroup_size: 512
    .name:           _ZN2at6native12_GLOBAL__N_135GammaBetaBackwardCUDAKernelTemplateIN3c108BFloat16EfLj64ELj8ELj64ELb0ELb0ELb0EEEvllPKT_S7_PKT0_SA_PS5_SB_
    .private_segment_fixed_size: 0
    .sgpr_count:     38
    .sgpr_spill_count: 0
    .symbol:         _ZN2at6native12_GLOBAL__N_135GammaBetaBackwardCUDAKernelTemplateIN3c108BFloat16EfLj64ELj8ELj64ELb0ELb0ELb0EEEvllPKT_S7_PKT0_SA_PS5_SB_.kd
    .uniform_work_group_size: 1
    .uses_dynamic_stack: false
    .vgpr_count:     93
    .vgpr_spill_count: 0
    .wavefront_size: 32
    .workgroup_processor_mode: 1
  - .args:
      - .offset:         0
        .size:           8
        .value_kind:     by_value
      - .offset:         8
        .size:           8
        .value_kind:     by_value
      - .actual_access:  read_only
        .address_space:  global
        .offset:         16
        .size:           8
        .value_kind:     global_buffer
      - .actual_access:  read_only
        .address_space:  global
        .offset:         24
        .size:           8
        .value_kind:     global_buffer
      - .actual_access:  read_only
        .address_space:  global
        .offset:         32
        .size:           8
        .value_kind:     global_buffer
      - .actual_access:  read_only
        .address_space:  global
        .offset:         40
        .size:           8
        .value_kind:     global_buffer
      - .actual_access:  write_only
        .address_space:  global
        .offset:         48
        .size:           8
        .value_kind:     global_buffer
      - .actual_access:  write_only
        .address_space:  global
        .offset:         56
        .size:           8
        .value_kind:     global_buffer
      - .offset:         64
        .size:           4
        .value_kind:     hidden_block_count_x
      - .offset:         68
        .size:           4
        .value_kind:     hidden_block_count_y
      - .offset:         72
        .size:           4
        .value_kind:     hidden_block_count_z
      - .offset:         76
        .size:           2
        .value_kind:     hidden_group_size_x
      - .offset:         78
        .size:           2
        .value_kind:     hidden_group_size_y
      - .offset:         80
        .size:           2
        .value_kind:     hidden_group_size_z
      - .offset:         82
        .size:           2
        .value_kind:     hidden_remainder_x
      - .offset:         84
        .size:           2
        .value_kind:     hidden_remainder_y
      - .offset:         86
        .size:           2
        .value_kind:     hidden_remainder_z
      - .offset:         104
        .size:           8
        .value_kind:     hidden_global_offset_x
      - .offset:         112
        .size:           8
        .value_kind:     hidden_global_offset_y
      - .offset:         120
        .size:           8
        .value_kind:     hidden_global_offset_z
      - .offset:         128
        .size:           2
        .value_kind:     hidden_grid_dims
      - .offset:         184
        .size:           4
        .value_kind:     hidden_dynamic_lds_size
    .group_segment_fixed_size: 0
    .kernarg_segment_align: 8
    .kernarg_segment_size: 320
    .language:       OpenCL C
    .language_version:
      - 2
      - 0
    .max_flat_workgroup_size: 1024
    .name:           _ZN2at6native12_GLOBAL__N_135GammaBetaBackwardCUDAKernelTemplateIN3c108BFloat16EfLj64ELj16ELj128ELb0ELb1ELb0EEEvllPKT_S7_PKT0_SA_PS5_SB_
    .private_segment_fixed_size: 0
    .sgpr_count:     29
    .sgpr_spill_count: 0
    .symbol:         _ZN2at6native12_GLOBAL__N_135GammaBetaBackwardCUDAKernelTemplateIN3c108BFloat16EfLj64ELj16ELj128ELb0ELb1ELb0EEEvllPKT_S7_PKT0_SA_PS5_SB_.kd
    .uniform_work_group_size: 1
    .uses_dynamic_stack: false
    .vgpr_count:     50
    .vgpr_spill_count: 0
    .wavefront_size: 32
    .workgroup_processor_mode: 1
  - .args:
      - .offset:         0
        .size:           8
        .value_kind:     by_value
      - .offset:         8
        .size:           8
        .value_kind:     by_value
      - .actual_access:  read_only
        .address_space:  global
        .offset:         16
        .size:           8
        .value_kind:     global_buffer
      - .actual_access:  read_only
        .address_space:  global
        .offset:         24
        .size:           8
        .value_kind:     global_buffer
      - .actual_access:  read_only
        .address_space:  global
        .offset:         32
        .size:           8
        .value_kind:     global_buffer
      - .actual_access:  read_only
        .address_space:  global
        .offset:         40
        .size:           8
        .value_kind:     global_buffer
      - .actual_access:  write_only
        .address_space:  global
        .offset:         48
        .size:           8
        .value_kind:     global_buffer
      - .actual_access:  write_only
        .address_space:  global
        .offset:         56
        .size:           8
        .value_kind:     global_buffer
      - .offset:         64
        .size:           4
        .value_kind:     hidden_block_count_x
      - .offset:         68
        .size:           4
        .value_kind:     hidden_block_count_y
      - .offset:         72
        .size:           4
        .value_kind:     hidden_block_count_z
      - .offset:         76
        .size:           2
        .value_kind:     hidden_group_size_x
      - .offset:         78
        .size:           2
        .value_kind:     hidden_group_size_y
      - .offset:         80
        .size:           2
        .value_kind:     hidden_group_size_z
      - .offset:         82
        .size:           2
        .value_kind:     hidden_remainder_x
      - .offset:         84
        .size:           2
        .value_kind:     hidden_remainder_y
      - .offset:         86
        .size:           2
        .value_kind:     hidden_remainder_z
      - .offset:         104
        .size:           8
        .value_kind:     hidden_global_offset_x
      - .offset:         112
        .size:           8
        .value_kind:     hidden_global_offset_y
      - .offset:         120
        .size:           8
        .value_kind:     hidden_global_offset_z
      - .offset:         128
        .size:           2
        .value_kind:     hidden_grid_dims
      - .offset:         184
        .size:           4
        .value_kind:     hidden_dynamic_lds_size
    .group_segment_fixed_size: 0
    .kernarg_segment_align: 8
    .kernarg_segment_size: 320
    .language:       OpenCL C
    .language_version:
      - 2
      - 0
    .max_flat_workgroup_size: 1024
    .name:           _ZN2at6native12_GLOBAL__N_135GammaBetaBackwardCUDAKernelTemplateIN3c108BFloat16EfLj64ELj16ELj128ELb0ELb0ELb0EEEvllPKT_S7_PKT0_SA_PS5_SB_
    .private_segment_fixed_size: 0
    .sgpr_count:     38
    .sgpr_spill_count: 0
    .symbol:         _ZN2at6native12_GLOBAL__N_135GammaBetaBackwardCUDAKernelTemplateIN3c108BFloat16EfLj64ELj16ELj128ELb0ELb0ELb0EEEvllPKT_S7_PKT0_SA_PS5_SB_.kd
    .uniform_work_group_size: 1
    .uses_dynamic_stack: false
    .vgpr_count:     93
    .vgpr_spill_count: 0
    .wavefront_size: 32
    .workgroup_processor_mode: 1
  - .args:
      - .offset:         0
        .size:           8
        .value_kind:     by_value
      - .offset:         8
        .size:           8
        .value_kind:     by_value
      - .actual_access:  read_only
        .address_space:  global
        .offset:         16
        .size:           8
        .value_kind:     global_buffer
      - .actual_access:  read_only
        .address_space:  global
        .offset:         24
        .size:           8
        .value_kind:     global_buffer
      - .actual_access:  read_only
        .address_space:  global
        .offset:         32
        .size:           8
        .value_kind:     global_buffer
      - .actual_access:  read_only
        .address_space:  global
        .offset:         40
        .size:           8
        .value_kind:     global_buffer
      - .actual_access:  write_only
        .address_space:  global
        .offset:         48
        .size:           8
        .value_kind:     global_buffer
      - .actual_access:  write_only
        .address_space:  global
        .offset:         56
        .size:           8
        .value_kind:     global_buffer
      - .offset:         64
        .size:           4
        .value_kind:     hidden_block_count_x
      - .offset:         68
        .size:           4
        .value_kind:     hidden_block_count_y
      - .offset:         72
        .size:           4
        .value_kind:     hidden_block_count_z
      - .offset:         76
        .size:           2
        .value_kind:     hidden_group_size_x
      - .offset:         78
        .size:           2
        .value_kind:     hidden_group_size_y
      - .offset:         80
        .size:           2
        .value_kind:     hidden_group_size_z
      - .offset:         82
        .size:           2
        .value_kind:     hidden_remainder_x
      - .offset:         84
        .size:           2
        .value_kind:     hidden_remainder_y
      - .offset:         86
        .size:           2
        .value_kind:     hidden_remainder_z
      - .offset:         104
        .size:           8
        .value_kind:     hidden_global_offset_x
      - .offset:         112
        .size:           8
        .value_kind:     hidden_global_offset_y
      - .offset:         120
        .size:           8
        .value_kind:     hidden_global_offset_z
      - .offset:         128
        .size:           2
        .value_kind:     hidden_grid_dims
      - .offset:         184
        .size:           4
        .value_kind:     hidden_dynamic_lds_size
    .group_segment_fixed_size: 0
    .kernarg_segment_align: 8
    .kernarg_segment_size: 320
    .language:       OpenCL C
    .language_version:
      - 2
      - 0
    .max_flat_workgroup_size: 1024
    .name:           _ZN2at6native12_GLOBAL__N_135GammaBetaBackwardCUDAKernelTemplateIN3c108BFloat16EfLj64ELj16ELj256ELb0ELb1ELb0EEEvllPKT_S7_PKT0_SA_PS5_SB_
    .private_segment_fixed_size: 0
    .sgpr_count:     29
    .sgpr_spill_count: 0
    .symbol:         _ZN2at6native12_GLOBAL__N_135GammaBetaBackwardCUDAKernelTemplateIN3c108BFloat16EfLj64ELj16ELj256ELb0ELb1ELb0EEEvllPKT_S7_PKT0_SA_PS5_SB_.kd
    .uniform_work_group_size: 1
    .uses_dynamic_stack: false
    .vgpr_count:     90
    .vgpr_spill_count: 0
    .wavefront_size: 32
    .workgroup_processor_mode: 1
  - .args:
      - .offset:         0
        .size:           8
        .value_kind:     by_value
      - .offset:         8
        .size:           8
        .value_kind:     by_value
      - .actual_access:  read_only
        .address_space:  global
        .offset:         16
        .size:           8
        .value_kind:     global_buffer
      - .actual_access:  read_only
        .address_space:  global
        .offset:         24
        .size:           8
        .value_kind:     global_buffer
      - .actual_access:  read_only
        .address_space:  global
        .offset:         32
        .size:           8
        .value_kind:     global_buffer
      - .actual_access:  read_only
        .address_space:  global
        .offset:         40
        .size:           8
        .value_kind:     global_buffer
      - .actual_access:  write_only
        .address_space:  global
        .offset:         48
        .size:           8
        .value_kind:     global_buffer
      - .actual_access:  write_only
        .address_space:  global
        .offset:         56
        .size:           8
        .value_kind:     global_buffer
      - .offset:         64
        .size:           4
        .value_kind:     hidden_block_count_x
      - .offset:         68
        .size:           4
        .value_kind:     hidden_block_count_y
      - .offset:         72
        .size:           4
        .value_kind:     hidden_block_count_z
      - .offset:         76
        .size:           2
        .value_kind:     hidden_group_size_x
      - .offset:         78
        .size:           2
        .value_kind:     hidden_group_size_y
      - .offset:         80
        .size:           2
        .value_kind:     hidden_group_size_z
      - .offset:         82
        .size:           2
        .value_kind:     hidden_remainder_x
      - .offset:         84
        .size:           2
        .value_kind:     hidden_remainder_y
      - .offset:         86
        .size:           2
        .value_kind:     hidden_remainder_z
      - .offset:         104
        .size:           8
        .value_kind:     hidden_global_offset_x
      - .offset:         112
        .size:           8
        .value_kind:     hidden_global_offset_y
      - .offset:         120
        .size:           8
        .value_kind:     hidden_global_offset_z
      - .offset:         128
        .size:           2
        .value_kind:     hidden_grid_dims
      - .offset:         184
        .size:           4
        .value_kind:     hidden_dynamic_lds_size
    .group_segment_fixed_size: 0
    .kernarg_segment_align: 8
    .kernarg_segment_size: 320
    .language:       OpenCL C
    .language_version:
      - 2
      - 0
    .max_flat_workgroup_size: 1024
    .name:           _ZN2at6native12_GLOBAL__N_135GammaBetaBackwardCUDAKernelTemplateIN3c108BFloat16EfLj64ELj16ELj256ELb0ELb0ELb0EEEvllPKT_S7_PKT0_SA_PS5_SB_
    .private_segment_fixed_size: 0
    .sgpr_count:     38
    .sgpr_spill_count: 0
    .symbol:         _ZN2at6native12_GLOBAL__N_135GammaBetaBackwardCUDAKernelTemplateIN3c108BFloat16EfLj64ELj16ELj256ELb0ELb0ELb0EEEvllPKT_S7_PKT0_SA_PS5_SB_.kd
    .uniform_work_group_size: 1
    .uses_dynamic_stack: false
    .vgpr_count:     187
    .vgpr_spill_count: 0
    .wavefront_size: 32
    .workgroup_processor_mode: 1
  - .args:
      - .offset:         0
        .size:           8
        .value_kind:     by_value
      - .offset:         8
        .size:           8
        .value_kind:     by_value
      - .actual_access:  read_only
        .address_space:  global
        .offset:         16
        .size:           8
        .value_kind:     global_buffer
      - .actual_access:  read_only
        .address_space:  global
        .offset:         24
        .size:           8
        .value_kind:     global_buffer
      - .actual_access:  read_only
        .address_space:  global
        .offset:         32
        .size:           8
        .value_kind:     global_buffer
      - .actual_access:  read_only
        .address_space:  global
        .offset:         40
        .size:           8
        .value_kind:     global_buffer
      - .actual_access:  write_only
        .address_space:  global
        .offset:         48
        .size:           8
        .value_kind:     global_buffer
      - .actual_access:  write_only
        .address_space:  global
        .offset:         56
        .size:           8
        .value_kind:     global_buffer
      - .offset:         64
        .size:           4
        .value_kind:     hidden_block_count_x
      - .offset:         68
        .size:           4
        .value_kind:     hidden_block_count_y
      - .offset:         72
        .size:           4
        .value_kind:     hidden_block_count_z
      - .offset:         76
        .size:           2
        .value_kind:     hidden_group_size_x
      - .offset:         78
        .size:           2
        .value_kind:     hidden_group_size_y
      - .offset:         80
        .size:           2
        .value_kind:     hidden_group_size_z
      - .offset:         82
        .size:           2
        .value_kind:     hidden_remainder_x
      - .offset:         84
        .size:           2
        .value_kind:     hidden_remainder_y
      - .offset:         86
        .size:           2
        .value_kind:     hidden_remainder_z
      - .offset:         104
        .size:           8
        .value_kind:     hidden_global_offset_x
      - .offset:         112
        .size:           8
        .value_kind:     hidden_global_offset_y
      - .offset:         120
        .size:           8
        .value_kind:     hidden_global_offset_z
      - .offset:         128
        .size:           2
        .value_kind:     hidden_grid_dims
    .group_segment_fixed_size: 0
    .kernarg_segment_align: 8
    .kernarg_segment_size: 320
    .language:       OpenCL C
    .language_version:
      - 2
      - 0
    .max_flat_workgroup_size: 32
    .name:           _ZN2at6native12_GLOBAL__N_135GammaBetaBackwardCUDAKernelTemplateIN3c108BFloat16EfLj32ELj1ELj32ELb1ELb1ELb0EEEvllPKT_S7_PKT0_SA_PS5_SB_
    .private_segment_fixed_size: 0
    .sgpr_count:     31
    .sgpr_spill_count: 0
    .symbol:         _ZN2at6native12_GLOBAL__N_135GammaBetaBackwardCUDAKernelTemplateIN3c108BFloat16EfLj32ELj1ELj32ELb1ELb1ELb0EEEvllPKT_S7_PKT0_SA_PS5_SB_.kd
    .uniform_work_group_size: 1
    .uses_dynamic_stack: false
    .vgpr_count:     115
    .vgpr_spill_count: 0
    .wavefront_size: 32
    .workgroup_processor_mode: 1
  - .args:
      - .offset:         0
        .size:           8
        .value_kind:     by_value
      - .offset:         8
        .size:           8
        .value_kind:     by_value
      - .actual_access:  read_only
        .address_space:  global
        .offset:         16
        .size:           8
        .value_kind:     global_buffer
      - .actual_access:  read_only
        .address_space:  global
        .offset:         24
        .size:           8
        .value_kind:     global_buffer
      - .actual_access:  read_only
        .address_space:  global
        .offset:         32
        .size:           8
        .value_kind:     global_buffer
      - .actual_access:  read_only
        .address_space:  global
        .offset:         40
        .size:           8
        .value_kind:     global_buffer
      - .actual_access:  write_only
        .address_space:  global
        .offset:         48
        .size:           8
        .value_kind:     global_buffer
      - .actual_access:  write_only
        .address_space:  global
        .offset:         56
        .size:           8
        .value_kind:     global_buffer
      - .offset:         64
        .size:           4
        .value_kind:     hidden_block_count_x
      - .offset:         68
        .size:           4
        .value_kind:     hidden_block_count_y
      - .offset:         72
        .size:           4
        .value_kind:     hidden_block_count_z
      - .offset:         76
        .size:           2
        .value_kind:     hidden_group_size_x
      - .offset:         78
        .size:           2
        .value_kind:     hidden_group_size_y
      - .offset:         80
        .size:           2
        .value_kind:     hidden_group_size_z
      - .offset:         82
        .size:           2
        .value_kind:     hidden_remainder_x
      - .offset:         84
        .size:           2
        .value_kind:     hidden_remainder_y
      - .offset:         86
        .size:           2
        .value_kind:     hidden_remainder_z
      - .offset:         104
        .size:           8
        .value_kind:     hidden_global_offset_x
      - .offset:         112
        .size:           8
        .value_kind:     hidden_global_offset_y
      - .offset:         120
        .size:           8
        .value_kind:     hidden_global_offset_z
      - .offset:         128
        .size:           2
        .value_kind:     hidden_grid_dims
    .group_segment_fixed_size: 0
    .kernarg_segment_align: 8
    .kernarg_segment_size: 320
    .language:       OpenCL C
    .language_version:
      - 2
      - 0
    .max_flat_workgroup_size: 32
    .name:           _ZN2at6native12_GLOBAL__N_135GammaBetaBackwardCUDAKernelTemplateIN3c108BFloat16EfLj32ELj1ELj32ELb1ELb0ELb0EEEvllPKT_S7_PKT0_SA_PS5_SB_
    .private_segment_fixed_size: 312
    .sgpr_count:     38
    .sgpr_spill_count: 0
    .symbol:         _ZN2at6native12_GLOBAL__N_135GammaBetaBackwardCUDAKernelTemplateIN3c108BFloat16EfLj32ELj1ELj32ELb1ELb0ELb0EEEvllPKT_S7_PKT0_SA_PS5_SB_.kd
    .uniform_work_group_size: 1
    .uses_dynamic_stack: false
    .vgpr_count:     256
    .vgpr_spill_count: 151
    .wavefront_size: 32
    .workgroup_processor_mode: 1
  - .args:
      - .offset:         0
        .size:           8
        .value_kind:     by_value
      - .offset:         8
        .size:           8
        .value_kind:     by_value
      - .actual_access:  read_only
        .address_space:  global
        .offset:         16
        .size:           8
        .value_kind:     global_buffer
      - .actual_access:  read_only
        .address_space:  global
        .offset:         24
        .size:           8
        .value_kind:     global_buffer
      - .actual_access:  read_only
        .address_space:  global
        .offset:         32
        .size:           8
        .value_kind:     global_buffer
      - .actual_access:  read_only
        .address_space:  global
        .offset:         40
        .size:           8
        .value_kind:     global_buffer
      - .actual_access:  write_only
        .address_space:  global
        .offset:         48
        .size:           8
        .value_kind:     global_buffer
      - .actual_access:  write_only
        .address_space:  global
        .offset:         56
        .size:           8
        .value_kind:     global_buffer
      - .offset:         64
        .size:           4
        .value_kind:     hidden_block_count_x
      - .offset:         68
        .size:           4
        .value_kind:     hidden_block_count_y
      - .offset:         72
        .size:           4
        .value_kind:     hidden_block_count_z
      - .offset:         76
        .size:           2
        .value_kind:     hidden_group_size_x
      - .offset:         78
        .size:           2
        .value_kind:     hidden_group_size_y
      - .offset:         80
        .size:           2
        .value_kind:     hidden_group_size_z
      - .offset:         82
        .size:           2
        .value_kind:     hidden_remainder_x
      - .offset:         84
        .size:           2
        .value_kind:     hidden_remainder_y
      - .offset:         86
        .size:           2
        .value_kind:     hidden_remainder_z
      - .offset:         104
        .size:           8
        .value_kind:     hidden_global_offset_x
      - .offset:         112
        .size:           8
        .value_kind:     hidden_global_offset_y
      - .offset:         120
        .size:           8
        .value_kind:     hidden_global_offset_z
      - .offset:         128
        .size:           2
        .value_kind:     hidden_grid_dims
    .group_segment_fixed_size: 0
    .kernarg_segment_align: 8
    .kernarg_segment_size: 320
    .language:       OpenCL C
    .language_version:
      - 2
      - 0
    .max_flat_workgroup_size: 32
    .name:           _ZN2at6native12_GLOBAL__N_135GammaBetaBackwardCUDAKernelTemplateIN3c108BFloat16EfLj32ELj1ELj8ELb1ELb1ELb0EEEvllPKT_S7_PKT0_SA_PS5_SB_
    .private_segment_fixed_size: 0
    .sgpr_count:     33
    .sgpr_spill_count: 0
    .symbol:         _ZN2at6native12_GLOBAL__N_135GammaBetaBackwardCUDAKernelTemplateIN3c108BFloat16EfLj32ELj1ELj8ELb1ELb1ELb0EEEvllPKT_S7_PKT0_SA_PS5_SB_.kd
    .uniform_work_group_size: 1
    .uses_dynamic_stack: false
    .vgpr_count:     50
    .vgpr_spill_count: 0
    .wavefront_size: 32
    .workgroup_processor_mode: 1
  - .args:
      - .offset:         0
        .size:           8
        .value_kind:     by_value
      - .offset:         8
        .size:           8
        .value_kind:     by_value
      - .actual_access:  read_only
        .address_space:  global
        .offset:         16
        .size:           8
        .value_kind:     global_buffer
      - .actual_access:  read_only
        .address_space:  global
        .offset:         24
        .size:           8
        .value_kind:     global_buffer
      - .actual_access:  read_only
        .address_space:  global
        .offset:         32
        .size:           8
        .value_kind:     global_buffer
      - .actual_access:  read_only
        .address_space:  global
        .offset:         40
        .size:           8
        .value_kind:     global_buffer
      - .actual_access:  write_only
        .address_space:  global
        .offset:         48
        .size:           8
        .value_kind:     global_buffer
      - .actual_access:  write_only
        .address_space:  global
        .offset:         56
        .size:           8
        .value_kind:     global_buffer
      - .offset:         64
        .size:           4
        .value_kind:     hidden_block_count_x
      - .offset:         68
        .size:           4
        .value_kind:     hidden_block_count_y
      - .offset:         72
        .size:           4
        .value_kind:     hidden_block_count_z
      - .offset:         76
        .size:           2
        .value_kind:     hidden_group_size_x
      - .offset:         78
        .size:           2
        .value_kind:     hidden_group_size_y
      - .offset:         80
        .size:           2
        .value_kind:     hidden_group_size_z
      - .offset:         82
        .size:           2
        .value_kind:     hidden_remainder_x
      - .offset:         84
        .size:           2
        .value_kind:     hidden_remainder_y
      - .offset:         86
        .size:           2
        .value_kind:     hidden_remainder_z
      - .offset:         104
        .size:           8
        .value_kind:     hidden_global_offset_x
      - .offset:         112
        .size:           8
        .value_kind:     hidden_global_offset_y
      - .offset:         120
        .size:           8
        .value_kind:     hidden_global_offset_z
      - .offset:         128
        .size:           2
        .value_kind:     hidden_grid_dims
    .group_segment_fixed_size: 0
    .kernarg_segment_align: 8
    .kernarg_segment_size: 320
    .language:       OpenCL C
    .language_version:
      - 2
      - 0
    .max_flat_workgroup_size: 32
    .name:           _ZN2at6native12_GLOBAL__N_135GammaBetaBackwardCUDAKernelTemplateIN3c108BFloat16EfLj32ELj1ELj8ELb1ELb0ELb0EEEvllPKT_S7_PKT0_SA_PS5_SB_
    .private_segment_fixed_size: 0
    .sgpr_count:     38
    .sgpr_spill_count: 0
    .symbol:         _ZN2at6native12_GLOBAL__N_135GammaBetaBackwardCUDAKernelTemplateIN3c108BFloat16EfLj32ELj1ELj8ELb1ELb0ELb0EEEvllPKT_S7_PKT0_SA_PS5_SB_.kd
    .uniform_work_group_size: 1
    .uses_dynamic_stack: false
    .vgpr_count:     101
    .vgpr_spill_count: 0
    .wavefront_size: 32
    .workgroup_processor_mode: 1
  - .args:
      - .offset:         0
        .size:           8
        .value_kind:     by_value
      - .offset:         8
        .size:           8
        .value_kind:     by_value
      - .actual_access:  read_only
        .address_space:  global
        .offset:         16
        .size:           8
        .value_kind:     global_buffer
      - .actual_access:  read_only
        .address_space:  global
        .offset:         24
        .size:           8
        .value_kind:     global_buffer
      - .actual_access:  read_only
        .address_space:  global
        .offset:         32
        .size:           8
        .value_kind:     global_buffer
      - .actual_access:  read_only
        .address_space:  global
        .offset:         40
        .size:           8
        .value_kind:     global_buffer
      - .actual_access:  write_only
        .address_space:  global
        .offset:         48
        .size:           8
        .value_kind:     global_buffer
      - .actual_access:  write_only
        .address_space:  global
        .offset:         56
        .size:           8
        .value_kind:     global_buffer
      - .offset:         64
        .size:           4
        .value_kind:     hidden_block_count_x
      - .offset:         68
        .size:           4
        .value_kind:     hidden_block_count_y
      - .offset:         72
        .size:           4
        .value_kind:     hidden_block_count_z
      - .offset:         76
        .size:           2
        .value_kind:     hidden_group_size_x
      - .offset:         78
        .size:           2
        .value_kind:     hidden_group_size_y
      - .offset:         80
        .size:           2
        .value_kind:     hidden_group_size_z
      - .offset:         82
        .size:           2
        .value_kind:     hidden_remainder_x
      - .offset:         84
        .size:           2
        .value_kind:     hidden_remainder_y
      - .offset:         86
        .size:           2
        .value_kind:     hidden_remainder_z
      - .offset:         104
        .size:           8
        .value_kind:     hidden_global_offset_x
      - .offset:         112
        .size:           8
        .value_kind:     hidden_global_offset_y
      - .offset:         120
        .size:           8
        .value_kind:     hidden_global_offset_z
      - .offset:         128
        .size:           2
        .value_kind:     hidden_grid_dims
      - .offset:         184
        .size:           4
        .value_kind:     hidden_dynamic_lds_size
    .group_segment_fixed_size: 0
    .kernarg_segment_align: 8
    .kernarg_segment_size: 320
    .language:       OpenCL C
    .language_version:
      - 2
      - 0
    .max_flat_workgroup_size: 256
    .name:           _ZN2at6native12_GLOBAL__N_135GammaBetaBackwardCUDAKernelTemplateIN3c108BFloat16EfLj32ELj8ELj64ELb0ELb1ELb0EEEvllPKT_S7_PKT0_SA_PS5_SB_
    .private_segment_fixed_size: 0
    .sgpr_count:     29
    .sgpr_spill_count: 0
    .symbol:         _ZN2at6native12_GLOBAL__N_135GammaBetaBackwardCUDAKernelTemplateIN3c108BFloat16EfLj32ELj8ELj64ELb0ELb1ELb0EEEvllPKT_S7_PKT0_SA_PS5_SB_.kd
    .uniform_work_group_size: 1
    .uses_dynamic_stack: false
    .vgpr_count:     50
    .vgpr_spill_count: 0
    .wavefront_size: 32
    .workgroup_processor_mode: 1
  - .args:
      - .offset:         0
        .size:           8
        .value_kind:     by_value
      - .offset:         8
        .size:           8
        .value_kind:     by_value
      - .actual_access:  read_only
        .address_space:  global
        .offset:         16
        .size:           8
        .value_kind:     global_buffer
      - .actual_access:  read_only
        .address_space:  global
        .offset:         24
        .size:           8
        .value_kind:     global_buffer
      - .actual_access:  read_only
        .address_space:  global
        .offset:         32
        .size:           8
        .value_kind:     global_buffer
      - .actual_access:  read_only
        .address_space:  global
        .offset:         40
        .size:           8
        .value_kind:     global_buffer
      - .actual_access:  write_only
        .address_space:  global
        .offset:         48
        .size:           8
        .value_kind:     global_buffer
      - .actual_access:  write_only
        .address_space:  global
        .offset:         56
        .size:           8
        .value_kind:     global_buffer
      - .offset:         64
        .size:           4
        .value_kind:     hidden_block_count_x
      - .offset:         68
        .size:           4
        .value_kind:     hidden_block_count_y
      - .offset:         72
        .size:           4
        .value_kind:     hidden_block_count_z
      - .offset:         76
        .size:           2
        .value_kind:     hidden_group_size_x
      - .offset:         78
        .size:           2
        .value_kind:     hidden_group_size_y
      - .offset:         80
        .size:           2
        .value_kind:     hidden_group_size_z
      - .offset:         82
        .size:           2
        .value_kind:     hidden_remainder_x
      - .offset:         84
        .size:           2
        .value_kind:     hidden_remainder_y
      - .offset:         86
        .size:           2
        .value_kind:     hidden_remainder_z
      - .offset:         104
        .size:           8
        .value_kind:     hidden_global_offset_x
      - .offset:         112
        .size:           8
        .value_kind:     hidden_global_offset_y
      - .offset:         120
        .size:           8
        .value_kind:     hidden_global_offset_z
      - .offset:         128
        .size:           2
        .value_kind:     hidden_grid_dims
      - .offset:         184
        .size:           4
        .value_kind:     hidden_dynamic_lds_size
    .group_segment_fixed_size: 0
    .kernarg_segment_align: 8
    .kernarg_segment_size: 320
    .language:       OpenCL C
    .language_version:
      - 2
      - 0
    .max_flat_workgroup_size: 256
    .name:           _ZN2at6native12_GLOBAL__N_135GammaBetaBackwardCUDAKernelTemplateIN3c108BFloat16EfLj32ELj8ELj64ELb0ELb0ELb0EEEvllPKT_S7_PKT0_SA_PS5_SB_
    .private_segment_fixed_size: 0
    .sgpr_count:     38
    .sgpr_spill_count: 0
    .symbol:         _ZN2at6native12_GLOBAL__N_135GammaBetaBackwardCUDAKernelTemplateIN3c108BFloat16EfLj32ELj8ELj64ELb0ELb0ELb0EEEvllPKT_S7_PKT0_SA_PS5_SB_.kd
    .uniform_work_group_size: 1
    .uses_dynamic_stack: false
    .vgpr_count:     93
    .vgpr_spill_count: 0
    .wavefront_size: 32
    .workgroup_processor_mode: 1
  - .args:
      - .offset:         0
        .size:           8
        .value_kind:     by_value
      - .offset:         8
        .size:           8
        .value_kind:     by_value
      - .actual_access:  read_only
        .address_space:  global
        .offset:         16
        .size:           8
        .value_kind:     global_buffer
      - .actual_access:  read_only
        .address_space:  global
        .offset:         24
        .size:           8
        .value_kind:     global_buffer
      - .actual_access:  read_only
        .address_space:  global
        .offset:         32
        .size:           8
        .value_kind:     global_buffer
      - .actual_access:  read_only
        .address_space:  global
        .offset:         40
        .size:           8
        .value_kind:     global_buffer
      - .actual_access:  write_only
        .address_space:  global
        .offset:         48
        .size:           8
        .value_kind:     global_buffer
      - .actual_access:  write_only
        .address_space:  global
        .offset:         56
        .size:           8
        .value_kind:     global_buffer
      - .offset:         64
        .size:           4
        .value_kind:     hidden_block_count_x
      - .offset:         68
        .size:           4
        .value_kind:     hidden_block_count_y
      - .offset:         72
        .size:           4
        .value_kind:     hidden_block_count_z
      - .offset:         76
        .size:           2
        .value_kind:     hidden_group_size_x
      - .offset:         78
        .size:           2
        .value_kind:     hidden_group_size_y
      - .offset:         80
        .size:           2
        .value_kind:     hidden_group_size_z
      - .offset:         82
        .size:           2
        .value_kind:     hidden_remainder_x
      - .offset:         84
        .size:           2
        .value_kind:     hidden_remainder_y
      - .offset:         86
        .size:           2
        .value_kind:     hidden_remainder_z
      - .offset:         104
        .size:           8
        .value_kind:     hidden_global_offset_x
      - .offset:         112
        .size:           8
        .value_kind:     hidden_global_offset_y
      - .offset:         120
        .size:           8
        .value_kind:     hidden_global_offset_z
      - .offset:         128
        .size:           2
        .value_kind:     hidden_grid_dims
      - .offset:         184
        .size:           4
        .value_kind:     hidden_dynamic_lds_size
    .group_segment_fixed_size: 0
    .kernarg_segment_align: 8
    .kernarg_segment_size: 320
    .language:       OpenCL C
    .language_version:
      - 2
      - 0
    .max_flat_workgroup_size: 512
    .name:           _ZN2at6native12_GLOBAL__N_135GammaBetaBackwardCUDAKernelTemplateIN3c108BFloat16EfLj32ELj16ELj128ELb0ELb1ELb0EEEvllPKT_S7_PKT0_SA_PS5_SB_
    .private_segment_fixed_size: 0
    .sgpr_count:     29
    .sgpr_spill_count: 0
    .symbol:         _ZN2at6native12_GLOBAL__N_135GammaBetaBackwardCUDAKernelTemplateIN3c108BFloat16EfLj32ELj16ELj128ELb0ELb1ELb0EEEvllPKT_S7_PKT0_SA_PS5_SB_.kd
    .uniform_work_group_size: 1
    .uses_dynamic_stack: false
    .vgpr_count:     50
    .vgpr_spill_count: 0
    .wavefront_size: 32
    .workgroup_processor_mode: 1
  - .args:
      - .offset:         0
        .size:           8
        .value_kind:     by_value
      - .offset:         8
        .size:           8
        .value_kind:     by_value
      - .actual_access:  read_only
        .address_space:  global
        .offset:         16
        .size:           8
        .value_kind:     global_buffer
      - .actual_access:  read_only
        .address_space:  global
        .offset:         24
        .size:           8
        .value_kind:     global_buffer
      - .actual_access:  read_only
        .address_space:  global
        .offset:         32
        .size:           8
        .value_kind:     global_buffer
      - .actual_access:  read_only
        .address_space:  global
        .offset:         40
        .size:           8
        .value_kind:     global_buffer
      - .actual_access:  write_only
        .address_space:  global
        .offset:         48
        .size:           8
        .value_kind:     global_buffer
      - .actual_access:  write_only
        .address_space:  global
        .offset:         56
        .size:           8
        .value_kind:     global_buffer
      - .offset:         64
        .size:           4
        .value_kind:     hidden_block_count_x
      - .offset:         68
        .size:           4
        .value_kind:     hidden_block_count_y
      - .offset:         72
        .size:           4
        .value_kind:     hidden_block_count_z
      - .offset:         76
        .size:           2
        .value_kind:     hidden_group_size_x
      - .offset:         78
        .size:           2
        .value_kind:     hidden_group_size_y
      - .offset:         80
        .size:           2
        .value_kind:     hidden_group_size_z
      - .offset:         82
        .size:           2
        .value_kind:     hidden_remainder_x
      - .offset:         84
        .size:           2
        .value_kind:     hidden_remainder_y
      - .offset:         86
        .size:           2
        .value_kind:     hidden_remainder_z
      - .offset:         104
        .size:           8
        .value_kind:     hidden_global_offset_x
      - .offset:         112
        .size:           8
        .value_kind:     hidden_global_offset_y
      - .offset:         120
        .size:           8
        .value_kind:     hidden_global_offset_z
      - .offset:         128
        .size:           2
        .value_kind:     hidden_grid_dims
      - .offset:         184
        .size:           4
        .value_kind:     hidden_dynamic_lds_size
    .group_segment_fixed_size: 0
    .kernarg_segment_align: 8
    .kernarg_segment_size: 320
    .language:       OpenCL C
    .language_version:
      - 2
      - 0
    .max_flat_workgroup_size: 512
    .name:           _ZN2at6native12_GLOBAL__N_135GammaBetaBackwardCUDAKernelTemplateIN3c108BFloat16EfLj32ELj16ELj128ELb0ELb0ELb0EEEvllPKT_S7_PKT0_SA_PS5_SB_
    .private_segment_fixed_size: 0
    .sgpr_count:     38
    .sgpr_spill_count: 0
    .symbol:         _ZN2at6native12_GLOBAL__N_135GammaBetaBackwardCUDAKernelTemplateIN3c108BFloat16EfLj32ELj16ELj128ELb0ELb0ELb0EEEvllPKT_S7_PKT0_SA_PS5_SB_.kd
    .uniform_work_group_size: 1
    .uses_dynamic_stack: false
    .vgpr_count:     93
    .vgpr_spill_count: 0
    .wavefront_size: 32
    .workgroup_processor_mode: 1
  - .args:
      - .offset:         0
        .size:           8
        .value_kind:     by_value
      - .offset:         8
        .size:           8
        .value_kind:     by_value
      - .actual_access:  read_only
        .address_space:  global
        .offset:         16
        .size:           8
        .value_kind:     global_buffer
      - .actual_access:  read_only
        .address_space:  global
        .offset:         24
        .size:           8
        .value_kind:     global_buffer
      - .actual_access:  read_only
        .address_space:  global
        .offset:         32
        .size:           8
        .value_kind:     global_buffer
      - .actual_access:  read_only
        .address_space:  global
        .offset:         40
        .size:           8
        .value_kind:     global_buffer
      - .actual_access:  write_only
        .address_space:  global
        .offset:         48
        .size:           8
        .value_kind:     global_buffer
      - .actual_access:  write_only
        .address_space:  global
        .offset:         56
        .size:           8
        .value_kind:     global_buffer
      - .offset:         64
        .size:           4
        .value_kind:     hidden_block_count_x
      - .offset:         68
        .size:           4
        .value_kind:     hidden_block_count_y
      - .offset:         72
        .size:           4
        .value_kind:     hidden_block_count_z
      - .offset:         76
        .size:           2
        .value_kind:     hidden_group_size_x
      - .offset:         78
        .size:           2
        .value_kind:     hidden_group_size_y
      - .offset:         80
        .size:           2
        .value_kind:     hidden_group_size_z
      - .offset:         82
        .size:           2
        .value_kind:     hidden_remainder_x
      - .offset:         84
        .size:           2
        .value_kind:     hidden_remainder_y
      - .offset:         86
        .size:           2
        .value_kind:     hidden_remainder_z
      - .offset:         104
        .size:           8
        .value_kind:     hidden_global_offset_x
      - .offset:         112
        .size:           8
        .value_kind:     hidden_global_offset_y
      - .offset:         120
        .size:           8
        .value_kind:     hidden_global_offset_z
      - .offset:         128
        .size:           2
        .value_kind:     hidden_grid_dims
      - .offset:         184
        .size:           4
        .value_kind:     hidden_dynamic_lds_size
    .group_segment_fixed_size: 0
    .kernarg_segment_align: 8
    .kernarg_segment_size: 320
    .language:       OpenCL C
    .language_version:
      - 2
      - 0
    .max_flat_workgroup_size: 1024
    .name:           _ZN2at6native12_GLOBAL__N_135GammaBetaBackwardCUDAKernelTemplateIN3c108BFloat16EfLj32ELj32ELj256ELb0ELb1ELb0EEEvllPKT_S7_PKT0_SA_PS5_SB_
    .private_segment_fixed_size: 0
    .sgpr_count:     29
    .sgpr_spill_count: 0
    .symbol:         _ZN2at6native12_GLOBAL__N_135GammaBetaBackwardCUDAKernelTemplateIN3c108BFloat16EfLj32ELj32ELj256ELb0ELb1ELb0EEEvllPKT_S7_PKT0_SA_PS5_SB_.kd
    .uniform_work_group_size: 1
    .uses_dynamic_stack: false
    .vgpr_count:     50
    .vgpr_spill_count: 0
    .wavefront_size: 32
    .workgroup_processor_mode: 1
  - .args:
      - .offset:         0
        .size:           8
        .value_kind:     by_value
      - .offset:         8
        .size:           8
        .value_kind:     by_value
      - .actual_access:  read_only
        .address_space:  global
        .offset:         16
        .size:           8
        .value_kind:     global_buffer
      - .actual_access:  read_only
        .address_space:  global
        .offset:         24
        .size:           8
        .value_kind:     global_buffer
      - .actual_access:  read_only
        .address_space:  global
        .offset:         32
        .size:           8
        .value_kind:     global_buffer
      - .actual_access:  read_only
        .address_space:  global
        .offset:         40
        .size:           8
        .value_kind:     global_buffer
      - .actual_access:  write_only
        .address_space:  global
        .offset:         48
        .size:           8
        .value_kind:     global_buffer
      - .actual_access:  write_only
        .address_space:  global
        .offset:         56
        .size:           8
        .value_kind:     global_buffer
      - .offset:         64
        .size:           4
        .value_kind:     hidden_block_count_x
      - .offset:         68
        .size:           4
        .value_kind:     hidden_block_count_y
      - .offset:         72
        .size:           4
        .value_kind:     hidden_block_count_z
      - .offset:         76
        .size:           2
        .value_kind:     hidden_group_size_x
      - .offset:         78
        .size:           2
        .value_kind:     hidden_group_size_y
      - .offset:         80
        .size:           2
        .value_kind:     hidden_group_size_z
      - .offset:         82
        .size:           2
        .value_kind:     hidden_remainder_x
      - .offset:         84
        .size:           2
        .value_kind:     hidden_remainder_y
      - .offset:         86
        .size:           2
        .value_kind:     hidden_remainder_z
      - .offset:         104
        .size:           8
        .value_kind:     hidden_global_offset_x
      - .offset:         112
        .size:           8
        .value_kind:     hidden_global_offset_y
      - .offset:         120
        .size:           8
        .value_kind:     hidden_global_offset_z
      - .offset:         128
        .size:           2
        .value_kind:     hidden_grid_dims
      - .offset:         184
        .size:           4
        .value_kind:     hidden_dynamic_lds_size
    .group_segment_fixed_size: 0
    .kernarg_segment_align: 8
    .kernarg_segment_size: 320
    .language:       OpenCL C
    .language_version:
      - 2
      - 0
    .max_flat_workgroup_size: 1024
    .name:           _ZN2at6native12_GLOBAL__N_135GammaBetaBackwardCUDAKernelTemplateIN3c108BFloat16EfLj32ELj32ELj256ELb0ELb0ELb0EEEvllPKT_S7_PKT0_SA_PS5_SB_
    .private_segment_fixed_size: 0
    .sgpr_count:     38
    .sgpr_spill_count: 0
    .symbol:         _ZN2at6native12_GLOBAL__N_135GammaBetaBackwardCUDAKernelTemplateIN3c108BFloat16EfLj32ELj32ELj256ELb0ELb0ELb0EEEvllPKT_S7_PKT0_SA_PS5_SB_.kd
    .uniform_work_group_size: 1
    .uses_dynamic_stack: false
    .vgpr_count:     93
    .vgpr_spill_count: 0
    .wavefront_size: 32
    .workgroup_processor_mode: 1
  - .args:
      - .actual_access:  read_only
        .address_space:  global
        .offset:         0
        .size:           8
        .value_kind:     global_buffer
      - .actual_access:  read_only
        .address_space:  global
        .offset:         8
        .size:           8
        .value_kind:     global_buffer
      - .offset:         16
        .size:           8
        .value_kind:     by_value
      - .offset:         24
        .size:           8
        .value_kind:     by_value
      - .actual_access:  read_only
        .address_space:  global
        .offset:         32
        .size:           8
        .value_kind:     global_buffer
      - .actual_access:  read_only
        .address_space:  global
        .offset:         40
        .size:           8
        .value_kind:     global_buffer
      - .address_space:  global
        .offset:         48
        .size:           8
        .value_kind:     global_buffer
      - .address_space:  global
        .offset:         56
        .size:           8
        .value_kind:     global_buffer
      - .offset:         64
        .size:           4
        .value_kind:     hidden_block_count_x
      - .offset:         68
        .size:           4
        .value_kind:     hidden_block_count_y
      - .offset:         72
        .size:           4
        .value_kind:     hidden_block_count_z
      - .offset:         76
        .size:           2
        .value_kind:     hidden_group_size_x
      - .offset:         78
        .size:           2
        .value_kind:     hidden_group_size_y
      - .offset:         80
        .size:           2
        .value_kind:     hidden_group_size_z
      - .offset:         82
        .size:           2
        .value_kind:     hidden_remainder_x
      - .offset:         84
        .size:           2
        .value_kind:     hidden_remainder_y
      - .offset:         86
        .size:           2
        .value_kind:     hidden_remainder_z
      - .offset:         104
        .size:           8
        .value_kind:     hidden_global_offset_x
      - .offset:         112
        .size:           8
        .value_kind:     hidden_global_offset_y
      - .offset:         120
        .size:           8
        .value_kind:     hidden_global_offset_z
      - .offset:         128
        .size:           2
        .value_kind:     hidden_grid_dims
      - .offset:         184
        .size:           4
        .value_kind:     hidden_dynamic_lds_size
    .group_segment_fixed_size: 0
    .kernarg_segment_align: 8
    .kernarg_segment_size: 320
    .language:       OpenCL C
    .language_version:
      - 2
      - 0
    .max_flat_workgroup_size: 1024
    .name:           _ZN2at6native12_GLOBAL__N_118cuComputeGradInputIddLb1EEEvPKT_S5_llPKT0_S8_S5_PS3_
    .private_segment_fixed_size: 0
    .sgpr_count:     42
    .sgpr_spill_count: 0
    .symbol:         _ZN2at6native12_GLOBAL__N_118cuComputeGradInputIddLb1EEEvPKT_S5_llPKT0_S8_S5_PS3_.kd
    .uniform_work_group_size: 1
    .uses_dynamic_stack: false
    .vgpr_count:     28
    .vgpr_spill_count: 0
    .wavefront_size: 32
    .workgroup_processor_mode: 1
  - .args:
      - .actual_access:  read_only
        .address_space:  global
        .offset:         0
        .size:           8
        .value_kind:     global_buffer
      - .actual_access:  read_only
        .address_space:  global
        .offset:         8
        .size:           8
        .value_kind:     global_buffer
      - .actual_access:  read_only
        .address_space:  global
        .offset:         16
        .size:           8
        .value_kind:     global_buffer
      - .actual_access:  read_only
        .address_space:  global
        .offset:         24
        .size:           8
        .value_kind:     global_buffer
      - .actual_access:  read_only
        .address_space:  global
        .offset:         32
        .size:           8
        .value_kind:     global_buffer
      - .address_space:  global
        .offset:         40
        .size:           8
        .value_kind:     global_buffer
      - .offset:         48
        .size:           4
        .value_kind:     by_value
      - .offset:         56
        .size:           4
        .value_kind:     hidden_block_count_x
      - .offset:         60
        .size:           4
        .value_kind:     hidden_block_count_y
      - .offset:         64
        .size:           4
        .value_kind:     hidden_block_count_z
      - .offset:         68
        .size:           2
        .value_kind:     hidden_group_size_x
      - .offset:         70
        .size:           2
        .value_kind:     hidden_group_size_y
      - .offset:         72
        .size:           2
        .value_kind:     hidden_group_size_z
      - .offset:         74
        .size:           2
        .value_kind:     hidden_remainder_x
      - .offset:         76
        .size:           2
        .value_kind:     hidden_remainder_y
      - .offset:         78
        .size:           2
        .value_kind:     hidden_remainder_z
      - .offset:         96
        .size:           8
        .value_kind:     hidden_global_offset_x
      - .offset:         104
        .size:           8
        .value_kind:     hidden_global_offset_y
      - .offset:         112
        .size:           8
        .value_kind:     hidden_global_offset_z
      - .offset:         120
        .size:           2
        .value_kind:     hidden_grid_dims
      - .offset:         176
        .size:           4
        .value_kind:     hidden_dynamic_lds_size
    .group_segment_fixed_size: 0
    .kernarg_segment_align: 8
    .kernarg_segment_size: 312
    .language:       OpenCL C
    .language_version:
      - 2
      - 0
    .max_flat_workgroup_size: 1024
    .name:           _ZN2at6native12_GLOBAL__N_128layer_norm_grad_input_kernelIddLb1EEEvPKT_S5_PKT0_S8_S5_PS3_i
    .private_segment_fixed_size: 0
    .sgpr_count:     23
    .sgpr_spill_count: 0
    .symbol:         _ZN2at6native12_GLOBAL__N_128layer_norm_grad_input_kernelIddLb1EEEvPKT_S5_PKT0_S8_S5_PS3_i.kd
    .uniform_work_group_size: 1
    .uses_dynamic_stack: false
    .vgpr_count:     31
    .vgpr_spill_count: 0
    .wavefront_size: 32
    .workgroup_processor_mode: 1
  - .args:
      - .offset:         0
        .size:           8
        .value_kind:     by_value
      - .offset:         8
        .size:           8
        .value_kind:     by_value
      - .address_space:  global
        .offset:         16
        .size:           8
        .value_kind:     global_buffer
      - .address_space:  global
        .offset:         24
        .size:           8
        .value_kind:     global_buffer
      - .address_space:  global
        .offset:         32
        .size:           8
        .value_kind:     global_buffer
      - .address_space:  global
        .offset:         40
        .size:           8
        .value_kind:     global_buffer
      - .address_space:  global
        .offset:         48
        .size:           8
        .value_kind:     global_buffer
      - .address_space:  global
        .offset:         56
        .size:           8
        .value_kind:     global_buffer
      - .offset:         64
        .size:           4
        .value_kind:     hidden_block_count_x
      - .offset:         68
        .size:           4
        .value_kind:     hidden_block_count_y
      - .offset:         72
        .size:           4
        .value_kind:     hidden_block_count_z
      - .offset:         76
        .size:           2
        .value_kind:     hidden_group_size_x
      - .offset:         78
        .size:           2
        .value_kind:     hidden_group_size_y
      - .offset:         80
        .size:           2
        .value_kind:     hidden_group_size_z
      - .offset:         82
        .size:           2
        .value_kind:     hidden_remainder_x
      - .offset:         84
        .size:           2
        .value_kind:     hidden_remainder_y
      - .offset:         86
        .size:           2
        .value_kind:     hidden_remainder_z
      - .offset:         104
        .size:           8
        .value_kind:     hidden_global_offset_x
      - .offset:         112
        .size:           8
        .value_kind:     hidden_global_offset_y
      - .offset:         120
        .size:           8
        .value_kind:     hidden_global_offset_z
      - .offset:         128
        .size:           2
        .value_kind:     hidden_grid_dims
    .group_segment_fixed_size: 0
    .kernarg_segment_align: 8
    .kernarg_segment_size: 320
    .language:       OpenCL C
    .language_version:
      - 2
      - 0
    .max_flat_workgroup_size: 1024
    .name:           _ZN2at6native12_GLOBAL__N_133GammaBetaBackwardSimpleCUDAKernelIddLb1EEEvllPKT_S5_PKT0_S8_PS3_S9_
    .private_segment_fixed_size: 0
    .sgpr_count:     18
    .sgpr_spill_count: 0
    .symbol:         _ZN2at6native12_GLOBAL__N_133GammaBetaBackwardSimpleCUDAKernelIddLb1EEEvllPKT_S5_PKT0_S8_PS3_S9_.kd
    .uniform_work_group_size: 1
    .uses_dynamic_stack: false
    .vgpr_count:     10
    .vgpr_spill_count: 0
    .wavefront_size: 32
    .workgroup_processor_mode: 1
  - .args:
      - .offset:         0
        .size:           8
        .value_kind:     by_value
      - .offset:         8
        .size:           8
        .value_kind:     by_value
      - .actual_access:  read_only
        .address_space:  global
        .offset:         16
        .size:           8
        .value_kind:     global_buffer
      - .actual_access:  read_only
        .address_space:  global
        .offset:         24
        .size:           8
        .value_kind:     global_buffer
      - .actual_access:  read_only
        .address_space:  global
        .offset:         32
        .size:           8
        .value_kind:     global_buffer
      - .actual_access:  read_only
        .address_space:  global
        .offset:         40
        .size:           8
        .value_kind:     global_buffer
      - .actual_access:  write_only
        .address_space:  global
        .offset:         48
        .size:           8
        .value_kind:     global_buffer
      - .actual_access:  read_only
        .address_space:  global
        .offset:         56
        .size:           8
        .value_kind:     global_buffer
      - .offset:         64
        .size:           4
        .value_kind:     hidden_block_count_x
      - .offset:         68
        .size:           4
        .value_kind:     hidden_block_count_y
      - .offset:         72
        .size:           4
        .value_kind:     hidden_block_count_z
      - .offset:         76
        .size:           2
        .value_kind:     hidden_group_size_x
      - .offset:         78
        .size:           2
        .value_kind:     hidden_group_size_y
      - .offset:         80
        .size:           2
        .value_kind:     hidden_group_size_z
      - .offset:         82
        .size:           2
        .value_kind:     hidden_remainder_x
      - .offset:         84
        .size:           2
        .value_kind:     hidden_remainder_y
      - .offset:         86
        .size:           2
        .value_kind:     hidden_remainder_z
      - .offset:         104
        .size:           8
        .value_kind:     hidden_global_offset_x
      - .offset:         112
        .size:           8
        .value_kind:     hidden_global_offset_y
      - .offset:         120
        .size:           8
        .value_kind:     hidden_global_offset_z
      - .offset:         128
        .size:           2
        .value_kind:     hidden_grid_dims
    .group_segment_fixed_size: 0
    .kernarg_segment_align: 8
    .kernarg_segment_size: 320
    .language:       OpenCL C
    .language_version:
      - 2
      - 0
    .max_flat_workgroup_size: 64
    .name:           _ZN2at6native12_GLOBAL__N_135GammaBetaBackwardCUDAKernelTemplateIddLj64ELj1ELj32ELb1ELb1ELb1EEEvllPKT_S5_PKT0_S8_PS3_S9_
    .private_segment_fixed_size: 0
    .sgpr_count:     25
    .sgpr_spill_count: 0
    .symbol:         _ZN2at6native12_GLOBAL__N_135GammaBetaBackwardCUDAKernelTemplateIddLj64ELj1ELj32ELb1ELb1ELb1EEEvllPKT_S5_PKT0_S8_PS3_S9_.kd
    .uniform_work_group_size: 1
    .uses_dynamic_stack: false
    .vgpr_count:     88
    .vgpr_spill_count: 0
    .wavefront_size: 32
    .workgroup_processor_mode: 1
  - .args:
      - .offset:         0
        .size:           8
        .value_kind:     by_value
      - .offset:         8
        .size:           8
        .value_kind:     by_value
      - .actual_access:  read_only
        .address_space:  global
        .offset:         16
        .size:           8
        .value_kind:     global_buffer
      - .actual_access:  read_only
        .address_space:  global
        .offset:         24
        .size:           8
        .value_kind:     global_buffer
      - .actual_access:  read_only
        .address_space:  global
        .offset:         32
        .size:           8
        .value_kind:     global_buffer
      - .actual_access:  read_only
        .address_space:  global
        .offset:         40
        .size:           8
        .value_kind:     global_buffer
      - .actual_access:  write_only
        .address_space:  global
        .offset:         48
        .size:           8
        .value_kind:     global_buffer
      - .actual_access:  read_only
        .address_space:  global
        .offset:         56
        .size:           8
        .value_kind:     global_buffer
      - .offset:         64
        .size:           4
        .value_kind:     hidden_block_count_x
      - .offset:         68
        .size:           4
        .value_kind:     hidden_block_count_y
      - .offset:         72
        .size:           4
        .value_kind:     hidden_block_count_z
      - .offset:         76
        .size:           2
        .value_kind:     hidden_group_size_x
      - .offset:         78
        .size:           2
        .value_kind:     hidden_group_size_y
      - .offset:         80
        .size:           2
        .value_kind:     hidden_group_size_z
      - .offset:         82
        .size:           2
        .value_kind:     hidden_remainder_x
      - .offset:         84
        .size:           2
        .value_kind:     hidden_remainder_y
      - .offset:         86
        .size:           2
        .value_kind:     hidden_remainder_z
      - .offset:         104
        .size:           8
        .value_kind:     hidden_global_offset_x
      - .offset:         112
        .size:           8
        .value_kind:     hidden_global_offset_y
      - .offset:         120
        .size:           8
        .value_kind:     hidden_global_offset_z
      - .offset:         128
        .size:           2
        .value_kind:     hidden_grid_dims
    .group_segment_fixed_size: 0
    .kernarg_segment_align: 8
    .kernarg_segment_size: 320
    .language:       OpenCL C
    .language_version:
      - 2
      - 0
    .max_flat_workgroup_size: 64
    .name:           _ZN2at6native12_GLOBAL__N_135GammaBetaBackwardCUDAKernelTemplateIddLj64ELj1ELj32ELb1ELb0ELb1EEEvllPKT_S5_PKT0_S8_PS3_S9_
    .private_segment_fixed_size: 592
    .sgpr_count:     34
    .sgpr_spill_count: 0
    .symbol:         _ZN2at6native12_GLOBAL__N_135GammaBetaBackwardCUDAKernelTemplateIddLj64ELj1ELj32ELb1ELb0ELb1EEEvllPKT_S5_PKT0_S8_PS3_S9_.kd
    .uniform_work_group_size: 1
    .uses_dynamic_stack: false
    .vgpr_count:     256
    .vgpr_spill_count: 328
    .wavefront_size: 32
    .workgroup_processor_mode: 1
  - .args:
      - .offset:         0
        .size:           8
        .value_kind:     by_value
      - .offset:         8
        .size:           8
        .value_kind:     by_value
      - .actual_access:  read_only
        .address_space:  global
        .offset:         16
        .size:           8
        .value_kind:     global_buffer
      - .actual_access:  read_only
        .address_space:  global
        .offset:         24
        .size:           8
        .value_kind:     global_buffer
      - .actual_access:  read_only
        .address_space:  global
        .offset:         32
        .size:           8
        .value_kind:     global_buffer
      - .actual_access:  read_only
        .address_space:  global
        .offset:         40
        .size:           8
        .value_kind:     global_buffer
      - .actual_access:  write_only
        .address_space:  global
        .offset:         48
        .size:           8
        .value_kind:     global_buffer
      - .actual_access:  read_only
        .address_space:  global
        .offset:         56
        .size:           8
        .value_kind:     global_buffer
      - .offset:         64
        .size:           4
        .value_kind:     hidden_block_count_x
      - .offset:         68
        .size:           4
        .value_kind:     hidden_block_count_y
      - .offset:         72
        .size:           4
        .value_kind:     hidden_block_count_z
      - .offset:         76
        .size:           2
        .value_kind:     hidden_group_size_x
      - .offset:         78
        .size:           2
        .value_kind:     hidden_group_size_y
      - .offset:         80
        .size:           2
        .value_kind:     hidden_group_size_z
      - .offset:         82
        .size:           2
        .value_kind:     hidden_remainder_x
      - .offset:         84
        .size:           2
        .value_kind:     hidden_remainder_y
      - .offset:         86
        .size:           2
        .value_kind:     hidden_remainder_z
      - .offset:         104
        .size:           8
        .value_kind:     hidden_global_offset_x
      - .offset:         112
        .size:           8
        .value_kind:     hidden_global_offset_y
      - .offset:         120
        .size:           8
        .value_kind:     hidden_global_offset_z
      - .offset:         128
        .size:           2
        .value_kind:     hidden_grid_dims
    .group_segment_fixed_size: 0
    .kernarg_segment_align: 8
    .kernarg_segment_size: 320
    .language:       OpenCL C
    .language_version:
      - 2
      - 0
    .max_flat_workgroup_size: 64
    .name:           _ZN2at6native12_GLOBAL__N_135GammaBetaBackwardCUDAKernelTemplateIddLj64ELj1ELj8ELb1ELb1ELb1EEEvllPKT_S5_PKT0_S8_PS3_S9_
    .private_segment_fixed_size: 0
    .sgpr_count:     27
    .sgpr_spill_count: 0
    .symbol:         _ZN2at6native12_GLOBAL__N_135GammaBetaBackwardCUDAKernelTemplateIddLj64ELj1ELj8ELb1ELb1ELb1EEEvllPKT_S5_PKT0_S8_PS3_S9_.kd
    .uniform_work_group_size: 1
    .uses_dynamic_stack: false
    .vgpr_count:     52
    .vgpr_spill_count: 0
    .wavefront_size: 32
    .workgroup_processor_mode: 1
  - .args:
      - .offset:         0
        .size:           8
        .value_kind:     by_value
      - .offset:         8
        .size:           8
        .value_kind:     by_value
      - .actual_access:  read_only
        .address_space:  global
        .offset:         16
        .size:           8
        .value_kind:     global_buffer
      - .actual_access:  read_only
        .address_space:  global
        .offset:         24
        .size:           8
        .value_kind:     global_buffer
      - .actual_access:  read_only
        .address_space:  global
        .offset:         32
        .size:           8
        .value_kind:     global_buffer
      - .actual_access:  read_only
        .address_space:  global
        .offset:         40
        .size:           8
        .value_kind:     global_buffer
      - .actual_access:  write_only
        .address_space:  global
        .offset:         48
        .size:           8
        .value_kind:     global_buffer
      - .actual_access:  read_only
        .address_space:  global
        .offset:         56
        .size:           8
        .value_kind:     global_buffer
      - .offset:         64
        .size:           4
        .value_kind:     hidden_block_count_x
      - .offset:         68
        .size:           4
        .value_kind:     hidden_block_count_y
      - .offset:         72
        .size:           4
        .value_kind:     hidden_block_count_z
      - .offset:         76
        .size:           2
        .value_kind:     hidden_group_size_x
      - .offset:         78
        .size:           2
        .value_kind:     hidden_group_size_y
      - .offset:         80
        .size:           2
        .value_kind:     hidden_group_size_z
      - .offset:         82
        .size:           2
        .value_kind:     hidden_remainder_x
      - .offset:         84
        .size:           2
        .value_kind:     hidden_remainder_y
      - .offset:         86
        .size:           2
        .value_kind:     hidden_remainder_z
      - .offset:         104
        .size:           8
        .value_kind:     hidden_global_offset_x
      - .offset:         112
        .size:           8
        .value_kind:     hidden_global_offset_y
      - .offset:         120
        .size:           8
        .value_kind:     hidden_global_offset_z
      - .offset:         128
        .size:           2
        .value_kind:     hidden_grid_dims
    .group_segment_fixed_size: 0
    .kernarg_segment_align: 8
    .kernarg_segment_size: 320
    .language:       OpenCL C
    .language_version:
      - 2
      - 0
    .max_flat_workgroup_size: 64
    .name:           _ZN2at6native12_GLOBAL__N_135GammaBetaBackwardCUDAKernelTemplateIddLj64ELj1ELj8ELb1ELb0ELb1EEEvllPKT_S5_PKT0_S8_PS3_S9_
    .private_segment_fixed_size: 0
    .sgpr_count:     34
    .sgpr_spill_count: 0
    .symbol:         _ZN2at6native12_GLOBAL__N_135GammaBetaBackwardCUDAKernelTemplateIddLj64ELj1ELj8ELb1ELb0ELb1EEEvllPKT_S5_PKT0_S8_PS3_S9_.kd
    .uniform_work_group_size: 1
    .uses_dynamic_stack: false
    .vgpr_count:     108
    .vgpr_spill_count: 0
    .wavefront_size: 32
    .workgroup_processor_mode: 1
  - .args:
      - .offset:         0
        .size:           8
        .value_kind:     by_value
      - .offset:         8
        .size:           8
        .value_kind:     by_value
      - .actual_access:  read_only
        .address_space:  global
        .offset:         16
        .size:           8
        .value_kind:     global_buffer
      - .actual_access:  read_only
        .address_space:  global
        .offset:         24
        .size:           8
        .value_kind:     global_buffer
      - .actual_access:  read_only
        .address_space:  global
        .offset:         32
        .size:           8
        .value_kind:     global_buffer
      - .actual_access:  read_only
        .address_space:  global
        .offset:         40
        .size:           8
        .value_kind:     global_buffer
      - .actual_access:  write_only
        .address_space:  global
        .offset:         48
        .size:           8
        .value_kind:     global_buffer
      - .actual_access:  read_only
        .address_space:  global
        .offset:         56
        .size:           8
        .value_kind:     global_buffer
      - .offset:         64
        .size:           4
        .value_kind:     hidden_block_count_x
      - .offset:         68
        .size:           4
        .value_kind:     hidden_block_count_y
      - .offset:         72
        .size:           4
        .value_kind:     hidden_block_count_z
      - .offset:         76
        .size:           2
        .value_kind:     hidden_group_size_x
      - .offset:         78
        .size:           2
        .value_kind:     hidden_group_size_y
      - .offset:         80
        .size:           2
        .value_kind:     hidden_group_size_z
      - .offset:         82
        .size:           2
        .value_kind:     hidden_remainder_x
      - .offset:         84
        .size:           2
        .value_kind:     hidden_remainder_y
      - .offset:         86
        .size:           2
        .value_kind:     hidden_remainder_z
      - .offset:         104
        .size:           8
        .value_kind:     hidden_global_offset_x
      - .offset:         112
        .size:           8
        .value_kind:     hidden_global_offset_y
      - .offset:         120
        .size:           8
        .value_kind:     hidden_global_offset_z
      - .offset:         128
        .size:           2
        .value_kind:     hidden_grid_dims
      - .offset:         184
        .size:           4
        .value_kind:     hidden_dynamic_lds_size
    .group_segment_fixed_size: 0
    .kernarg_segment_align: 8
    .kernarg_segment_size: 320
    .language:       OpenCL C
    .language_version:
      - 2
      - 0
    .max_flat_workgroup_size: 512
    .name:           _ZN2at6native12_GLOBAL__N_135GammaBetaBackwardCUDAKernelTemplateIddLj64ELj8ELj64ELb0ELb1ELb1EEEvllPKT_S5_PKT0_S8_PS3_S9_
    .private_segment_fixed_size: 0
    .sgpr_count:     23
    .sgpr_spill_count: 0
    .symbol:         _ZN2at6native12_GLOBAL__N_135GammaBetaBackwardCUDAKernelTemplateIddLj64ELj8ELj64ELb0ELb1ELb1EEEvllPKT_S5_PKT0_S8_PS3_S9_.kd
    .uniform_work_group_size: 1
    .uses_dynamic_stack: false
    .vgpr_count:     52
    .vgpr_spill_count: 0
    .wavefront_size: 32
    .workgroup_processor_mode: 1
  - .args:
      - .offset:         0
        .size:           8
        .value_kind:     by_value
      - .offset:         8
        .size:           8
        .value_kind:     by_value
      - .actual_access:  read_only
        .address_space:  global
        .offset:         16
        .size:           8
        .value_kind:     global_buffer
      - .actual_access:  read_only
        .address_space:  global
        .offset:         24
        .size:           8
        .value_kind:     global_buffer
      - .actual_access:  read_only
        .address_space:  global
        .offset:         32
        .size:           8
        .value_kind:     global_buffer
      - .actual_access:  read_only
        .address_space:  global
        .offset:         40
        .size:           8
        .value_kind:     global_buffer
      - .actual_access:  write_only
        .address_space:  global
        .offset:         48
        .size:           8
        .value_kind:     global_buffer
      - .actual_access:  read_only
        .address_space:  global
        .offset:         56
        .size:           8
        .value_kind:     global_buffer
      - .offset:         64
        .size:           4
        .value_kind:     hidden_block_count_x
      - .offset:         68
        .size:           4
        .value_kind:     hidden_block_count_y
      - .offset:         72
        .size:           4
        .value_kind:     hidden_block_count_z
      - .offset:         76
        .size:           2
        .value_kind:     hidden_group_size_x
      - .offset:         78
        .size:           2
        .value_kind:     hidden_group_size_y
      - .offset:         80
        .size:           2
        .value_kind:     hidden_group_size_z
      - .offset:         82
        .size:           2
        .value_kind:     hidden_remainder_x
      - .offset:         84
        .size:           2
        .value_kind:     hidden_remainder_y
      - .offset:         86
        .size:           2
        .value_kind:     hidden_remainder_z
      - .offset:         104
        .size:           8
        .value_kind:     hidden_global_offset_x
      - .offset:         112
        .size:           8
        .value_kind:     hidden_global_offset_y
      - .offset:         120
        .size:           8
        .value_kind:     hidden_global_offset_z
      - .offset:         128
        .size:           2
        .value_kind:     hidden_grid_dims
      - .offset:         184
        .size:           4
        .value_kind:     hidden_dynamic_lds_size
    .group_segment_fixed_size: 0
    .kernarg_segment_align: 8
    .kernarg_segment_size: 320
    .language:       OpenCL C
    .language_version:
      - 2
      - 0
    .max_flat_workgroup_size: 512
    .name:           _ZN2at6native12_GLOBAL__N_135GammaBetaBackwardCUDAKernelTemplateIddLj64ELj8ELj64ELb0ELb0ELb1EEEvllPKT_S5_PKT0_S8_PS3_S9_
    .private_segment_fixed_size: 0
    .sgpr_count:     34
    .sgpr_spill_count: 0
    .symbol:         _ZN2at6native12_GLOBAL__N_135GammaBetaBackwardCUDAKernelTemplateIddLj64ELj8ELj64ELb0ELb0ELb1EEEvllPKT_S5_PKT0_S8_PS3_S9_.kd
    .uniform_work_group_size: 1
    .uses_dynamic_stack: false
    .vgpr_count:     107
    .vgpr_spill_count: 0
    .wavefront_size: 32
    .workgroup_processor_mode: 1
  - .args:
      - .offset:         0
        .size:           8
        .value_kind:     by_value
      - .offset:         8
        .size:           8
        .value_kind:     by_value
      - .actual_access:  read_only
        .address_space:  global
        .offset:         16
        .size:           8
        .value_kind:     global_buffer
      - .actual_access:  read_only
        .address_space:  global
        .offset:         24
        .size:           8
        .value_kind:     global_buffer
      - .actual_access:  read_only
        .address_space:  global
        .offset:         32
        .size:           8
        .value_kind:     global_buffer
      - .actual_access:  read_only
        .address_space:  global
        .offset:         40
        .size:           8
        .value_kind:     global_buffer
      - .actual_access:  write_only
        .address_space:  global
        .offset:         48
        .size:           8
        .value_kind:     global_buffer
      - .actual_access:  read_only
        .address_space:  global
        .offset:         56
        .size:           8
        .value_kind:     global_buffer
      - .offset:         64
        .size:           4
        .value_kind:     hidden_block_count_x
      - .offset:         68
        .size:           4
        .value_kind:     hidden_block_count_y
      - .offset:         72
        .size:           4
        .value_kind:     hidden_block_count_z
      - .offset:         76
        .size:           2
        .value_kind:     hidden_group_size_x
      - .offset:         78
        .size:           2
        .value_kind:     hidden_group_size_y
      - .offset:         80
        .size:           2
        .value_kind:     hidden_group_size_z
      - .offset:         82
        .size:           2
        .value_kind:     hidden_remainder_x
      - .offset:         84
        .size:           2
        .value_kind:     hidden_remainder_y
      - .offset:         86
        .size:           2
        .value_kind:     hidden_remainder_z
      - .offset:         104
        .size:           8
        .value_kind:     hidden_global_offset_x
      - .offset:         112
        .size:           8
        .value_kind:     hidden_global_offset_y
      - .offset:         120
        .size:           8
        .value_kind:     hidden_global_offset_z
      - .offset:         128
        .size:           2
        .value_kind:     hidden_grid_dims
      - .offset:         184
        .size:           4
        .value_kind:     hidden_dynamic_lds_size
    .group_segment_fixed_size: 0
    .kernarg_segment_align: 8
    .kernarg_segment_size: 320
    .language:       OpenCL C
    .language_version:
      - 2
      - 0
    .max_flat_workgroup_size: 1024
    .name:           _ZN2at6native12_GLOBAL__N_135GammaBetaBackwardCUDAKernelTemplateIddLj64ELj16ELj128ELb0ELb1ELb1EEEvllPKT_S5_PKT0_S8_PS3_S9_
    .private_segment_fixed_size: 0
    .sgpr_count:     23
    .sgpr_spill_count: 0
    .symbol:         _ZN2at6native12_GLOBAL__N_135GammaBetaBackwardCUDAKernelTemplateIddLj64ELj16ELj128ELb0ELb1ELb1EEEvllPKT_S5_PKT0_S8_PS3_S9_.kd
    .uniform_work_group_size: 1
    .uses_dynamic_stack: false
    .vgpr_count:     52
    .vgpr_spill_count: 0
    .wavefront_size: 32
    .workgroup_processor_mode: 1
  - .args:
      - .offset:         0
        .size:           8
        .value_kind:     by_value
      - .offset:         8
        .size:           8
        .value_kind:     by_value
      - .actual_access:  read_only
        .address_space:  global
        .offset:         16
        .size:           8
        .value_kind:     global_buffer
      - .actual_access:  read_only
        .address_space:  global
        .offset:         24
        .size:           8
        .value_kind:     global_buffer
      - .actual_access:  read_only
        .address_space:  global
        .offset:         32
        .size:           8
        .value_kind:     global_buffer
      - .actual_access:  read_only
        .address_space:  global
        .offset:         40
        .size:           8
        .value_kind:     global_buffer
      - .actual_access:  write_only
        .address_space:  global
        .offset:         48
        .size:           8
        .value_kind:     global_buffer
      - .actual_access:  read_only
        .address_space:  global
        .offset:         56
        .size:           8
        .value_kind:     global_buffer
      - .offset:         64
        .size:           4
        .value_kind:     hidden_block_count_x
      - .offset:         68
        .size:           4
        .value_kind:     hidden_block_count_y
      - .offset:         72
        .size:           4
        .value_kind:     hidden_block_count_z
      - .offset:         76
        .size:           2
        .value_kind:     hidden_group_size_x
      - .offset:         78
        .size:           2
        .value_kind:     hidden_group_size_y
      - .offset:         80
        .size:           2
        .value_kind:     hidden_group_size_z
      - .offset:         82
        .size:           2
        .value_kind:     hidden_remainder_x
      - .offset:         84
        .size:           2
        .value_kind:     hidden_remainder_y
      - .offset:         86
        .size:           2
        .value_kind:     hidden_remainder_z
      - .offset:         104
        .size:           8
        .value_kind:     hidden_global_offset_x
      - .offset:         112
        .size:           8
        .value_kind:     hidden_global_offset_y
      - .offset:         120
        .size:           8
        .value_kind:     hidden_global_offset_z
      - .offset:         128
        .size:           2
        .value_kind:     hidden_grid_dims
      - .offset:         184
        .size:           4
        .value_kind:     hidden_dynamic_lds_size
    .group_segment_fixed_size: 0
    .kernarg_segment_align: 8
    .kernarg_segment_size: 320
    .language:       OpenCL C
    .language_version:
      - 2
      - 0
    .max_flat_workgroup_size: 1024
    .name:           _ZN2at6native12_GLOBAL__N_135GammaBetaBackwardCUDAKernelTemplateIddLj64ELj16ELj128ELb0ELb0ELb1EEEvllPKT_S5_PKT0_S8_PS3_S9_
    .private_segment_fixed_size: 0
    .sgpr_count:     34
    .sgpr_spill_count: 0
    .symbol:         _ZN2at6native12_GLOBAL__N_135GammaBetaBackwardCUDAKernelTemplateIddLj64ELj16ELj128ELb0ELb0ELb1EEEvllPKT_S5_PKT0_S8_PS3_S9_.kd
    .uniform_work_group_size: 1
    .uses_dynamic_stack: false
    .vgpr_count:     107
    .vgpr_spill_count: 0
    .wavefront_size: 32
    .workgroup_processor_mode: 1
  - .args:
      - .offset:         0
        .size:           8
        .value_kind:     by_value
      - .offset:         8
        .size:           8
        .value_kind:     by_value
      - .actual_access:  read_only
        .address_space:  global
        .offset:         16
        .size:           8
        .value_kind:     global_buffer
      - .actual_access:  read_only
        .address_space:  global
        .offset:         24
        .size:           8
        .value_kind:     global_buffer
      - .actual_access:  read_only
        .address_space:  global
        .offset:         32
        .size:           8
        .value_kind:     global_buffer
      - .actual_access:  read_only
        .address_space:  global
        .offset:         40
        .size:           8
        .value_kind:     global_buffer
      - .actual_access:  write_only
        .address_space:  global
        .offset:         48
        .size:           8
        .value_kind:     global_buffer
      - .actual_access:  read_only
        .address_space:  global
        .offset:         56
        .size:           8
        .value_kind:     global_buffer
      - .offset:         64
        .size:           4
        .value_kind:     hidden_block_count_x
      - .offset:         68
        .size:           4
        .value_kind:     hidden_block_count_y
      - .offset:         72
        .size:           4
        .value_kind:     hidden_block_count_z
      - .offset:         76
        .size:           2
        .value_kind:     hidden_group_size_x
      - .offset:         78
        .size:           2
        .value_kind:     hidden_group_size_y
      - .offset:         80
        .size:           2
        .value_kind:     hidden_group_size_z
      - .offset:         82
        .size:           2
        .value_kind:     hidden_remainder_x
      - .offset:         84
        .size:           2
        .value_kind:     hidden_remainder_y
      - .offset:         86
        .size:           2
        .value_kind:     hidden_remainder_z
      - .offset:         104
        .size:           8
        .value_kind:     hidden_global_offset_x
      - .offset:         112
        .size:           8
        .value_kind:     hidden_global_offset_y
      - .offset:         120
        .size:           8
        .value_kind:     hidden_global_offset_z
      - .offset:         128
        .size:           2
        .value_kind:     hidden_grid_dims
      - .offset:         184
        .size:           4
        .value_kind:     hidden_dynamic_lds_size
    .group_segment_fixed_size: 0
    .kernarg_segment_align: 8
    .kernarg_segment_size: 320
    .language:       OpenCL C
    .language_version:
      - 2
      - 0
    .max_flat_workgroup_size: 1024
    .name:           _ZN2at6native12_GLOBAL__N_135GammaBetaBackwardCUDAKernelTemplateIddLj64ELj16ELj256ELb0ELb1ELb1EEEvllPKT_S5_PKT0_S8_PS3_S9_
    .private_segment_fixed_size: 0
    .sgpr_count:     23
    .sgpr_spill_count: 0
    .symbol:         _ZN2at6native12_GLOBAL__N_135GammaBetaBackwardCUDAKernelTemplateIddLj64ELj16ELj256ELb0ELb1ELb1EEEvllPKT_S5_PKT0_S8_PS3_S9_.kd
    .uniform_work_group_size: 1
    .uses_dynamic_stack: false
    .vgpr_count:     72
    .vgpr_spill_count: 0
    .wavefront_size: 32
    .workgroup_processor_mode: 1
  - .args:
      - .offset:         0
        .size:           8
        .value_kind:     by_value
      - .offset:         8
        .size:           8
        .value_kind:     by_value
      - .actual_access:  read_only
        .address_space:  global
        .offset:         16
        .size:           8
        .value_kind:     global_buffer
      - .actual_access:  read_only
        .address_space:  global
        .offset:         24
        .size:           8
        .value_kind:     global_buffer
      - .actual_access:  read_only
        .address_space:  global
        .offset:         32
        .size:           8
        .value_kind:     global_buffer
      - .actual_access:  read_only
        .address_space:  global
        .offset:         40
        .size:           8
        .value_kind:     global_buffer
      - .actual_access:  write_only
        .address_space:  global
        .offset:         48
        .size:           8
        .value_kind:     global_buffer
      - .actual_access:  read_only
        .address_space:  global
        .offset:         56
        .size:           8
        .value_kind:     global_buffer
      - .offset:         64
        .size:           4
        .value_kind:     hidden_block_count_x
      - .offset:         68
        .size:           4
        .value_kind:     hidden_block_count_y
      - .offset:         72
        .size:           4
        .value_kind:     hidden_block_count_z
      - .offset:         76
        .size:           2
        .value_kind:     hidden_group_size_x
      - .offset:         78
        .size:           2
        .value_kind:     hidden_group_size_y
      - .offset:         80
        .size:           2
        .value_kind:     hidden_group_size_z
      - .offset:         82
        .size:           2
        .value_kind:     hidden_remainder_x
      - .offset:         84
        .size:           2
        .value_kind:     hidden_remainder_y
      - .offset:         86
        .size:           2
        .value_kind:     hidden_remainder_z
      - .offset:         104
        .size:           8
        .value_kind:     hidden_global_offset_x
      - .offset:         112
        .size:           8
        .value_kind:     hidden_global_offset_y
      - .offset:         120
        .size:           8
        .value_kind:     hidden_global_offset_z
      - .offset:         128
        .size:           2
        .value_kind:     hidden_grid_dims
      - .offset:         184
        .size:           4
        .value_kind:     hidden_dynamic_lds_size
    .group_segment_fixed_size: 0
    .kernarg_segment_align: 8
    .kernarg_segment_size: 320
    .language:       OpenCL C
    .language_version:
      - 2
      - 0
    .max_flat_workgroup_size: 1024
    .name:           _ZN2at6native12_GLOBAL__N_135GammaBetaBackwardCUDAKernelTemplateIddLj64ELj16ELj256ELb0ELb0ELb1EEEvllPKT_S5_PKT0_S8_PS3_S9_
    .private_segment_fixed_size: 52
    .sgpr_count:     34
    .sgpr_spill_count: 0
    .symbol:         _ZN2at6native12_GLOBAL__N_135GammaBetaBackwardCUDAKernelTemplateIddLj64ELj16ELj256ELb0ELb0ELb1EEEvllPKT_S5_PKT0_S8_PS3_S9_.kd
    .uniform_work_group_size: 1
    .uses_dynamic_stack: false
    .vgpr_count:     192
    .vgpr_spill_count: 20
    .wavefront_size: 32
    .workgroup_processor_mode: 1
  - .args:
      - .offset:         0
        .size:           8
        .value_kind:     by_value
      - .offset:         8
        .size:           8
        .value_kind:     by_value
      - .actual_access:  read_only
        .address_space:  global
        .offset:         16
        .size:           8
        .value_kind:     global_buffer
      - .actual_access:  read_only
        .address_space:  global
        .offset:         24
        .size:           8
        .value_kind:     global_buffer
      - .actual_access:  read_only
        .address_space:  global
        .offset:         32
        .size:           8
        .value_kind:     global_buffer
      - .actual_access:  read_only
        .address_space:  global
        .offset:         40
        .size:           8
        .value_kind:     global_buffer
      - .actual_access:  write_only
        .address_space:  global
        .offset:         48
        .size:           8
        .value_kind:     global_buffer
      - .actual_access:  read_only
        .address_space:  global
        .offset:         56
        .size:           8
        .value_kind:     global_buffer
      - .offset:         64
        .size:           4
        .value_kind:     hidden_block_count_x
      - .offset:         68
        .size:           4
        .value_kind:     hidden_block_count_y
      - .offset:         72
        .size:           4
        .value_kind:     hidden_block_count_z
      - .offset:         76
        .size:           2
        .value_kind:     hidden_group_size_x
      - .offset:         78
        .size:           2
        .value_kind:     hidden_group_size_y
      - .offset:         80
        .size:           2
        .value_kind:     hidden_group_size_z
      - .offset:         82
        .size:           2
        .value_kind:     hidden_remainder_x
      - .offset:         84
        .size:           2
        .value_kind:     hidden_remainder_y
      - .offset:         86
        .size:           2
        .value_kind:     hidden_remainder_z
      - .offset:         104
        .size:           8
        .value_kind:     hidden_global_offset_x
      - .offset:         112
        .size:           8
        .value_kind:     hidden_global_offset_y
      - .offset:         120
        .size:           8
        .value_kind:     hidden_global_offset_z
      - .offset:         128
        .size:           2
        .value_kind:     hidden_grid_dims
    .group_segment_fixed_size: 0
    .kernarg_segment_align: 8
    .kernarg_segment_size: 320
    .language:       OpenCL C
    .language_version:
      - 2
      - 0
    .max_flat_workgroup_size: 32
    .name:           _ZN2at6native12_GLOBAL__N_135GammaBetaBackwardCUDAKernelTemplateIddLj32ELj1ELj32ELb1ELb1ELb1EEEvllPKT_S5_PKT0_S8_PS3_S9_
    .private_segment_fixed_size: 0
    .sgpr_count:     25
    .sgpr_spill_count: 0
    .symbol:         _ZN2at6native12_GLOBAL__N_135GammaBetaBackwardCUDAKernelTemplateIddLj32ELj1ELj32ELb1ELb1ELb1EEEvllPKT_S5_PKT0_S8_PS3_S9_.kd
    .uniform_work_group_size: 1
    .uses_dynamic_stack: false
    .vgpr_count:     88
    .vgpr_spill_count: 0
    .wavefront_size: 32
    .workgroup_processor_mode: 1
  - .args:
      - .offset:         0
        .size:           8
        .value_kind:     by_value
      - .offset:         8
        .size:           8
        .value_kind:     by_value
      - .actual_access:  read_only
        .address_space:  global
        .offset:         16
        .size:           8
        .value_kind:     global_buffer
      - .actual_access:  read_only
        .address_space:  global
        .offset:         24
        .size:           8
        .value_kind:     global_buffer
      - .actual_access:  read_only
        .address_space:  global
        .offset:         32
        .size:           8
        .value_kind:     global_buffer
      - .actual_access:  read_only
        .address_space:  global
        .offset:         40
        .size:           8
        .value_kind:     global_buffer
      - .actual_access:  write_only
        .address_space:  global
        .offset:         48
        .size:           8
        .value_kind:     global_buffer
      - .actual_access:  read_only
        .address_space:  global
        .offset:         56
        .size:           8
        .value_kind:     global_buffer
      - .offset:         64
        .size:           4
        .value_kind:     hidden_block_count_x
      - .offset:         68
        .size:           4
        .value_kind:     hidden_block_count_y
      - .offset:         72
        .size:           4
        .value_kind:     hidden_block_count_z
      - .offset:         76
        .size:           2
        .value_kind:     hidden_group_size_x
      - .offset:         78
        .size:           2
        .value_kind:     hidden_group_size_y
      - .offset:         80
        .size:           2
        .value_kind:     hidden_group_size_z
      - .offset:         82
        .size:           2
        .value_kind:     hidden_remainder_x
      - .offset:         84
        .size:           2
        .value_kind:     hidden_remainder_y
      - .offset:         86
        .size:           2
        .value_kind:     hidden_remainder_z
      - .offset:         104
        .size:           8
        .value_kind:     hidden_global_offset_x
      - .offset:         112
        .size:           8
        .value_kind:     hidden_global_offset_y
      - .offset:         120
        .size:           8
        .value_kind:     hidden_global_offset_z
      - .offset:         128
        .size:           2
        .value_kind:     hidden_grid_dims
    .group_segment_fixed_size: 0
    .kernarg_segment_align: 8
    .kernarg_segment_size: 320
    .language:       OpenCL C
    .language_version:
      - 2
      - 0
    .max_flat_workgroup_size: 32
    .name:           _ZN2at6native12_GLOBAL__N_135GammaBetaBackwardCUDAKernelTemplateIddLj32ELj1ELj32ELb1ELb0ELb1EEEvllPKT_S5_PKT0_S8_PS3_S9_
    .private_segment_fixed_size: 592
    .sgpr_count:     34
    .sgpr_spill_count: 0
    .symbol:         _ZN2at6native12_GLOBAL__N_135GammaBetaBackwardCUDAKernelTemplateIddLj32ELj1ELj32ELb1ELb0ELb1EEEvllPKT_S5_PKT0_S8_PS3_S9_.kd
    .uniform_work_group_size: 1
    .uses_dynamic_stack: false
    .vgpr_count:     256
    .vgpr_spill_count: 328
    .wavefront_size: 32
    .workgroup_processor_mode: 1
  - .args:
      - .offset:         0
        .size:           8
        .value_kind:     by_value
      - .offset:         8
        .size:           8
        .value_kind:     by_value
      - .actual_access:  read_only
        .address_space:  global
        .offset:         16
        .size:           8
        .value_kind:     global_buffer
      - .actual_access:  read_only
        .address_space:  global
        .offset:         24
        .size:           8
        .value_kind:     global_buffer
      - .actual_access:  read_only
        .address_space:  global
        .offset:         32
        .size:           8
        .value_kind:     global_buffer
      - .actual_access:  read_only
        .address_space:  global
        .offset:         40
        .size:           8
        .value_kind:     global_buffer
      - .actual_access:  write_only
        .address_space:  global
        .offset:         48
        .size:           8
        .value_kind:     global_buffer
      - .actual_access:  read_only
        .address_space:  global
        .offset:         56
        .size:           8
        .value_kind:     global_buffer
      - .offset:         64
        .size:           4
        .value_kind:     hidden_block_count_x
      - .offset:         68
        .size:           4
        .value_kind:     hidden_block_count_y
      - .offset:         72
        .size:           4
        .value_kind:     hidden_block_count_z
      - .offset:         76
        .size:           2
        .value_kind:     hidden_group_size_x
      - .offset:         78
        .size:           2
        .value_kind:     hidden_group_size_y
      - .offset:         80
        .size:           2
        .value_kind:     hidden_group_size_z
      - .offset:         82
        .size:           2
        .value_kind:     hidden_remainder_x
      - .offset:         84
        .size:           2
        .value_kind:     hidden_remainder_y
      - .offset:         86
        .size:           2
        .value_kind:     hidden_remainder_z
      - .offset:         104
        .size:           8
        .value_kind:     hidden_global_offset_x
      - .offset:         112
        .size:           8
        .value_kind:     hidden_global_offset_y
      - .offset:         120
        .size:           8
        .value_kind:     hidden_global_offset_z
      - .offset:         128
        .size:           2
        .value_kind:     hidden_grid_dims
    .group_segment_fixed_size: 0
    .kernarg_segment_align: 8
    .kernarg_segment_size: 320
    .language:       OpenCL C
    .language_version:
      - 2
      - 0
    .max_flat_workgroup_size: 32
    .name:           _ZN2at6native12_GLOBAL__N_135GammaBetaBackwardCUDAKernelTemplateIddLj32ELj1ELj8ELb1ELb1ELb1EEEvllPKT_S5_PKT0_S8_PS3_S9_
    .private_segment_fixed_size: 0
    .sgpr_count:     27
    .sgpr_spill_count: 0
    .symbol:         _ZN2at6native12_GLOBAL__N_135GammaBetaBackwardCUDAKernelTemplateIddLj32ELj1ELj8ELb1ELb1ELb1EEEvllPKT_S5_PKT0_S8_PS3_S9_.kd
    .uniform_work_group_size: 1
    .uses_dynamic_stack: false
    .vgpr_count:     52
    .vgpr_spill_count: 0
    .wavefront_size: 32
    .workgroup_processor_mode: 1
  - .args:
      - .offset:         0
        .size:           8
        .value_kind:     by_value
      - .offset:         8
        .size:           8
        .value_kind:     by_value
      - .actual_access:  read_only
        .address_space:  global
        .offset:         16
        .size:           8
        .value_kind:     global_buffer
      - .actual_access:  read_only
        .address_space:  global
        .offset:         24
        .size:           8
        .value_kind:     global_buffer
      - .actual_access:  read_only
        .address_space:  global
        .offset:         32
        .size:           8
        .value_kind:     global_buffer
      - .actual_access:  read_only
        .address_space:  global
        .offset:         40
        .size:           8
        .value_kind:     global_buffer
      - .actual_access:  write_only
        .address_space:  global
        .offset:         48
        .size:           8
        .value_kind:     global_buffer
      - .actual_access:  read_only
        .address_space:  global
        .offset:         56
        .size:           8
        .value_kind:     global_buffer
      - .offset:         64
        .size:           4
        .value_kind:     hidden_block_count_x
      - .offset:         68
        .size:           4
        .value_kind:     hidden_block_count_y
      - .offset:         72
        .size:           4
        .value_kind:     hidden_block_count_z
      - .offset:         76
        .size:           2
        .value_kind:     hidden_group_size_x
      - .offset:         78
        .size:           2
        .value_kind:     hidden_group_size_y
      - .offset:         80
        .size:           2
        .value_kind:     hidden_group_size_z
      - .offset:         82
        .size:           2
        .value_kind:     hidden_remainder_x
      - .offset:         84
        .size:           2
        .value_kind:     hidden_remainder_y
      - .offset:         86
        .size:           2
        .value_kind:     hidden_remainder_z
      - .offset:         104
        .size:           8
        .value_kind:     hidden_global_offset_x
      - .offset:         112
        .size:           8
        .value_kind:     hidden_global_offset_y
      - .offset:         120
        .size:           8
        .value_kind:     hidden_global_offset_z
      - .offset:         128
        .size:           2
        .value_kind:     hidden_grid_dims
    .group_segment_fixed_size: 0
    .kernarg_segment_align: 8
    .kernarg_segment_size: 320
    .language:       OpenCL C
    .language_version:
      - 2
      - 0
    .max_flat_workgroup_size: 32
    .name:           _ZN2at6native12_GLOBAL__N_135GammaBetaBackwardCUDAKernelTemplateIddLj32ELj1ELj8ELb1ELb0ELb1EEEvllPKT_S5_PKT0_S8_PS3_S9_
    .private_segment_fixed_size: 0
    .sgpr_count:     34
    .sgpr_spill_count: 0
    .symbol:         _ZN2at6native12_GLOBAL__N_135GammaBetaBackwardCUDAKernelTemplateIddLj32ELj1ELj8ELb1ELb0ELb1EEEvllPKT_S5_PKT0_S8_PS3_S9_.kd
    .uniform_work_group_size: 1
    .uses_dynamic_stack: false
    .vgpr_count:     108
    .vgpr_spill_count: 0
    .wavefront_size: 32
    .workgroup_processor_mode: 1
  - .args:
      - .offset:         0
        .size:           8
        .value_kind:     by_value
      - .offset:         8
        .size:           8
        .value_kind:     by_value
      - .actual_access:  read_only
        .address_space:  global
        .offset:         16
        .size:           8
        .value_kind:     global_buffer
      - .actual_access:  read_only
        .address_space:  global
        .offset:         24
        .size:           8
        .value_kind:     global_buffer
      - .actual_access:  read_only
        .address_space:  global
        .offset:         32
        .size:           8
        .value_kind:     global_buffer
      - .actual_access:  read_only
        .address_space:  global
        .offset:         40
        .size:           8
        .value_kind:     global_buffer
      - .actual_access:  write_only
        .address_space:  global
        .offset:         48
        .size:           8
        .value_kind:     global_buffer
      - .actual_access:  read_only
        .address_space:  global
        .offset:         56
        .size:           8
        .value_kind:     global_buffer
      - .offset:         64
        .size:           4
        .value_kind:     hidden_block_count_x
      - .offset:         68
        .size:           4
        .value_kind:     hidden_block_count_y
      - .offset:         72
        .size:           4
        .value_kind:     hidden_block_count_z
      - .offset:         76
        .size:           2
        .value_kind:     hidden_group_size_x
      - .offset:         78
        .size:           2
        .value_kind:     hidden_group_size_y
      - .offset:         80
        .size:           2
        .value_kind:     hidden_group_size_z
      - .offset:         82
        .size:           2
        .value_kind:     hidden_remainder_x
      - .offset:         84
        .size:           2
        .value_kind:     hidden_remainder_y
      - .offset:         86
        .size:           2
        .value_kind:     hidden_remainder_z
      - .offset:         104
        .size:           8
        .value_kind:     hidden_global_offset_x
      - .offset:         112
        .size:           8
        .value_kind:     hidden_global_offset_y
      - .offset:         120
        .size:           8
        .value_kind:     hidden_global_offset_z
      - .offset:         128
        .size:           2
        .value_kind:     hidden_grid_dims
      - .offset:         184
        .size:           4
        .value_kind:     hidden_dynamic_lds_size
    .group_segment_fixed_size: 0
    .kernarg_segment_align: 8
    .kernarg_segment_size: 320
    .language:       OpenCL C
    .language_version:
      - 2
      - 0
    .max_flat_workgroup_size: 256
    .name:           _ZN2at6native12_GLOBAL__N_135GammaBetaBackwardCUDAKernelTemplateIddLj32ELj8ELj64ELb0ELb1ELb1EEEvllPKT_S5_PKT0_S8_PS3_S9_
    .private_segment_fixed_size: 0
    .sgpr_count:     23
    .sgpr_spill_count: 0
    .symbol:         _ZN2at6native12_GLOBAL__N_135GammaBetaBackwardCUDAKernelTemplateIddLj32ELj8ELj64ELb0ELb1ELb1EEEvllPKT_S5_PKT0_S8_PS3_S9_.kd
    .uniform_work_group_size: 1
    .uses_dynamic_stack: false
    .vgpr_count:     52
    .vgpr_spill_count: 0
    .wavefront_size: 32
    .workgroup_processor_mode: 1
  - .args:
      - .offset:         0
        .size:           8
        .value_kind:     by_value
      - .offset:         8
        .size:           8
        .value_kind:     by_value
      - .actual_access:  read_only
        .address_space:  global
        .offset:         16
        .size:           8
        .value_kind:     global_buffer
      - .actual_access:  read_only
        .address_space:  global
        .offset:         24
        .size:           8
        .value_kind:     global_buffer
      - .actual_access:  read_only
        .address_space:  global
        .offset:         32
        .size:           8
        .value_kind:     global_buffer
      - .actual_access:  read_only
        .address_space:  global
        .offset:         40
        .size:           8
        .value_kind:     global_buffer
      - .actual_access:  write_only
        .address_space:  global
        .offset:         48
        .size:           8
        .value_kind:     global_buffer
      - .actual_access:  read_only
        .address_space:  global
        .offset:         56
        .size:           8
        .value_kind:     global_buffer
      - .offset:         64
        .size:           4
        .value_kind:     hidden_block_count_x
      - .offset:         68
        .size:           4
        .value_kind:     hidden_block_count_y
      - .offset:         72
        .size:           4
        .value_kind:     hidden_block_count_z
      - .offset:         76
        .size:           2
        .value_kind:     hidden_group_size_x
      - .offset:         78
        .size:           2
        .value_kind:     hidden_group_size_y
      - .offset:         80
        .size:           2
        .value_kind:     hidden_group_size_z
      - .offset:         82
        .size:           2
        .value_kind:     hidden_remainder_x
      - .offset:         84
        .size:           2
        .value_kind:     hidden_remainder_y
      - .offset:         86
        .size:           2
        .value_kind:     hidden_remainder_z
      - .offset:         104
        .size:           8
        .value_kind:     hidden_global_offset_x
      - .offset:         112
        .size:           8
        .value_kind:     hidden_global_offset_y
      - .offset:         120
        .size:           8
        .value_kind:     hidden_global_offset_z
      - .offset:         128
        .size:           2
        .value_kind:     hidden_grid_dims
      - .offset:         184
        .size:           4
        .value_kind:     hidden_dynamic_lds_size
    .group_segment_fixed_size: 0
    .kernarg_segment_align: 8
    .kernarg_segment_size: 320
    .language:       OpenCL C
    .language_version:
      - 2
      - 0
    .max_flat_workgroup_size: 256
    .name:           _ZN2at6native12_GLOBAL__N_135GammaBetaBackwardCUDAKernelTemplateIddLj32ELj8ELj64ELb0ELb0ELb1EEEvllPKT_S5_PKT0_S8_PS3_S9_
    .private_segment_fixed_size: 0
    .sgpr_count:     34
    .sgpr_spill_count: 0
    .symbol:         _ZN2at6native12_GLOBAL__N_135GammaBetaBackwardCUDAKernelTemplateIddLj32ELj8ELj64ELb0ELb0ELb1EEEvllPKT_S5_PKT0_S8_PS3_S9_.kd
    .uniform_work_group_size: 1
    .uses_dynamic_stack: false
    .vgpr_count:     107
    .vgpr_spill_count: 0
    .wavefront_size: 32
    .workgroup_processor_mode: 1
  - .args:
      - .offset:         0
        .size:           8
        .value_kind:     by_value
      - .offset:         8
        .size:           8
        .value_kind:     by_value
      - .actual_access:  read_only
        .address_space:  global
        .offset:         16
        .size:           8
        .value_kind:     global_buffer
      - .actual_access:  read_only
        .address_space:  global
        .offset:         24
        .size:           8
        .value_kind:     global_buffer
      - .actual_access:  read_only
        .address_space:  global
        .offset:         32
        .size:           8
        .value_kind:     global_buffer
      - .actual_access:  read_only
        .address_space:  global
        .offset:         40
        .size:           8
        .value_kind:     global_buffer
      - .actual_access:  write_only
        .address_space:  global
        .offset:         48
        .size:           8
        .value_kind:     global_buffer
      - .actual_access:  read_only
        .address_space:  global
        .offset:         56
        .size:           8
        .value_kind:     global_buffer
      - .offset:         64
        .size:           4
        .value_kind:     hidden_block_count_x
      - .offset:         68
        .size:           4
        .value_kind:     hidden_block_count_y
      - .offset:         72
        .size:           4
        .value_kind:     hidden_block_count_z
      - .offset:         76
        .size:           2
        .value_kind:     hidden_group_size_x
      - .offset:         78
        .size:           2
        .value_kind:     hidden_group_size_y
      - .offset:         80
        .size:           2
        .value_kind:     hidden_group_size_z
      - .offset:         82
        .size:           2
        .value_kind:     hidden_remainder_x
      - .offset:         84
        .size:           2
        .value_kind:     hidden_remainder_y
      - .offset:         86
        .size:           2
        .value_kind:     hidden_remainder_z
      - .offset:         104
        .size:           8
        .value_kind:     hidden_global_offset_x
      - .offset:         112
        .size:           8
        .value_kind:     hidden_global_offset_y
      - .offset:         120
        .size:           8
        .value_kind:     hidden_global_offset_z
      - .offset:         128
        .size:           2
        .value_kind:     hidden_grid_dims
      - .offset:         184
        .size:           4
        .value_kind:     hidden_dynamic_lds_size
    .group_segment_fixed_size: 0
    .kernarg_segment_align: 8
    .kernarg_segment_size: 320
    .language:       OpenCL C
    .language_version:
      - 2
      - 0
    .max_flat_workgroup_size: 512
    .name:           _ZN2at6native12_GLOBAL__N_135GammaBetaBackwardCUDAKernelTemplateIddLj32ELj16ELj128ELb0ELb1ELb1EEEvllPKT_S5_PKT0_S8_PS3_S9_
    .private_segment_fixed_size: 0
    .sgpr_count:     23
    .sgpr_spill_count: 0
    .symbol:         _ZN2at6native12_GLOBAL__N_135GammaBetaBackwardCUDAKernelTemplateIddLj32ELj16ELj128ELb0ELb1ELb1EEEvllPKT_S5_PKT0_S8_PS3_S9_.kd
    .uniform_work_group_size: 1
    .uses_dynamic_stack: false
    .vgpr_count:     52
    .vgpr_spill_count: 0
    .wavefront_size: 32
    .workgroup_processor_mode: 1
  - .args:
      - .offset:         0
        .size:           8
        .value_kind:     by_value
      - .offset:         8
        .size:           8
        .value_kind:     by_value
      - .actual_access:  read_only
        .address_space:  global
        .offset:         16
        .size:           8
        .value_kind:     global_buffer
      - .actual_access:  read_only
        .address_space:  global
        .offset:         24
        .size:           8
        .value_kind:     global_buffer
      - .actual_access:  read_only
        .address_space:  global
        .offset:         32
        .size:           8
        .value_kind:     global_buffer
      - .actual_access:  read_only
        .address_space:  global
        .offset:         40
        .size:           8
        .value_kind:     global_buffer
      - .actual_access:  write_only
        .address_space:  global
        .offset:         48
        .size:           8
        .value_kind:     global_buffer
      - .actual_access:  read_only
        .address_space:  global
        .offset:         56
        .size:           8
        .value_kind:     global_buffer
      - .offset:         64
        .size:           4
        .value_kind:     hidden_block_count_x
      - .offset:         68
        .size:           4
        .value_kind:     hidden_block_count_y
      - .offset:         72
        .size:           4
        .value_kind:     hidden_block_count_z
      - .offset:         76
        .size:           2
        .value_kind:     hidden_group_size_x
      - .offset:         78
        .size:           2
        .value_kind:     hidden_group_size_y
      - .offset:         80
        .size:           2
        .value_kind:     hidden_group_size_z
      - .offset:         82
        .size:           2
        .value_kind:     hidden_remainder_x
      - .offset:         84
        .size:           2
        .value_kind:     hidden_remainder_y
      - .offset:         86
        .size:           2
        .value_kind:     hidden_remainder_z
      - .offset:         104
        .size:           8
        .value_kind:     hidden_global_offset_x
      - .offset:         112
        .size:           8
        .value_kind:     hidden_global_offset_y
      - .offset:         120
        .size:           8
        .value_kind:     hidden_global_offset_z
      - .offset:         128
        .size:           2
        .value_kind:     hidden_grid_dims
      - .offset:         184
        .size:           4
        .value_kind:     hidden_dynamic_lds_size
    .group_segment_fixed_size: 0
    .kernarg_segment_align: 8
    .kernarg_segment_size: 320
    .language:       OpenCL C
    .language_version:
      - 2
      - 0
    .max_flat_workgroup_size: 512
    .name:           _ZN2at6native12_GLOBAL__N_135GammaBetaBackwardCUDAKernelTemplateIddLj32ELj16ELj128ELb0ELb0ELb1EEEvllPKT_S5_PKT0_S8_PS3_S9_
    .private_segment_fixed_size: 0
    .sgpr_count:     34
    .sgpr_spill_count: 0
    .symbol:         _ZN2at6native12_GLOBAL__N_135GammaBetaBackwardCUDAKernelTemplateIddLj32ELj16ELj128ELb0ELb0ELb1EEEvllPKT_S5_PKT0_S8_PS3_S9_.kd
    .uniform_work_group_size: 1
    .uses_dynamic_stack: false
    .vgpr_count:     107
    .vgpr_spill_count: 0
    .wavefront_size: 32
    .workgroup_processor_mode: 1
  - .args:
      - .offset:         0
        .size:           8
        .value_kind:     by_value
      - .offset:         8
        .size:           8
        .value_kind:     by_value
      - .actual_access:  read_only
        .address_space:  global
        .offset:         16
        .size:           8
        .value_kind:     global_buffer
      - .actual_access:  read_only
        .address_space:  global
        .offset:         24
        .size:           8
        .value_kind:     global_buffer
      - .actual_access:  read_only
        .address_space:  global
        .offset:         32
        .size:           8
        .value_kind:     global_buffer
      - .actual_access:  read_only
        .address_space:  global
        .offset:         40
        .size:           8
        .value_kind:     global_buffer
      - .actual_access:  write_only
        .address_space:  global
        .offset:         48
        .size:           8
        .value_kind:     global_buffer
      - .actual_access:  read_only
        .address_space:  global
        .offset:         56
        .size:           8
        .value_kind:     global_buffer
      - .offset:         64
        .size:           4
        .value_kind:     hidden_block_count_x
      - .offset:         68
        .size:           4
        .value_kind:     hidden_block_count_y
      - .offset:         72
        .size:           4
        .value_kind:     hidden_block_count_z
      - .offset:         76
        .size:           2
        .value_kind:     hidden_group_size_x
      - .offset:         78
        .size:           2
        .value_kind:     hidden_group_size_y
      - .offset:         80
        .size:           2
        .value_kind:     hidden_group_size_z
      - .offset:         82
        .size:           2
        .value_kind:     hidden_remainder_x
      - .offset:         84
        .size:           2
        .value_kind:     hidden_remainder_y
      - .offset:         86
        .size:           2
        .value_kind:     hidden_remainder_z
      - .offset:         104
        .size:           8
        .value_kind:     hidden_global_offset_x
      - .offset:         112
        .size:           8
        .value_kind:     hidden_global_offset_y
      - .offset:         120
        .size:           8
        .value_kind:     hidden_global_offset_z
      - .offset:         128
        .size:           2
        .value_kind:     hidden_grid_dims
      - .offset:         184
        .size:           4
        .value_kind:     hidden_dynamic_lds_size
    .group_segment_fixed_size: 0
    .kernarg_segment_align: 8
    .kernarg_segment_size: 320
    .language:       OpenCL C
    .language_version:
      - 2
      - 0
    .max_flat_workgroup_size: 1024
    .name:           _ZN2at6native12_GLOBAL__N_135GammaBetaBackwardCUDAKernelTemplateIddLj32ELj32ELj256ELb0ELb1ELb1EEEvllPKT_S5_PKT0_S8_PS3_S9_
    .private_segment_fixed_size: 0
    .sgpr_count:     23
    .sgpr_spill_count: 0
    .symbol:         _ZN2at6native12_GLOBAL__N_135GammaBetaBackwardCUDAKernelTemplateIddLj32ELj32ELj256ELb0ELb1ELb1EEEvllPKT_S5_PKT0_S8_PS3_S9_.kd
    .uniform_work_group_size: 1
    .uses_dynamic_stack: false
    .vgpr_count:     52
    .vgpr_spill_count: 0
    .wavefront_size: 32
    .workgroup_processor_mode: 1
  - .args:
      - .offset:         0
        .size:           8
        .value_kind:     by_value
      - .offset:         8
        .size:           8
        .value_kind:     by_value
      - .actual_access:  read_only
        .address_space:  global
        .offset:         16
        .size:           8
        .value_kind:     global_buffer
      - .actual_access:  read_only
        .address_space:  global
        .offset:         24
        .size:           8
        .value_kind:     global_buffer
      - .actual_access:  read_only
        .address_space:  global
        .offset:         32
        .size:           8
        .value_kind:     global_buffer
      - .actual_access:  read_only
        .address_space:  global
        .offset:         40
        .size:           8
        .value_kind:     global_buffer
      - .actual_access:  write_only
        .address_space:  global
        .offset:         48
        .size:           8
        .value_kind:     global_buffer
      - .actual_access:  read_only
        .address_space:  global
        .offset:         56
        .size:           8
        .value_kind:     global_buffer
      - .offset:         64
        .size:           4
        .value_kind:     hidden_block_count_x
      - .offset:         68
        .size:           4
        .value_kind:     hidden_block_count_y
      - .offset:         72
        .size:           4
        .value_kind:     hidden_block_count_z
      - .offset:         76
        .size:           2
        .value_kind:     hidden_group_size_x
      - .offset:         78
        .size:           2
        .value_kind:     hidden_group_size_y
      - .offset:         80
        .size:           2
        .value_kind:     hidden_group_size_z
      - .offset:         82
        .size:           2
        .value_kind:     hidden_remainder_x
      - .offset:         84
        .size:           2
        .value_kind:     hidden_remainder_y
      - .offset:         86
        .size:           2
        .value_kind:     hidden_remainder_z
      - .offset:         104
        .size:           8
        .value_kind:     hidden_global_offset_x
      - .offset:         112
        .size:           8
        .value_kind:     hidden_global_offset_y
      - .offset:         120
        .size:           8
        .value_kind:     hidden_global_offset_z
      - .offset:         128
        .size:           2
        .value_kind:     hidden_grid_dims
      - .offset:         184
        .size:           4
        .value_kind:     hidden_dynamic_lds_size
    .group_segment_fixed_size: 0
    .kernarg_segment_align: 8
    .kernarg_segment_size: 320
    .language:       OpenCL C
    .language_version:
      - 2
      - 0
    .max_flat_workgroup_size: 1024
    .name:           _ZN2at6native12_GLOBAL__N_135GammaBetaBackwardCUDAKernelTemplateIddLj32ELj32ELj256ELb0ELb0ELb1EEEvllPKT_S5_PKT0_S8_PS3_S9_
    .private_segment_fixed_size: 0
    .sgpr_count:     34
    .sgpr_spill_count: 0
    .symbol:         _ZN2at6native12_GLOBAL__N_135GammaBetaBackwardCUDAKernelTemplateIddLj32ELj32ELj256ELb0ELb0ELb1EEEvllPKT_S5_PKT0_S8_PS3_S9_.kd
    .uniform_work_group_size: 1
    .uses_dynamic_stack: false
    .vgpr_count:     107
    .vgpr_spill_count: 0
    .wavefront_size: 32
    .workgroup_processor_mode: 1
  - .args:
      - .actual_access:  read_only
        .address_space:  global
        .offset:         0
        .size:           8
        .value_kind:     global_buffer
      - .actual_access:  read_only
        .address_space:  global
        .offset:         8
        .size:           8
        .value_kind:     global_buffer
      - .offset:         16
        .size:           8
        .value_kind:     by_value
      - .offset:         24
        .size:           8
        .value_kind:     by_value
      - .actual_access:  read_only
        .address_space:  global
        .offset:         32
        .size:           8
        .value_kind:     global_buffer
      - .actual_access:  read_only
        .address_space:  global
        .offset:         40
        .size:           8
        .value_kind:     global_buffer
      - .address_space:  global
        .offset:         48
        .size:           8
        .value_kind:     global_buffer
      - .address_space:  global
        .offset:         56
        .size:           8
        .value_kind:     global_buffer
      - .offset:         64
        .size:           4
        .value_kind:     hidden_block_count_x
      - .offset:         68
        .size:           4
        .value_kind:     hidden_block_count_y
      - .offset:         72
        .size:           4
        .value_kind:     hidden_block_count_z
      - .offset:         76
        .size:           2
        .value_kind:     hidden_group_size_x
      - .offset:         78
        .size:           2
        .value_kind:     hidden_group_size_y
      - .offset:         80
        .size:           2
        .value_kind:     hidden_group_size_z
      - .offset:         82
        .size:           2
        .value_kind:     hidden_remainder_x
      - .offset:         84
        .size:           2
        .value_kind:     hidden_remainder_y
      - .offset:         86
        .size:           2
        .value_kind:     hidden_remainder_z
      - .offset:         104
        .size:           8
        .value_kind:     hidden_global_offset_x
      - .offset:         112
        .size:           8
        .value_kind:     hidden_global_offset_y
      - .offset:         120
        .size:           8
        .value_kind:     hidden_global_offset_z
      - .offset:         128
        .size:           2
        .value_kind:     hidden_grid_dims
      - .offset:         184
        .size:           4
        .value_kind:     hidden_dynamic_lds_size
    .group_segment_fixed_size: 0
    .kernarg_segment_align: 8
    .kernarg_segment_size: 320
    .language:       OpenCL C
    .language_version:
      - 2
      - 0
    .max_flat_workgroup_size: 1024
    .name:           _ZN2at6native12_GLOBAL__N_118cuComputeGradInputIffLb1EEEvPKT_S5_llPKT0_S8_S5_PS3_
    .private_segment_fixed_size: 0
    .sgpr_count:     41
    .sgpr_spill_count: 0
    .symbol:         _ZN2at6native12_GLOBAL__N_118cuComputeGradInputIffLb1EEEvPKT_S5_llPKT0_S8_S5_PS3_.kd
    .uniform_work_group_size: 1
    .uses_dynamic_stack: false
    .vgpr_count:     24
    .vgpr_spill_count: 0
    .wavefront_size: 32
    .workgroup_processor_mode: 1
  - .args:
      - .actual_access:  read_only
        .address_space:  global
        .offset:         0
        .size:           8
        .value_kind:     global_buffer
      - .actual_access:  read_only
        .address_space:  global
        .offset:         8
        .size:           8
        .value_kind:     global_buffer
      - .actual_access:  read_only
        .address_space:  global
        .offset:         16
        .size:           8
        .value_kind:     global_buffer
      - .actual_access:  read_only
        .address_space:  global
        .offset:         24
        .size:           8
        .value_kind:     global_buffer
      - .actual_access:  read_only
        .address_space:  global
        .offset:         32
        .size:           8
        .value_kind:     global_buffer
      - .address_space:  global
        .offset:         40
        .size:           8
        .value_kind:     global_buffer
      - .offset:         48
        .size:           4
        .value_kind:     by_value
      - .offset:         56
        .size:           4
        .value_kind:     hidden_block_count_x
      - .offset:         60
        .size:           4
        .value_kind:     hidden_block_count_y
      - .offset:         64
        .size:           4
        .value_kind:     hidden_block_count_z
      - .offset:         68
        .size:           2
        .value_kind:     hidden_group_size_x
      - .offset:         70
        .size:           2
        .value_kind:     hidden_group_size_y
      - .offset:         72
        .size:           2
        .value_kind:     hidden_group_size_z
      - .offset:         74
        .size:           2
        .value_kind:     hidden_remainder_x
      - .offset:         76
        .size:           2
        .value_kind:     hidden_remainder_y
      - .offset:         78
        .size:           2
        .value_kind:     hidden_remainder_z
      - .offset:         96
        .size:           8
        .value_kind:     hidden_global_offset_x
      - .offset:         104
        .size:           8
        .value_kind:     hidden_global_offset_y
      - .offset:         112
        .size:           8
        .value_kind:     hidden_global_offset_z
      - .offset:         120
        .size:           2
        .value_kind:     hidden_grid_dims
      - .offset:         176
        .size:           4
        .value_kind:     hidden_dynamic_lds_size
    .group_segment_fixed_size: 0
    .kernarg_segment_align: 8
    .kernarg_segment_size: 312
    .language:       OpenCL C
    .language_version:
      - 2
      - 0
    .max_flat_workgroup_size: 1024
    .name:           _ZN2at6native12_GLOBAL__N_128layer_norm_grad_input_kernelIffLb1EEEvPKT_S5_PKT0_S8_S5_PS3_i
    .private_segment_fixed_size: 0
    .sgpr_count:     24
    .sgpr_spill_count: 0
    .symbol:         _ZN2at6native12_GLOBAL__N_128layer_norm_grad_input_kernelIffLb1EEEvPKT_S5_PKT0_S8_S5_PS3_i.kd
    .uniform_work_group_size: 1
    .uses_dynamic_stack: false
    .vgpr_count:     20
    .vgpr_spill_count: 0
    .wavefront_size: 32
    .workgroup_processor_mode: 1
  - .args:
      - .offset:         0
        .size:           8
        .value_kind:     by_value
      - .offset:         8
        .size:           8
        .value_kind:     by_value
      - .address_space:  global
        .offset:         16
        .size:           8
        .value_kind:     global_buffer
      - .address_space:  global
        .offset:         24
        .size:           8
        .value_kind:     global_buffer
      - .address_space:  global
        .offset:         32
        .size:           8
        .value_kind:     global_buffer
      - .address_space:  global
        .offset:         40
        .size:           8
        .value_kind:     global_buffer
      - .address_space:  global
        .offset:         48
        .size:           8
        .value_kind:     global_buffer
      - .address_space:  global
        .offset:         56
        .size:           8
        .value_kind:     global_buffer
      - .offset:         64
        .size:           4
        .value_kind:     hidden_block_count_x
      - .offset:         68
        .size:           4
        .value_kind:     hidden_block_count_y
      - .offset:         72
        .size:           4
        .value_kind:     hidden_block_count_z
      - .offset:         76
        .size:           2
        .value_kind:     hidden_group_size_x
      - .offset:         78
        .size:           2
        .value_kind:     hidden_group_size_y
      - .offset:         80
        .size:           2
        .value_kind:     hidden_group_size_z
      - .offset:         82
        .size:           2
        .value_kind:     hidden_remainder_x
      - .offset:         84
        .size:           2
        .value_kind:     hidden_remainder_y
      - .offset:         86
        .size:           2
        .value_kind:     hidden_remainder_z
      - .offset:         104
        .size:           8
        .value_kind:     hidden_global_offset_x
      - .offset:         112
        .size:           8
        .value_kind:     hidden_global_offset_y
      - .offset:         120
        .size:           8
        .value_kind:     hidden_global_offset_z
      - .offset:         128
        .size:           2
        .value_kind:     hidden_grid_dims
    .group_segment_fixed_size: 0
    .kernarg_segment_align: 8
    .kernarg_segment_size: 320
    .language:       OpenCL C
    .language_version:
      - 2
      - 0
    .max_flat_workgroup_size: 1024
    .name:           _ZN2at6native12_GLOBAL__N_133GammaBetaBackwardSimpleCUDAKernelIffLb1EEEvllPKT_S5_PKT0_S8_PS3_S9_
    .private_segment_fixed_size: 0
    .sgpr_count:     16
    .sgpr_spill_count: 0
    .symbol:         _ZN2at6native12_GLOBAL__N_133GammaBetaBackwardSimpleCUDAKernelIffLb1EEEvllPKT_S5_PKT0_S8_PS3_S9_.kd
    .uniform_work_group_size: 1
    .uses_dynamic_stack: false
    .vgpr_count:     10
    .vgpr_spill_count: 0
    .wavefront_size: 32
    .workgroup_processor_mode: 1
  - .args:
      - .offset:         0
        .size:           8
        .value_kind:     by_value
      - .offset:         8
        .size:           8
        .value_kind:     by_value
      - .actual_access:  read_only
        .address_space:  global
        .offset:         16
        .size:           8
        .value_kind:     global_buffer
      - .actual_access:  read_only
        .address_space:  global
        .offset:         24
        .size:           8
        .value_kind:     global_buffer
      - .actual_access:  read_only
        .address_space:  global
        .offset:         32
        .size:           8
        .value_kind:     global_buffer
      - .actual_access:  read_only
        .address_space:  global
        .offset:         40
        .size:           8
        .value_kind:     global_buffer
      - .actual_access:  write_only
        .address_space:  global
        .offset:         48
        .size:           8
        .value_kind:     global_buffer
      - .actual_access:  read_only
        .address_space:  global
        .offset:         56
        .size:           8
        .value_kind:     global_buffer
      - .offset:         64
        .size:           4
        .value_kind:     hidden_block_count_x
      - .offset:         68
        .size:           4
        .value_kind:     hidden_block_count_y
      - .offset:         72
        .size:           4
        .value_kind:     hidden_block_count_z
      - .offset:         76
        .size:           2
        .value_kind:     hidden_group_size_x
      - .offset:         78
        .size:           2
        .value_kind:     hidden_group_size_y
      - .offset:         80
        .size:           2
        .value_kind:     hidden_group_size_z
      - .offset:         82
        .size:           2
        .value_kind:     hidden_remainder_x
      - .offset:         84
        .size:           2
        .value_kind:     hidden_remainder_y
      - .offset:         86
        .size:           2
        .value_kind:     hidden_remainder_z
      - .offset:         104
        .size:           8
        .value_kind:     hidden_global_offset_x
      - .offset:         112
        .size:           8
        .value_kind:     hidden_global_offset_y
      - .offset:         120
        .size:           8
        .value_kind:     hidden_global_offset_z
      - .offset:         128
        .size:           2
        .value_kind:     hidden_grid_dims
    .group_segment_fixed_size: 0
    .kernarg_segment_align: 8
    .kernarg_segment_size: 320
    .language:       OpenCL C
    .language_version:
      - 2
      - 0
    .max_flat_workgroup_size: 64
    .name:           _ZN2at6native12_GLOBAL__N_135GammaBetaBackwardCUDAKernelTemplateIffLj64ELj1ELj32ELb1ELb1ELb1EEEvllPKT_S5_PKT0_S8_PS3_S9_
    .private_segment_fixed_size: 0
    .sgpr_count:     25
    .sgpr_spill_count: 0
    .symbol:         _ZN2at6native12_GLOBAL__N_135GammaBetaBackwardCUDAKernelTemplateIffLj64ELj1ELj32ELb1ELb1ELb1EEEvllPKT_S5_PKT0_S8_PS3_S9_.kd
    .uniform_work_group_size: 1
    .uses_dynamic_stack: false
    .vgpr_count:     96
    .vgpr_spill_count: 0
    .wavefront_size: 32
    .workgroup_processor_mode: 1
  - .args:
      - .offset:         0
        .size:           8
        .value_kind:     by_value
      - .offset:         8
        .size:           8
        .value_kind:     by_value
      - .actual_access:  read_only
        .address_space:  global
        .offset:         16
        .size:           8
        .value_kind:     global_buffer
      - .actual_access:  read_only
        .address_space:  global
        .offset:         24
        .size:           8
        .value_kind:     global_buffer
      - .actual_access:  read_only
        .address_space:  global
        .offset:         32
        .size:           8
        .value_kind:     global_buffer
      - .actual_access:  read_only
        .address_space:  global
        .offset:         40
        .size:           8
        .value_kind:     global_buffer
      - .actual_access:  write_only
        .address_space:  global
        .offset:         48
        .size:           8
        .value_kind:     global_buffer
      - .actual_access:  read_only
        .address_space:  global
        .offset:         56
        .size:           8
        .value_kind:     global_buffer
      - .offset:         64
        .size:           4
        .value_kind:     hidden_block_count_x
      - .offset:         68
        .size:           4
        .value_kind:     hidden_block_count_y
      - .offset:         72
        .size:           4
        .value_kind:     hidden_block_count_z
      - .offset:         76
        .size:           2
        .value_kind:     hidden_group_size_x
      - .offset:         78
        .size:           2
        .value_kind:     hidden_group_size_y
      - .offset:         80
        .size:           2
        .value_kind:     hidden_group_size_z
      - .offset:         82
        .size:           2
        .value_kind:     hidden_remainder_x
      - .offset:         84
        .size:           2
        .value_kind:     hidden_remainder_y
      - .offset:         86
        .size:           2
        .value_kind:     hidden_remainder_z
      - .offset:         104
        .size:           8
        .value_kind:     hidden_global_offset_x
      - .offset:         112
        .size:           8
        .value_kind:     hidden_global_offset_y
      - .offset:         120
        .size:           8
        .value_kind:     hidden_global_offset_z
      - .offset:         128
        .size:           2
        .value_kind:     hidden_grid_dims
    .group_segment_fixed_size: 0
    .kernarg_segment_align: 8
    .kernarg_segment_size: 320
    .language:       OpenCL C
    .language_version:
      - 2
      - 0
    .max_flat_workgroup_size: 64
    .name:           _ZN2at6native12_GLOBAL__N_135GammaBetaBackwardCUDAKernelTemplateIffLj64ELj1ELj32ELb1ELb0ELb1EEEvllPKT_S5_PKT0_S8_PS3_S9_
    .private_segment_fixed_size: 304
    .sgpr_count:     34
    .sgpr_spill_count: 0
    .symbol:         _ZN2at6native12_GLOBAL__N_135GammaBetaBackwardCUDAKernelTemplateIffLj64ELj1ELj32ELb1ELb0ELb1EEEvllPKT_S5_PKT0_S8_PS3_S9_.kd
    .uniform_work_group_size: 1
    .uses_dynamic_stack: false
    .vgpr_count:     256
    .vgpr_spill_count: 147
    .wavefront_size: 32
    .workgroup_processor_mode: 1
  - .args:
      - .offset:         0
        .size:           8
        .value_kind:     by_value
      - .offset:         8
        .size:           8
        .value_kind:     by_value
      - .actual_access:  read_only
        .address_space:  global
        .offset:         16
        .size:           8
        .value_kind:     global_buffer
      - .actual_access:  read_only
        .address_space:  global
        .offset:         24
        .size:           8
        .value_kind:     global_buffer
      - .actual_access:  read_only
        .address_space:  global
        .offset:         32
        .size:           8
        .value_kind:     global_buffer
      - .actual_access:  read_only
        .address_space:  global
        .offset:         40
        .size:           8
        .value_kind:     global_buffer
      - .actual_access:  write_only
        .address_space:  global
        .offset:         48
        .size:           8
        .value_kind:     global_buffer
      - .actual_access:  read_only
        .address_space:  global
        .offset:         56
        .size:           8
        .value_kind:     global_buffer
      - .offset:         64
        .size:           4
        .value_kind:     hidden_block_count_x
      - .offset:         68
        .size:           4
        .value_kind:     hidden_block_count_y
      - .offset:         72
        .size:           4
        .value_kind:     hidden_block_count_z
      - .offset:         76
        .size:           2
        .value_kind:     hidden_group_size_x
      - .offset:         78
        .size:           2
        .value_kind:     hidden_group_size_y
      - .offset:         80
        .size:           2
        .value_kind:     hidden_group_size_z
      - .offset:         82
        .size:           2
        .value_kind:     hidden_remainder_x
      - .offset:         84
        .size:           2
        .value_kind:     hidden_remainder_y
      - .offset:         86
        .size:           2
        .value_kind:     hidden_remainder_z
      - .offset:         104
        .size:           8
        .value_kind:     hidden_global_offset_x
      - .offset:         112
        .size:           8
        .value_kind:     hidden_global_offset_y
      - .offset:         120
        .size:           8
        .value_kind:     hidden_global_offset_z
      - .offset:         128
        .size:           2
        .value_kind:     hidden_grid_dims
    .group_segment_fixed_size: 0
    .kernarg_segment_align: 8
    .kernarg_segment_size: 320
    .language:       OpenCL C
    .language_version:
      - 2
      - 0
    .max_flat_workgroup_size: 64
    .name:           _ZN2at6native12_GLOBAL__N_135GammaBetaBackwardCUDAKernelTemplateIffLj64ELj1ELj8ELb1ELb1ELb1EEEvllPKT_S5_PKT0_S8_PS3_S9_
    .private_segment_fixed_size: 0
    .sgpr_count:     27
    .sgpr_spill_count: 0
    .symbol:         _ZN2at6native12_GLOBAL__N_135GammaBetaBackwardCUDAKernelTemplateIffLj64ELj1ELj8ELb1ELb1ELb1EEEvllPKT_S5_PKT0_S8_PS3_S9_.kd
    .uniform_work_group_size: 1
    .uses_dynamic_stack: false
    .vgpr_count:     40
    .vgpr_spill_count: 0
    .wavefront_size: 32
    .workgroup_processor_mode: 1
  - .args:
      - .offset:         0
        .size:           8
        .value_kind:     by_value
      - .offset:         8
        .size:           8
        .value_kind:     by_value
      - .actual_access:  read_only
        .address_space:  global
        .offset:         16
        .size:           8
        .value_kind:     global_buffer
      - .actual_access:  read_only
        .address_space:  global
        .offset:         24
        .size:           8
        .value_kind:     global_buffer
      - .actual_access:  read_only
        .address_space:  global
        .offset:         32
        .size:           8
        .value_kind:     global_buffer
      - .actual_access:  read_only
        .address_space:  global
        .offset:         40
        .size:           8
        .value_kind:     global_buffer
      - .actual_access:  write_only
        .address_space:  global
        .offset:         48
        .size:           8
        .value_kind:     global_buffer
      - .actual_access:  read_only
        .address_space:  global
        .offset:         56
        .size:           8
        .value_kind:     global_buffer
      - .offset:         64
        .size:           4
        .value_kind:     hidden_block_count_x
      - .offset:         68
        .size:           4
        .value_kind:     hidden_block_count_y
      - .offset:         72
        .size:           4
        .value_kind:     hidden_block_count_z
      - .offset:         76
        .size:           2
        .value_kind:     hidden_group_size_x
      - .offset:         78
        .size:           2
        .value_kind:     hidden_group_size_y
      - .offset:         80
        .size:           2
        .value_kind:     hidden_group_size_z
      - .offset:         82
        .size:           2
        .value_kind:     hidden_remainder_x
      - .offset:         84
        .size:           2
        .value_kind:     hidden_remainder_y
      - .offset:         86
        .size:           2
        .value_kind:     hidden_remainder_z
      - .offset:         104
        .size:           8
        .value_kind:     hidden_global_offset_x
      - .offset:         112
        .size:           8
        .value_kind:     hidden_global_offset_y
      - .offset:         120
        .size:           8
        .value_kind:     hidden_global_offset_z
      - .offset:         128
        .size:           2
        .value_kind:     hidden_grid_dims
    .group_segment_fixed_size: 0
    .kernarg_segment_align: 8
    .kernarg_segment_size: 320
    .language:       OpenCL C
    .language_version:
      - 2
      - 0
    .max_flat_workgroup_size: 64
    .name:           _ZN2at6native12_GLOBAL__N_135GammaBetaBackwardCUDAKernelTemplateIffLj64ELj1ELj8ELb1ELb0ELb1EEEvllPKT_S5_PKT0_S8_PS3_S9_
    .private_segment_fixed_size: 0
    .sgpr_count:     34
    .sgpr_spill_count: 0
    .symbol:         _ZN2at6native12_GLOBAL__N_135GammaBetaBackwardCUDAKernelTemplateIffLj64ELj1ELj8ELb1ELb0ELb1EEEvllPKT_S5_PKT0_S8_PS3_S9_.kd
    .uniform_work_group_size: 1
    .uses_dynamic_stack: false
    .vgpr_count:     93
    .vgpr_spill_count: 0
    .wavefront_size: 32
    .workgroup_processor_mode: 1
  - .args:
      - .offset:         0
        .size:           8
        .value_kind:     by_value
      - .offset:         8
        .size:           8
        .value_kind:     by_value
      - .actual_access:  read_only
        .address_space:  global
        .offset:         16
        .size:           8
        .value_kind:     global_buffer
      - .actual_access:  read_only
        .address_space:  global
        .offset:         24
        .size:           8
        .value_kind:     global_buffer
      - .actual_access:  read_only
        .address_space:  global
        .offset:         32
        .size:           8
        .value_kind:     global_buffer
      - .actual_access:  read_only
        .address_space:  global
        .offset:         40
        .size:           8
        .value_kind:     global_buffer
      - .actual_access:  write_only
        .address_space:  global
        .offset:         48
        .size:           8
        .value_kind:     global_buffer
      - .actual_access:  read_only
        .address_space:  global
        .offset:         56
        .size:           8
        .value_kind:     global_buffer
      - .offset:         64
        .size:           4
        .value_kind:     hidden_block_count_x
      - .offset:         68
        .size:           4
        .value_kind:     hidden_block_count_y
      - .offset:         72
        .size:           4
        .value_kind:     hidden_block_count_z
      - .offset:         76
        .size:           2
        .value_kind:     hidden_group_size_x
      - .offset:         78
        .size:           2
        .value_kind:     hidden_group_size_y
      - .offset:         80
        .size:           2
        .value_kind:     hidden_group_size_z
      - .offset:         82
        .size:           2
        .value_kind:     hidden_remainder_x
      - .offset:         84
        .size:           2
        .value_kind:     hidden_remainder_y
      - .offset:         86
        .size:           2
        .value_kind:     hidden_remainder_z
      - .offset:         104
        .size:           8
        .value_kind:     hidden_global_offset_x
      - .offset:         112
        .size:           8
        .value_kind:     hidden_global_offset_y
      - .offset:         120
        .size:           8
        .value_kind:     hidden_global_offset_z
      - .offset:         128
        .size:           2
        .value_kind:     hidden_grid_dims
      - .offset:         184
        .size:           4
        .value_kind:     hidden_dynamic_lds_size
    .group_segment_fixed_size: 0
    .kernarg_segment_align: 8
    .kernarg_segment_size: 320
    .language:       OpenCL C
    .language_version:
      - 2
      - 0
    .max_flat_workgroup_size: 512
    .name:           _ZN2at6native12_GLOBAL__N_135GammaBetaBackwardCUDAKernelTemplateIffLj64ELj8ELj64ELb0ELb1ELb1EEEvllPKT_S5_PKT0_S8_PS3_S9_
    .private_segment_fixed_size: 0
    .sgpr_count:     23
    .sgpr_spill_count: 0
    .symbol:         _ZN2at6native12_GLOBAL__N_135GammaBetaBackwardCUDAKernelTemplateIffLj64ELj8ELj64ELb0ELb1ELb1EEEvllPKT_S5_PKT0_S8_PS3_S9_.kd
    .uniform_work_group_size: 1
    .uses_dynamic_stack: false
    .vgpr_count:     40
    .vgpr_spill_count: 0
    .wavefront_size: 32
    .workgroup_processor_mode: 1
  - .args:
      - .offset:         0
        .size:           8
        .value_kind:     by_value
      - .offset:         8
        .size:           8
        .value_kind:     by_value
      - .actual_access:  read_only
        .address_space:  global
        .offset:         16
        .size:           8
        .value_kind:     global_buffer
      - .actual_access:  read_only
        .address_space:  global
        .offset:         24
        .size:           8
        .value_kind:     global_buffer
      - .actual_access:  read_only
        .address_space:  global
        .offset:         32
        .size:           8
        .value_kind:     global_buffer
      - .actual_access:  read_only
        .address_space:  global
        .offset:         40
        .size:           8
        .value_kind:     global_buffer
      - .actual_access:  write_only
        .address_space:  global
        .offset:         48
        .size:           8
        .value_kind:     global_buffer
      - .actual_access:  read_only
        .address_space:  global
        .offset:         56
        .size:           8
        .value_kind:     global_buffer
      - .offset:         64
        .size:           4
        .value_kind:     hidden_block_count_x
      - .offset:         68
        .size:           4
        .value_kind:     hidden_block_count_y
      - .offset:         72
        .size:           4
        .value_kind:     hidden_block_count_z
      - .offset:         76
        .size:           2
        .value_kind:     hidden_group_size_x
      - .offset:         78
        .size:           2
        .value_kind:     hidden_group_size_y
      - .offset:         80
        .size:           2
        .value_kind:     hidden_group_size_z
      - .offset:         82
        .size:           2
        .value_kind:     hidden_remainder_x
      - .offset:         84
        .size:           2
        .value_kind:     hidden_remainder_y
      - .offset:         86
        .size:           2
        .value_kind:     hidden_remainder_z
      - .offset:         104
        .size:           8
        .value_kind:     hidden_global_offset_x
      - .offset:         112
        .size:           8
        .value_kind:     hidden_global_offset_y
      - .offset:         120
        .size:           8
        .value_kind:     hidden_global_offset_z
      - .offset:         128
        .size:           2
        .value_kind:     hidden_grid_dims
      - .offset:         184
        .size:           4
        .value_kind:     hidden_dynamic_lds_size
    .group_segment_fixed_size: 0
    .kernarg_segment_align: 8
    .kernarg_segment_size: 320
    .language:       OpenCL C
    .language_version:
      - 2
      - 0
    .max_flat_workgroup_size: 512
    .name:           _ZN2at6native12_GLOBAL__N_135GammaBetaBackwardCUDAKernelTemplateIffLj64ELj8ELj64ELb0ELb0ELb1EEEvllPKT_S5_PKT0_S8_PS3_S9_
    .private_segment_fixed_size: 0
    .sgpr_count:     34
    .sgpr_spill_count: 0
    .symbol:         _ZN2at6native12_GLOBAL__N_135GammaBetaBackwardCUDAKernelTemplateIffLj64ELj8ELj64ELb0ELb0ELb1EEEvllPKT_S5_PKT0_S8_PS3_S9_.kd
    .uniform_work_group_size: 1
    .uses_dynamic_stack: false
    .vgpr_count:     92
    .vgpr_spill_count: 0
    .wavefront_size: 32
    .workgroup_processor_mode: 1
  - .args:
      - .offset:         0
        .size:           8
        .value_kind:     by_value
      - .offset:         8
        .size:           8
        .value_kind:     by_value
      - .actual_access:  read_only
        .address_space:  global
        .offset:         16
        .size:           8
        .value_kind:     global_buffer
      - .actual_access:  read_only
        .address_space:  global
        .offset:         24
        .size:           8
        .value_kind:     global_buffer
      - .actual_access:  read_only
        .address_space:  global
        .offset:         32
        .size:           8
        .value_kind:     global_buffer
      - .actual_access:  read_only
        .address_space:  global
        .offset:         40
        .size:           8
        .value_kind:     global_buffer
      - .actual_access:  write_only
        .address_space:  global
        .offset:         48
        .size:           8
        .value_kind:     global_buffer
      - .actual_access:  read_only
        .address_space:  global
        .offset:         56
        .size:           8
        .value_kind:     global_buffer
      - .offset:         64
        .size:           4
        .value_kind:     hidden_block_count_x
      - .offset:         68
        .size:           4
        .value_kind:     hidden_block_count_y
      - .offset:         72
        .size:           4
        .value_kind:     hidden_block_count_z
      - .offset:         76
        .size:           2
        .value_kind:     hidden_group_size_x
      - .offset:         78
        .size:           2
        .value_kind:     hidden_group_size_y
      - .offset:         80
        .size:           2
        .value_kind:     hidden_group_size_z
      - .offset:         82
        .size:           2
        .value_kind:     hidden_remainder_x
      - .offset:         84
        .size:           2
        .value_kind:     hidden_remainder_y
      - .offset:         86
        .size:           2
        .value_kind:     hidden_remainder_z
      - .offset:         104
        .size:           8
        .value_kind:     hidden_global_offset_x
      - .offset:         112
        .size:           8
        .value_kind:     hidden_global_offset_y
      - .offset:         120
        .size:           8
        .value_kind:     hidden_global_offset_z
      - .offset:         128
        .size:           2
        .value_kind:     hidden_grid_dims
      - .offset:         184
        .size:           4
        .value_kind:     hidden_dynamic_lds_size
    .group_segment_fixed_size: 0
    .kernarg_segment_align: 8
    .kernarg_segment_size: 320
    .language:       OpenCL C
    .language_version:
      - 2
      - 0
    .max_flat_workgroup_size: 1024
    .name:           _ZN2at6native12_GLOBAL__N_135GammaBetaBackwardCUDAKernelTemplateIffLj64ELj16ELj128ELb0ELb1ELb1EEEvllPKT_S5_PKT0_S8_PS3_S9_
    .private_segment_fixed_size: 0
    .sgpr_count:     23
    .sgpr_spill_count: 0
    .symbol:         _ZN2at6native12_GLOBAL__N_135GammaBetaBackwardCUDAKernelTemplateIffLj64ELj16ELj128ELb0ELb1ELb1EEEvllPKT_S5_PKT0_S8_PS3_S9_.kd
    .uniform_work_group_size: 1
    .uses_dynamic_stack: false
    .vgpr_count:     40
    .vgpr_spill_count: 0
    .wavefront_size: 32
    .workgroup_processor_mode: 1
  - .args:
      - .offset:         0
        .size:           8
        .value_kind:     by_value
      - .offset:         8
        .size:           8
        .value_kind:     by_value
      - .actual_access:  read_only
        .address_space:  global
        .offset:         16
        .size:           8
        .value_kind:     global_buffer
      - .actual_access:  read_only
        .address_space:  global
        .offset:         24
        .size:           8
        .value_kind:     global_buffer
      - .actual_access:  read_only
        .address_space:  global
        .offset:         32
        .size:           8
        .value_kind:     global_buffer
      - .actual_access:  read_only
        .address_space:  global
        .offset:         40
        .size:           8
        .value_kind:     global_buffer
      - .actual_access:  write_only
        .address_space:  global
        .offset:         48
        .size:           8
        .value_kind:     global_buffer
      - .actual_access:  read_only
        .address_space:  global
        .offset:         56
        .size:           8
        .value_kind:     global_buffer
      - .offset:         64
        .size:           4
        .value_kind:     hidden_block_count_x
      - .offset:         68
        .size:           4
        .value_kind:     hidden_block_count_y
      - .offset:         72
        .size:           4
        .value_kind:     hidden_block_count_z
      - .offset:         76
        .size:           2
        .value_kind:     hidden_group_size_x
      - .offset:         78
        .size:           2
        .value_kind:     hidden_group_size_y
      - .offset:         80
        .size:           2
        .value_kind:     hidden_group_size_z
      - .offset:         82
        .size:           2
        .value_kind:     hidden_remainder_x
      - .offset:         84
        .size:           2
        .value_kind:     hidden_remainder_y
      - .offset:         86
        .size:           2
        .value_kind:     hidden_remainder_z
      - .offset:         104
        .size:           8
        .value_kind:     hidden_global_offset_x
      - .offset:         112
        .size:           8
        .value_kind:     hidden_global_offset_y
      - .offset:         120
        .size:           8
        .value_kind:     hidden_global_offset_z
      - .offset:         128
        .size:           2
        .value_kind:     hidden_grid_dims
      - .offset:         184
        .size:           4
        .value_kind:     hidden_dynamic_lds_size
    .group_segment_fixed_size: 0
    .kernarg_segment_align: 8
    .kernarg_segment_size: 320
    .language:       OpenCL C
    .language_version:
      - 2
      - 0
    .max_flat_workgroup_size: 1024
    .name:           _ZN2at6native12_GLOBAL__N_135GammaBetaBackwardCUDAKernelTemplateIffLj64ELj16ELj128ELb0ELb0ELb1EEEvllPKT_S5_PKT0_S8_PS3_S9_
    .private_segment_fixed_size: 0
    .sgpr_count:     34
    .sgpr_spill_count: 0
    .symbol:         _ZN2at6native12_GLOBAL__N_135GammaBetaBackwardCUDAKernelTemplateIffLj64ELj16ELj128ELb0ELb0ELb1EEEvllPKT_S5_PKT0_S8_PS3_S9_.kd
    .uniform_work_group_size: 1
    .uses_dynamic_stack: false
    .vgpr_count:     92
    .vgpr_spill_count: 0
    .wavefront_size: 32
    .workgroup_processor_mode: 1
  - .args:
      - .offset:         0
        .size:           8
        .value_kind:     by_value
      - .offset:         8
        .size:           8
        .value_kind:     by_value
      - .actual_access:  read_only
        .address_space:  global
        .offset:         16
        .size:           8
        .value_kind:     global_buffer
      - .actual_access:  read_only
        .address_space:  global
        .offset:         24
        .size:           8
        .value_kind:     global_buffer
      - .actual_access:  read_only
        .address_space:  global
        .offset:         32
        .size:           8
        .value_kind:     global_buffer
      - .actual_access:  read_only
        .address_space:  global
        .offset:         40
        .size:           8
        .value_kind:     global_buffer
      - .actual_access:  write_only
        .address_space:  global
        .offset:         48
        .size:           8
        .value_kind:     global_buffer
      - .actual_access:  read_only
        .address_space:  global
        .offset:         56
        .size:           8
        .value_kind:     global_buffer
      - .offset:         64
        .size:           4
        .value_kind:     hidden_block_count_x
      - .offset:         68
        .size:           4
        .value_kind:     hidden_block_count_y
      - .offset:         72
        .size:           4
        .value_kind:     hidden_block_count_z
      - .offset:         76
        .size:           2
        .value_kind:     hidden_group_size_x
      - .offset:         78
        .size:           2
        .value_kind:     hidden_group_size_y
      - .offset:         80
        .size:           2
        .value_kind:     hidden_group_size_z
      - .offset:         82
        .size:           2
        .value_kind:     hidden_remainder_x
      - .offset:         84
        .size:           2
        .value_kind:     hidden_remainder_y
      - .offset:         86
        .size:           2
        .value_kind:     hidden_remainder_z
      - .offset:         104
        .size:           8
        .value_kind:     hidden_global_offset_x
      - .offset:         112
        .size:           8
        .value_kind:     hidden_global_offset_y
      - .offset:         120
        .size:           8
        .value_kind:     hidden_global_offset_z
      - .offset:         128
        .size:           2
        .value_kind:     hidden_grid_dims
      - .offset:         184
        .size:           4
        .value_kind:     hidden_dynamic_lds_size
    .group_segment_fixed_size: 0
    .kernarg_segment_align: 8
    .kernarg_segment_size: 320
    .language:       OpenCL C
    .language_version:
      - 2
      - 0
    .max_flat_workgroup_size: 1024
    .name:           _ZN2at6native12_GLOBAL__N_135GammaBetaBackwardCUDAKernelTemplateIffLj64ELj16ELj256ELb0ELb1ELb1EEEvllPKT_S5_PKT0_S8_PS3_S9_
    .private_segment_fixed_size: 0
    .sgpr_count:     23
    .sgpr_spill_count: 0
    .symbol:         _ZN2at6native12_GLOBAL__N_135GammaBetaBackwardCUDAKernelTemplateIffLj64ELj16ELj256ELb0ELb1ELb1EEEvllPKT_S5_PKT0_S8_PS3_S9_.kd
    .uniform_work_group_size: 1
    .uses_dynamic_stack: false
    .vgpr_count:     64
    .vgpr_spill_count: 0
    .wavefront_size: 32
    .workgroup_processor_mode: 1
  - .args:
      - .offset:         0
        .size:           8
        .value_kind:     by_value
      - .offset:         8
        .size:           8
        .value_kind:     by_value
      - .actual_access:  read_only
        .address_space:  global
        .offset:         16
        .size:           8
        .value_kind:     global_buffer
      - .actual_access:  read_only
        .address_space:  global
        .offset:         24
        .size:           8
        .value_kind:     global_buffer
      - .actual_access:  read_only
        .address_space:  global
        .offset:         32
        .size:           8
        .value_kind:     global_buffer
      - .actual_access:  read_only
        .address_space:  global
        .offset:         40
        .size:           8
        .value_kind:     global_buffer
      - .actual_access:  write_only
        .address_space:  global
        .offset:         48
        .size:           8
        .value_kind:     global_buffer
      - .actual_access:  read_only
        .address_space:  global
        .offset:         56
        .size:           8
        .value_kind:     global_buffer
      - .offset:         64
        .size:           4
        .value_kind:     hidden_block_count_x
      - .offset:         68
        .size:           4
        .value_kind:     hidden_block_count_y
      - .offset:         72
        .size:           4
        .value_kind:     hidden_block_count_z
      - .offset:         76
        .size:           2
        .value_kind:     hidden_group_size_x
      - .offset:         78
        .size:           2
        .value_kind:     hidden_group_size_y
      - .offset:         80
        .size:           2
        .value_kind:     hidden_group_size_z
      - .offset:         82
        .size:           2
        .value_kind:     hidden_remainder_x
      - .offset:         84
        .size:           2
        .value_kind:     hidden_remainder_y
      - .offset:         86
        .size:           2
        .value_kind:     hidden_remainder_z
      - .offset:         104
        .size:           8
        .value_kind:     hidden_global_offset_x
      - .offset:         112
        .size:           8
        .value_kind:     hidden_global_offset_y
      - .offset:         120
        .size:           8
        .value_kind:     hidden_global_offset_z
      - .offset:         128
        .size:           2
        .value_kind:     hidden_grid_dims
      - .offset:         184
        .size:           4
        .value_kind:     hidden_dynamic_lds_size
    .group_segment_fixed_size: 0
    .kernarg_segment_align: 8
    .kernarg_segment_size: 320
    .language:       OpenCL C
    .language_version:
      - 2
      - 0
    .max_flat_workgroup_size: 1024
    .name:           _ZN2at6native12_GLOBAL__N_135GammaBetaBackwardCUDAKernelTemplateIffLj64ELj16ELj256ELb0ELb0ELb1EEEvllPKT_S5_PKT0_S8_PS3_S9_
    .private_segment_fixed_size: 0
    .sgpr_count:     34
    .sgpr_spill_count: 0
    .symbol:         _ZN2at6native12_GLOBAL__N_135GammaBetaBackwardCUDAKernelTemplateIffLj64ELj16ELj256ELb0ELb0ELb1EEEvllPKT_S5_PKT0_S8_PS3_S9_.kd
    .uniform_work_group_size: 1
    .uses_dynamic_stack: false
    .vgpr_count:     172
    .vgpr_spill_count: 0
    .wavefront_size: 32
    .workgroup_processor_mode: 1
  - .args:
      - .offset:         0
        .size:           8
        .value_kind:     by_value
      - .offset:         8
        .size:           8
        .value_kind:     by_value
      - .actual_access:  read_only
        .address_space:  global
        .offset:         16
        .size:           8
        .value_kind:     global_buffer
      - .actual_access:  read_only
        .address_space:  global
        .offset:         24
        .size:           8
        .value_kind:     global_buffer
      - .actual_access:  read_only
        .address_space:  global
        .offset:         32
        .size:           8
        .value_kind:     global_buffer
      - .actual_access:  read_only
        .address_space:  global
        .offset:         40
        .size:           8
        .value_kind:     global_buffer
      - .actual_access:  write_only
        .address_space:  global
        .offset:         48
        .size:           8
        .value_kind:     global_buffer
      - .actual_access:  read_only
        .address_space:  global
        .offset:         56
        .size:           8
        .value_kind:     global_buffer
      - .offset:         64
        .size:           4
        .value_kind:     hidden_block_count_x
      - .offset:         68
        .size:           4
        .value_kind:     hidden_block_count_y
      - .offset:         72
        .size:           4
        .value_kind:     hidden_block_count_z
      - .offset:         76
        .size:           2
        .value_kind:     hidden_group_size_x
      - .offset:         78
        .size:           2
        .value_kind:     hidden_group_size_y
      - .offset:         80
        .size:           2
        .value_kind:     hidden_group_size_z
      - .offset:         82
        .size:           2
        .value_kind:     hidden_remainder_x
      - .offset:         84
        .size:           2
        .value_kind:     hidden_remainder_y
      - .offset:         86
        .size:           2
        .value_kind:     hidden_remainder_z
      - .offset:         104
        .size:           8
        .value_kind:     hidden_global_offset_x
      - .offset:         112
        .size:           8
        .value_kind:     hidden_global_offset_y
      - .offset:         120
        .size:           8
        .value_kind:     hidden_global_offset_z
      - .offset:         128
        .size:           2
        .value_kind:     hidden_grid_dims
    .group_segment_fixed_size: 0
    .kernarg_segment_align: 8
    .kernarg_segment_size: 320
    .language:       OpenCL C
    .language_version:
      - 2
      - 0
    .max_flat_workgroup_size: 32
    .name:           _ZN2at6native12_GLOBAL__N_135GammaBetaBackwardCUDAKernelTemplateIffLj32ELj1ELj32ELb1ELb1ELb1EEEvllPKT_S5_PKT0_S8_PS3_S9_
    .private_segment_fixed_size: 0
    .sgpr_count:     25
    .sgpr_spill_count: 0
    .symbol:         _ZN2at6native12_GLOBAL__N_135GammaBetaBackwardCUDAKernelTemplateIffLj32ELj1ELj32ELb1ELb1ELb1EEEvllPKT_S5_PKT0_S8_PS3_S9_.kd
    .uniform_work_group_size: 1
    .uses_dynamic_stack: false
    .vgpr_count:     96
    .vgpr_spill_count: 0
    .wavefront_size: 32
    .workgroup_processor_mode: 1
  - .args:
      - .offset:         0
        .size:           8
        .value_kind:     by_value
      - .offset:         8
        .size:           8
        .value_kind:     by_value
      - .actual_access:  read_only
        .address_space:  global
        .offset:         16
        .size:           8
        .value_kind:     global_buffer
      - .actual_access:  read_only
        .address_space:  global
        .offset:         24
        .size:           8
        .value_kind:     global_buffer
      - .actual_access:  read_only
        .address_space:  global
        .offset:         32
        .size:           8
        .value_kind:     global_buffer
      - .actual_access:  read_only
        .address_space:  global
        .offset:         40
        .size:           8
        .value_kind:     global_buffer
      - .actual_access:  write_only
        .address_space:  global
        .offset:         48
        .size:           8
        .value_kind:     global_buffer
      - .actual_access:  read_only
        .address_space:  global
        .offset:         56
        .size:           8
        .value_kind:     global_buffer
      - .offset:         64
        .size:           4
        .value_kind:     hidden_block_count_x
      - .offset:         68
        .size:           4
        .value_kind:     hidden_block_count_y
      - .offset:         72
        .size:           4
        .value_kind:     hidden_block_count_z
      - .offset:         76
        .size:           2
        .value_kind:     hidden_group_size_x
      - .offset:         78
        .size:           2
        .value_kind:     hidden_group_size_y
      - .offset:         80
        .size:           2
        .value_kind:     hidden_group_size_z
      - .offset:         82
        .size:           2
        .value_kind:     hidden_remainder_x
      - .offset:         84
        .size:           2
        .value_kind:     hidden_remainder_y
      - .offset:         86
        .size:           2
        .value_kind:     hidden_remainder_z
      - .offset:         104
        .size:           8
        .value_kind:     hidden_global_offset_x
      - .offset:         112
        .size:           8
        .value_kind:     hidden_global_offset_y
      - .offset:         120
        .size:           8
        .value_kind:     hidden_global_offset_z
      - .offset:         128
        .size:           2
        .value_kind:     hidden_grid_dims
    .group_segment_fixed_size: 0
    .kernarg_segment_align: 8
    .kernarg_segment_size: 320
    .language:       OpenCL C
    .language_version:
      - 2
      - 0
    .max_flat_workgroup_size: 32
    .name:           _ZN2at6native12_GLOBAL__N_135GammaBetaBackwardCUDAKernelTemplateIffLj32ELj1ELj32ELb1ELb0ELb1EEEvllPKT_S5_PKT0_S8_PS3_S9_
    .private_segment_fixed_size: 304
    .sgpr_count:     34
    .sgpr_spill_count: 0
    .symbol:         _ZN2at6native12_GLOBAL__N_135GammaBetaBackwardCUDAKernelTemplateIffLj32ELj1ELj32ELb1ELb0ELb1EEEvllPKT_S5_PKT0_S8_PS3_S9_.kd
    .uniform_work_group_size: 1
    .uses_dynamic_stack: false
    .vgpr_count:     256
    .vgpr_spill_count: 147
    .wavefront_size: 32
    .workgroup_processor_mode: 1
  - .args:
      - .offset:         0
        .size:           8
        .value_kind:     by_value
      - .offset:         8
        .size:           8
        .value_kind:     by_value
      - .actual_access:  read_only
        .address_space:  global
        .offset:         16
        .size:           8
        .value_kind:     global_buffer
      - .actual_access:  read_only
        .address_space:  global
        .offset:         24
        .size:           8
        .value_kind:     global_buffer
      - .actual_access:  read_only
        .address_space:  global
        .offset:         32
        .size:           8
        .value_kind:     global_buffer
      - .actual_access:  read_only
        .address_space:  global
        .offset:         40
        .size:           8
        .value_kind:     global_buffer
      - .actual_access:  write_only
        .address_space:  global
        .offset:         48
        .size:           8
        .value_kind:     global_buffer
      - .actual_access:  read_only
        .address_space:  global
        .offset:         56
        .size:           8
        .value_kind:     global_buffer
      - .offset:         64
        .size:           4
        .value_kind:     hidden_block_count_x
      - .offset:         68
        .size:           4
        .value_kind:     hidden_block_count_y
      - .offset:         72
        .size:           4
        .value_kind:     hidden_block_count_z
      - .offset:         76
        .size:           2
        .value_kind:     hidden_group_size_x
      - .offset:         78
        .size:           2
        .value_kind:     hidden_group_size_y
      - .offset:         80
        .size:           2
        .value_kind:     hidden_group_size_z
      - .offset:         82
        .size:           2
        .value_kind:     hidden_remainder_x
      - .offset:         84
        .size:           2
        .value_kind:     hidden_remainder_y
      - .offset:         86
        .size:           2
        .value_kind:     hidden_remainder_z
      - .offset:         104
        .size:           8
        .value_kind:     hidden_global_offset_x
      - .offset:         112
        .size:           8
        .value_kind:     hidden_global_offset_y
      - .offset:         120
        .size:           8
        .value_kind:     hidden_global_offset_z
      - .offset:         128
        .size:           2
        .value_kind:     hidden_grid_dims
    .group_segment_fixed_size: 0
    .kernarg_segment_align: 8
    .kernarg_segment_size: 320
    .language:       OpenCL C
    .language_version:
      - 2
      - 0
    .max_flat_workgroup_size: 32
    .name:           _ZN2at6native12_GLOBAL__N_135GammaBetaBackwardCUDAKernelTemplateIffLj32ELj1ELj8ELb1ELb1ELb1EEEvllPKT_S5_PKT0_S8_PS3_S9_
    .private_segment_fixed_size: 0
    .sgpr_count:     27
    .sgpr_spill_count: 0
    .symbol:         _ZN2at6native12_GLOBAL__N_135GammaBetaBackwardCUDAKernelTemplateIffLj32ELj1ELj8ELb1ELb1ELb1EEEvllPKT_S5_PKT0_S8_PS3_S9_.kd
    .uniform_work_group_size: 1
    .uses_dynamic_stack: false
    .vgpr_count:     40
    .vgpr_spill_count: 0
    .wavefront_size: 32
    .workgroup_processor_mode: 1
  - .args:
      - .offset:         0
        .size:           8
        .value_kind:     by_value
      - .offset:         8
        .size:           8
        .value_kind:     by_value
      - .actual_access:  read_only
        .address_space:  global
        .offset:         16
        .size:           8
        .value_kind:     global_buffer
      - .actual_access:  read_only
        .address_space:  global
        .offset:         24
        .size:           8
        .value_kind:     global_buffer
      - .actual_access:  read_only
        .address_space:  global
        .offset:         32
        .size:           8
        .value_kind:     global_buffer
      - .actual_access:  read_only
        .address_space:  global
        .offset:         40
        .size:           8
        .value_kind:     global_buffer
      - .actual_access:  write_only
        .address_space:  global
        .offset:         48
        .size:           8
        .value_kind:     global_buffer
      - .actual_access:  read_only
        .address_space:  global
        .offset:         56
        .size:           8
        .value_kind:     global_buffer
      - .offset:         64
        .size:           4
        .value_kind:     hidden_block_count_x
      - .offset:         68
        .size:           4
        .value_kind:     hidden_block_count_y
      - .offset:         72
        .size:           4
        .value_kind:     hidden_block_count_z
      - .offset:         76
        .size:           2
        .value_kind:     hidden_group_size_x
      - .offset:         78
        .size:           2
        .value_kind:     hidden_group_size_y
      - .offset:         80
        .size:           2
        .value_kind:     hidden_group_size_z
      - .offset:         82
        .size:           2
        .value_kind:     hidden_remainder_x
      - .offset:         84
        .size:           2
        .value_kind:     hidden_remainder_y
      - .offset:         86
        .size:           2
        .value_kind:     hidden_remainder_z
      - .offset:         104
        .size:           8
        .value_kind:     hidden_global_offset_x
      - .offset:         112
        .size:           8
        .value_kind:     hidden_global_offset_y
      - .offset:         120
        .size:           8
        .value_kind:     hidden_global_offset_z
      - .offset:         128
        .size:           2
        .value_kind:     hidden_grid_dims
    .group_segment_fixed_size: 0
    .kernarg_segment_align: 8
    .kernarg_segment_size: 320
    .language:       OpenCL C
    .language_version:
      - 2
      - 0
    .max_flat_workgroup_size: 32
    .name:           _ZN2at6native12_GLOBAL__N_135GammaBetaBackwardCUDAKernelTemplateIffLj32ELj1ELj8ELb1ELb0ELb1EEEvllPKT_S5_PKT0_S8_PS3_S9_
    .private_segment_fixed_size: 0
    .sgpr_count:     34
    .sgpr_spill_count: 0
    .symbol:         _ZN2at6native12_GLOBAL__N_135GammaBetaBackwardCUDAKernelTemplateIffLj32ELj1ELj8ELb1ELb0ELb1EEEvllPKT_S5_PKT0_S8_PS3_S9_.kd
    .uniform_work_group_size: 1
    .uses_dynamic_stack: false
    .vgpr_count:     93
    .vgpr_spill_count: 0
    .wavefront_size: 32
    .workgroup_processor_mode: 1
  - .args:
      - .offset:         0
        .size:           8
        .value_kind:     by_value
      - .offset:         8
        .size:           8
        .value_kind:     by_value
      - .actual_access:  read_only
        .address_space:  global
        .offset:         16
        .size:           8
        .value_kind:     global_buffer
      - .actual_access:  read_only
        .address_space:  global
        .offset:         24
        .size:           8
        .value_kind:     global_buffer
      - .actual_access:  read_only
        .address_space:  global
        .offset:         32
        .size:           8
        .value_kind:     global_buffer
      - .actual_access:  read_only
        .address_space:  global
        .offset:         40
        .size:           8
        .value_kind:     global_buffer
      - .actual_access:  write_only
        .address_space:  global
        .offset:         48
        .size:           8
        .value_kind:     global_buffer
      - .actual_access:  read_only
        .address_space:  global
        .offset:         56
        .size:           8
        .value_kind:     global_buffer
      - .offset:         64
        .size:           4
        .value_kind:     hidden_block_count_x
      - .offset:         68
        .size:           4
        .value_kind:     hidden_block_count_y
      - .offset:         72
        .size:           4
        .value_kind:     hidden_block_count_z
      - .offset:         76
        .size:           2
        .value_kind:     hidden_group_size_x
      - .offset:         78
        .size:           2
        .value_kind:     hidden_group_size_y
      - .offset:         80
        .size:           2
        .value_kind:     hidden_group_size_z
      - .offset:         82
        .size:           2
        .value_kind:     hidden_remainder_x
      - .offset:         84
        .size:           2
        .value_kind:     hidden_remainder_y
      - .offset:         86
        .size:           2
        .value_kind:     hidden_remainder_z
      - .offset:         104
        .size:           8
        .value_kind:     hidden_global_offset_x
      - .offset:         112
        .size:           8
        .value_kind:     hidden_global_offset_y
      - .offset:         120
        .size:           8
        .value_kind:     hidden_global_offset_z
      - .offset:         128
        .size:           2
        .value_kind:     hidden_grid_dims
      - .offset:         184
        .size:           4
        .value_kind:     hidden_dynamic_lds_size
    .group_segment_fixed_size: 0
    .kernarg_segment_align: 8
    .kernarg_segment_size: 320
    .language:       OpenCL C
    .language_version:
      - 2
      - 0
    .max_flat_workgroup_size: 256
    .name:           _ZN2at6native12_GLOBAL__N_135GammaBetaBackwardCUDAKernelTemplateIffLj32ELj8ELj64ELb0ELb1ELb1EEEvllPKT_S5_PKT0_S8_PS3_S9_
    .private_segment_fixed_size: 0
    .sgpr_count:     23
    .sgpr_spill_count: 0
    .symbol:         _ZN2at6native12_GLOBAL__N_135GammaBetaBackwardCUDAKernelTemplateIffLj32ELj8ELj64ELb0ELb1ELb1EEEvllPKT_S5_PKT0_S8_PS3_S9_.kd
    .uniform_work_group_size: 1
    .uses_dynamic_stack: false
    .vgpr_count:     40
    .vgpr_spill_count: 0
    .wavefront_size: 32
    .workgroup_processor_mode: 1
  - .args:
      - .offset:         0
        .size:           8
        .value_kind:     by_value
      - .offset:         8
        .size:           8
        .value_kind:     by_value
      - .actual_access:  read_only
        .address_space:  global
        .offset:         16
        .size:           8
        .value_kind:     global_buffer
      - .actual_access:  read_only
        .address_space:  global
        .offset:         24
        .size:           8
        .value_kind:     global_buffer
      - .actual_access:  read_only
        .address_space:  global
        .offset:         32
        .size:           8
        .value_kind:     global_buffer
      - .actual_access:  read_only
        .address_space:  global
        .offset:         40
        .size:           8
        .value_kind:     global_buffer
      - .actual_access:  write_only
        .address_space:  global
        .offset:         48
        .size:           8
        .value_kind:     global_buffer
      - .actual_access:  read_only
        .address_space:  global
        .offset:         56
        .size:           8
        .value_kind:     global_buffer
      - .offset:         64
        .size:           4
        .value_kind:     hidden_block_count_x
      - .offset:         68
        .size:           4
        .value_kind:     hidden_block_count_y
      - .offset:         72
        .size:           4
        .value_kind:     hidden_block_count_z
      - .offset:         76
        .size:           2
        .value_kind:     hidden_group_size_x
      - .offset:         78
        .size:           2
        .value_kind:     hidden_group_size_y
      - .offset:         80
        .size:           2
        .value_kind:     hidden_group_size_z
      - .offset:         82
        .size:           2
        .value_kind:     hidden_remainder_x
      - .offset:         84
        .size:           2
        .value_kind:     hidden_remainder_y
      - .offset:         86
        .size:           2
        .value_kind:     hidden_remainder_z
      - .offset:         104
        .size:           8
        .value_kind:     hidden_global_offset_x
      - .offset:         112
        .size:           8
        .value_kind:     hidden_global_offset_y
      - .offset:         120
        .size:           8
        .value_kind:     hidden_global_offset_z
      - .offset:         128
        .size:           2
        .value_kind:     hidden_grid_dims
      - .offset:         184
        .size:           4
        .value_kind:     hidden_dynamic_lds_size
    .group_segment_fixed_size: 0
    .kernarg_segment_align: 8
    .kernarg_segment_size: 320
    .language:       OpenCL C
    .language_version:
      - 2
      - 0
    .max_flat_workgroup_size: 256
    .name:           _ZN2at6native12_GLOBAL__N_135GammaBetaBackwardCUDAKernelTemplateIffLj32ELj8ELj64ELb0ELb0ELb1EEEvllPKT_S5_PKT0_S8_PS3_S9_
    .private_segment_fixed_size: 0
    .sgpr_count:     34
    .sgpr_spill_count: 0
    .symbol:         _ZN2at6native12_GLOBAL__N_135GammaBetaBackwardCUDAKernelTemplateIffLj32ELj8ELj64ELb0ELb0ELb1EEEvllPKT_S5_PKT0_S8_PS3_S9_.kd
    .uniform_work_group_size: 1
    .uses_dynamic_stack: false
    .vgpr_count:     92
    .vgpr_spill_count: 0
    .wavefront_size: 32
    .workgroup_processor_mode: 1
  - .args:
      - .offset:         0
        .size:           8
        .value_kind:     by_value
      - .offset:         8
        .size:           8
        .value_kind:     by_value
      - .actual_access:  read_only
        .address_space:  global
        .offset:         16
        .size:           8
        .value_kind:     global_buffer
      - .actual_access:  read_only
        .address_space:  global
        .offset:         24
        .size:           8
        .value_kind:     global_buffer
      - .actual_access:  read_only
        .address_space:  global
        .offset:         32
        .size:           8
        .value_kind:     global_buffer
      - .actual_access:  read_only
        .address_space:  global
        .offset:         40
        .size:           8
        .value_kind:     global_buffer
      - .actual_access:  write_only
        .address_space:  global
        .offset:         48
        .size:           8
        .value_kind:     global_buffer
      - .actual_access:  read_only
        .address_space:  global
        .offset:         56
        .size:           8
        .value_kind:     global_buffer
      - .offset:         64
        .size:           4
        .value_kind:     hidden_block_count_x
      - .offset:         68
        .size:           4
        .value_kind:     hidden_block_count_y
      - .offset:         72
        .size:           4
        .value_kind:     hidden_block_count_z
      - .offset:         76
        .size:           2
        .value_kind:     hidden_group_size_x
      - .offset:         78
        .size:           2
        .value_kind:     hidden_group_size_y
      - .offset:         80
        .size:           2
        .value_kind:     hidden_group_size_z
      - .offset:         82
        .size:           2
        .value_kind:     hidden_remainder_x
      - .offset:         84
        .size:           2
        .value_kind:     hidden_remainder_y
      - .offset:         86
        .size:           2
        .value_kind:     hidden_remainder_z
      - .offset:         104
        .size:           8
        .value_kind:     hidden_global_offset_x
      - .offset:         112
        .size:           8
        .value_kind:     hidden_global_offset_y
      - .offset:         120
        .size:           8
        .value_kind:     hidden_global_offset_z
      - .offset:         128
        .size:           2
        .value_kind:     hidden_grid_dims
      - .offset:         184
        .size:           4
        .value_kind:     hidden_dynamic_lds_size
    .group_segment_fixed_size: 0
    .kernarg_segment_align: 8
    .kernarg_segment_size: 320
    .language:       OpenCL C
    .language_version:
      - 2
      - 0
    .max_flat_workgroup_size: 512
    .name:           _ZN2at6native12_GLOBAL__N_135GammaBetaBackwardCUDAKernelTemplateIffLj32ELj16ELj128ELb0ELb1ELb1EEEvllPKT_S5_PKT0_S8_PS3_S9_
    .private_segment_fixed_size: 0
    .sgpr_count:     23
    .sgpr_spill_count: 0
    .symbol:         _ZN2at6native12_GLOBAL__N_135GammaBetaBackwardCUDAKernelTemplateIffLj32ELj16ELj128ELb0ELb1ELb1EEEvllPKT_S5_PKT0_S8_PS3_S9_.kd
    .uniform_work_group_size: 1
    .uses_dynamic_stack: false
    .vgpr_count:     40
    .vgpr_spill_count: 0
    .wavefront_size: 32
    .workgroup_processor_mode: 1
  - .args:
      - .offset:         0
        .size:           8
        .value_kind:     by_value
      - .offset:         8
        .size:           8
        .value_kind:     by_value
      - .actual_access:  read_only
        .address_space:  global
        .offset:         16
        .size:           8
        .value_kind:     global_buffer
      - .actual_access:  read_only
        .address_space:  global
        .offset:         24
        .size:           8
        .value_kind:     global_buffer
      - .actual_access:  read_only
        .address_space:  global
        .offset:         32
        .size:           8
        .value_kind:     global_buffer
      - .actual_access:  read_only
        .address_space:  global
        .offset:         40
        .size:           8
        .value_kind:     global_buffer
      - .actual_access:  write_only
        .address_space:  global
        .offset:         48
        .size:           8
        .value_kind:     global_buffer
      - .actual_access:  read_only
        .address_space:  global
        .offset:         56
        .size:           8
        .value_kind:     global_buffer
      - .offset:         64
        .size:           4
        .value_kind:     hidden_block_count_x
      - .offset:         68
        .size:           4
        .value_kind:     hidden_block_count_y
      - .offset:         72
        .size:           4
        .value_kind:     hidden_block_count_z
      - .offset:         76
        .size:           2
        .value_kind:     hidden_group_size_x
      - .offset:         78
        .size:           2
        .value_kind:     hidden_group_size_y
      - .offset:         80
        .size:           2
        .value_kind:     hidden_group_size_z
      - .offset:         82
        .size:           2
        .value_kind:     hidden_remainder_x
      - .offset:         84
        .size:           2
        .value_kind:     hidden_remainder_y
      - .offset:         86
        .size:           2
        .value_kind:     hidden_remainder_z
      - .offset:         104
        .size:           8
        .value_kind:     hidden_global_offset_x
      - .offset:         112
        .size:           8
        .value_kind:     hidden_global_offset_y
      - .offset:         120
        .size:           8
        .value_kind:     hidden_global_offset_z
      - .offset:         128
        .size:           2
        .value_kind:     hidden_grid_dims
      - .offset:         184
        .size:           4
        .value_kind:     hidden_dynamic_lds_size
    .group_segment_fixed_size: 0
    .kernarg_segment_align: 8
    .kernarg_segment_size: 320
    .language:       OpenCL C
    .language_version:
      - 2
      - 0
    .max_flat_workgroup_size: 512
    .name:           _ZN2at6native12_GLOBAL__N_135GammaBetaBackwardCUDAKernelTemplateIffLj32ELj16ELj128ELb0ELb0ELb1EEEvllPKT_S5_PKT0_S8_PS3_S9_
    .private_segment_fixed_size: 0
    .sgpr_count:     34
    .sgpr_spill_count: 0
    .symbol:         _ZN2at6native12_GLOBAL__N_135GammaBetaBackwardCUDAKernelTemplateIffLj32ELj16ELj128ELb0ELb0ELb1EEEvllPKT_S5_PKT0_S8_PS3_S9_.kd
    .uniform_work_group_size: 1
    .uses_dynamic_stack: false
    .vgpr_count:     92
    .vgpr_spill_count: 0
    .wavefront_size: 32
    .workgroup_processor_mode: 1
  - .args:
      - .offset:         0
        .size:           8
        .value_kind:     by_value
      - .offset:         8
        .size:           8
        .value_kind:     by_value
      - .actual_access:  read_only
        .address_space:  global
        .offset:         16
        .size:           8
        .value_kind:     global_buffer
      - .actual_access:  read_only
        .address_space:  global
        .offset:         24
        .size:           8
        .value_kind:     global_buffer
      - .actual_access:  read_only
        .address_space:  global
        .offset:         32
        .size:           8
        .value_kind:     global_buffer
      - .actual_access:  read_only
        .address_space:  global
        .offset:         40
        .size:           8
        .value_kind:     global_buffer
      - .actual_access:  write_only
        .address_space:  global
        .offset:         48
        .size:           8
        .value_kind:     global_buffer
      - .actual_access:  read_only
        .address_space:  global
        .offset:         56
        .size:           8
        .value_kind:     global_buffer
      - .offset:         64
        .size:           4
        .value_kind:     hidden_block_count_x
      - .offset:         68
        .size:           4
        .value_kind:     hidden_block_count_y
      - .offset:         72
        .size:           4
        .value_kind:     hidden_block_count_z
      - .offset:         76
        .size:           2
        .value_kind:     hidden_group_size_x
      - .offset:         78
        .size:           2
        .value_kind:     hidden_group_size_y
      - .offset:         80
        .size:           2
        .value_kind:     hidden_group_size_z
      - .offset:         82
        .size:           2
        .value_kind:     hidden_remainder_x
      - .offset:         84
        .size:           2
        .value_kind:     hidden_remainder_y
      - .offset:         86
        .size:           2
        .value_kind:     hidden_remainder_z
      - .offset:         104
        .size:           8
        .value_kind:     hidden_global_offset_x
      - .offset:         112
        .size:           8
        .value_kind:     hidden_global_offset_y
      - .offset:         120
        .size:           8
        .value_kind:     hidden_global_offset_z
      - .offset:         128
        .size:           2
        .value_kind:     hidden_grid_dims
      - .offset:         184
        .size:           4
        .value_kind:     hidden_dynamic_lds_size
    .group_segment_fixed_size: 0
    .kernarg_segment_align: 8
    .kernarg_segment_size: 320
    .language:       OpenCL C
    .language_version:
      - 2
      - 0
    .max_flat_workgroup_size: 1024
    .name:           _ZN2at6native12_GLOBAL__N_135GammaBetaBackwardCUDAKernelTemplateIffLj32ELj32ELj256ELb0ELb1ELb1EEEvllPKT_S5_PKT0_S8_PS3_S9_
    .private_segment_fixed_size: 0
    .sgpr_count:     23
    .sgpr_spill_count: 0
    .symbol:         _ZN2at6native12_GLOBAL__N_135GammaBetaBackwardCUDAKernelTemplateIffLj32ELj32ELj256ELb0ELb1ELb1EEEvllPKT_S5_PKT0_S8_PS3_S9_.kd
    .uniform_work_group_size: 1
    .uses_dynamic_stack: false
    .vgpr_count:     40
    .vgpr_spill_count: 0
    .wavefront_size: 32
    .workgroup_processor_mode: 1
  - .args:
      - .offset:         0
        .size:           8
        .value_kind:     by_value
      - .offset:         8
        .size:           8
        .value_kind:     by_value
      - .actual_access:  read_only
        .address_space:  global
        .offset:         16
        .size:           8
        .value_kind:     global_buffer
      - .actual_access:  read_only
        .address_space:  global
        .offset:         24
        .size:           8
        .value_kind:     global_buffer
      - .actual_access:  read_only
        .address_space:  global
        .offset:         32
        .size:           8
        .value_kind:     global_buffer
      - .actual_access:  read_only
        .address_space:  global
        .offset:         40
        .size:           8
        .value_kind:     global_buffer
      - .actual_access:  write_only
        .address_space:  global
        .offset:         48
        .size:           8
        .value_kind:     global_buffer
      - .actual_access:  read_only
        .address_space:  global
        .offset:         56
        .size:           8
        .value_kind:     global_buffer
      - .offset:         64
        .size:           4
        .value_kind:     hidden_block_count_x
      - .offset:         68
        .size:           4
        .value_kind:     hidden_block_count_y
      - .offset:         72
        .size:           4
        .value_kind:     hidden_block_count_z
      - .offset:         76
        .size:           2
        .value_kind:     hidden_group_size_x
      - .offset:         78
        .size:           2
        .value_kind:     hidden_group_size_y
      - .offset:         80
        .size:           2
        .value_kind:     hidden_group_size_z
      - .offset:         82
        .size:           2
        .value_kind:     hidden_remainder_x
      - .offset:         84
        .size:           2
        .value_kind:     hidden_remainder_y
      - .offset:         86
        .size:           2
        .value_kind:     hidden_remainder_z
      - .offset:         104
        .size:           8
        .value_kind:     hidden_global_offset_x
      - .offset:         112
        .size:           8
        .value_kind:     hidden_global_offset_y
      - .offset:         120
        .size:           8
        .value_kind:     hidden_global_offset_z
      - .offset:         128
        .size:           2
        .value_kind:     hidden_grid_dims
      - .offset:         184
        .size:           4
        .value_kind:     hidden_dynamic_lds_size
    .group_segment_fixed_size: 0
    .kernarg_segment_align: 8
    .kernarg_segment_size: 320
    .language:       OpenCL C
    .language_version:
      - 2
      - 0
    .max_flat_workgroup_size: 1024
    .name:           _ZN2at6native12_GLOBAL__N_135GammaBetaBackwardCUDAKernelTemplateIffLj32ELj32ELj256ELb0ELb0ELb1EEEvllPKT_S5_PKT0_S8_PS3_S9_
    .private_segment_fixed_size: 0
    .sgpr_count:     34
    .sgpr_spill_count: 0
    .symbol:         _ZN2at6native12_GLOBAL__N_135GammaBetaBackwardCUDAKernelTemplateIffLj32ELj32ELj256ELb0ELb0ELb1EEEvllPKT_S5_PKT0_S8_PS3_S9_.kd
    .uniform_work_group_size: 1
    .uses_dynamic_stack: false
    .vgpr_count:     92
    .vgpr_spill_count: 0
    .wavefront_size: 32
    .workgroup_processor_mode: 1
  - .args:
      - .actual_access:  read_only
        .address_space:  global
        .offset:         0
        .size:           8
        .value_kind:     global_buffer
      - .actual_access:  read_only
        .address_space:  global
        .offset:         8
        .size:           8
        .value_kind:     global_buffer
      - .offset:         16
        .size:           8
        .value_kind:     by_value
      - .offset:         24
        .size:           8
        .value_kind:     by_value
      - .actual_access:  read_only
        .address_space:  global
        .offset:         32
        .size:           8
        .value_kind:     global_buffer
      - .actual_access:  read_only
        .address_space:  global
        .offset:         40
        .size:           8
        .value_kind:     global_buffer
      - .address_space:  global
        .offset:         48
        .size:           8
        .value_kind:     global_buffer
      - .address_space:  global
        .offset:         56
        .size:           8
        .value_kind:     global_buffer
      - .offset:         64
        .size:           4
        .value_kind:     hidden_block_count_x
      - .offset:         68
        .size:           4
        .value_kind:     hidden_block_count_y
      - .offset:         72
        .size:           4
        .value_kind:     hidden_block_count_z
      - .offset:         76
        .size:           2
        .value_kind:     hidden_group_size_x
      - .offset:         78
        .size:           2
        .value_kind:     hidden_group_size_y
      - .offset:         80
        .size:           2
        .value_kind:     hidden_group_size_z
      - .offset:         82
        .size:           2
        .value_kind:     hidden_remainder_x
      - .offset:         84
        .size:           2
        .value_kind:     hidden_remainder_y
      - .offset:         86
        .size:           2
        .value_kind:     hidden_remainder_z
      - .offset:         104
        .size:           8
        .value_kind:     hidden_global_offset_x
      - .offset:         112
        .size:           8
        .value_kind:     hidden_global_offset_y
      - .offset:         120
        .size:           8
        .value_kind:     hidden_global_offset_z
      - .offset:         128
        .size:           2
        .value_kind:     hidden_grid_dims
      - .offset:         184
        .size:           4
        .value_kind:     hidden_dynamic_lds_size
    .group_segment_fixed_size: 0
    .kernarg_segment_align: 8
    .kernarg_segment_size: 320
    .language:       OpenCL C
    .language_version:
      - 2
      - 0
    .max_flat_workgroup_size: 1024
    .name:           _ZN2at6native12_GLOBAL__N_118cuComputeGradInputIN3c104HalfEfLb1EEEvPKT_S7_llPKT0_SA_S7_PS5_
    .private_segment_fixed_size: 0
    .sgpr_count:     41
    .sgpr_spill_count: 0
    .symbol:         _ZN2at6native12_GLOBAL__N_118cuComputeGradInputIN3c104HalfEfLb1EEEvPKT_S7_llPKT0_SA_S7_PS5_.kd
    .uniform_work_group_size: 1
    .uses_dynamic_stack: false
    .vgpr_count:     23
    .vgpr_spill_count: 0
    .wavefront_size: 32
    .workgroup_processor_mode: 1
  - .args:
      - .actual_access:  read_only
        .address_space:  global
        .offset:         0
        .size:           8
        .value_kind:     global_buffer
      - .actual_access:  read_only
        .address_space:  global
        .offset:         8
        .size:           8
        .value_kind:     global_buffer
      - .actual_access:  read_only
        .address_space:  global
        .offset:         16
        .size:           8
        .value_kind:     global_buffer
      - .actual_access:  read_only
        .address_space:  global
        .offset:         24
        .size:           8
        .value_kind:     global_buffer
      - .actual_access:  read_only
        .address_space:  global
        .offset:         32
        .size:           8
        .value_kind:     global_buffer
      - .address_space:  global
        .offset:         40
        .size:           8
        .value_kind:     global_buffer
      - .offset:         48
        .size:           4
        .value_kind:     by_value
      - .offset:         56
        .size:           4
        .value_kind:     hidden_block_count_x
      - .offset:         60
        .size:           4
        .value_kind:     hidden_block_count_y
      - .offset:         64
        .size:           4
        .value_kind:     hidden_block_count_z
      - .offset:         68
        .size:           2
        .value_kind:     hidden_group_size_x
      - .offset:         70
        .size:           2
        .value_kind:     hidden_group_size_y
      - .offset:         72
        .size:           2
        .value_kind:     hidden_group_size_z
      - .offset:         74
        .size:           2
        .value_kind:     hidden_remainder_x
      - .offset:         76
        .size:           2
        .value_kind:     hidden_remainder_y
      - .offset:         78
        .size:           2
        .value_kind:     hidden_remainder_z
      - .offset:         96
        .size:           8
        .value_kind:     hidden_global_offset_x
      - .offset:         104
        .size:           8
        .value_kind:     hidden_global_offset_y
      - .offset:         112
        .size:           8
        .value_kind:     hidden_global_offset_z
      - .offset:         120
        .size:           2
        .value_kind:     hidden_grid_dims
      - .offset:         176
        .size:           4
        .value_kind:     hidden_dynamic_lds_size
    .group_segment_fixed_size: 0
    .kernarg_segment_align: 8
    .kernarg_segment_size: 312
    .language:       OpenCL C
    .language_version:
      - 2
      - 0
    .max_flat_workgroup_size: 1024
    .name:           _ZN2at6native12_GLOBAL__N_128layer_norm_grad_input_kernelIN3c104HalfEfLb1EEEvPKT_S7_PKT0_SA_S7_PS5_i
    .private_segment_fixed_size: 0
    .sgpr_count:     24
    .sgpr_spill_count: 0
    .symbol:         _ZN2at6native12_GLOBAL__N_128layer_norm_grad_input_kernelIN3c104HalfEfLb1EEEvPKT_S7_PKT0_SA_S7_PS5_i.kd
    .uniform_work_group_size: 1
    .uses_dynamic_stack: false
    .vgpr_count:     20
    .vgpr_spill_count: 0
    .wavefront_size: 32
    .workgroup_processor_mode: 1
  - .args:
      - .offset:         0
        .size:           8
        .value_kind:     by_value
      - .offset:         8
        .size:           8
        .value_kind:     by_value
      - .address_space:  global
        .offset:         16
        .size:           8
        .value_kind:     global_buffer
      - .address_space:  global
        .offset:         24
        .size:           8
        .value_kind:     global_buffer
      - .address_space:  global
        .offset:         32
        .size:           8
        .value_kind:     global_buffer
      - .address_space:  global
        .offset:         40
        .size:           8
        .value_kind:     global_buffer
      - .address_space:  global
        .offset:         48
        .size:           8
        .value_kind:     global_buffer
      - .address_space:  global
        .offset:         56
        .size:           8
        .value_kind:     global_buffer
      - .offset:         64
        .size:           4
        .value_kind:     hidden_block_count_x
      - .offset:         68
        .size:           4
        .value_kind:     hidden_block_count_y
      - .offset:         72
        .size:           4
        .value_kind:     hidden_block_count_z
      - .offset:         76
        .size:           2
        .value_kind:     hidden_group_size_x
      - .offset:         78
        .size:           2
        .value_kind:     hidden_group_size_y
      - .offset:         80
        .size:           2
        .value_kind:     hidden_group_size_z
      - .offset:         82
        .size:           2
        .value_kind:     hidden_remainder_x
      - .offset:         84
        .size:           2
        .value_kind:     hidden_remainder_y
      - .offset:         86
        .size:           2
        .value_kind:     hidden_remainder_z
      - .offset:         104
        .size:           8
        .value_kind:     hidden_global_offset_x
      - .offset:         112
        .size:           8
        .value_kind:     hidden_global_offset_y
      - .offset:         120
        .size:           8
        .value_kind:     hidden_global_offset_z
      - .offset:         128
        .size:           2
        .value_kind:     hidden_grid_dims
    .group_segment_fixed_size: 0
    .kernarg_segment_align: 8
    .kernarg_segment_size: 320
    .language:       OpenCL C
    .language_version:
      - 2
      - 0
    .max_flat_workgroup_size: 1024
    .name:           _ZN2at6native12_GLOBAL__N_133GammaBetaBackwardSimpleCUDAKernelIN3c104HalfEfLb1EEEvllPKT_S7_PKT0_SA_PS5_SB_
    .private_segment_fixed_size: 0
    .sgpr_count:     16
    .sgpr_spill_count: 0
    .symbol:         _ZN2at6native12_GLOBAL__N_133GammaBetaBackwardSimpleCUDAKernelIN3c104HalfEfLb1EEEvllPKT_S7_PKT0_SA_PS5_SB_.kd
    .uniform_work_group_size: 1
    .uses_dynamic_stack: false
    .vgpr_count:     9
    .vgpr_spill_count: 0
    .wavefront_size: 32
    .workgroup_processor_mode: 1
  - .args:
      - .offset:         0
        .size:           8
        .value_kind:     by_value
      - .offset:         8
        .size:           8
        .value_kind:     by_value
      - .actual_access:  read_only
        .address_space:  global
        .offset:         16
        .size:           8
        .value_kind:     global_buffer
      - .actual_access:  read_only
        .address_space:  global
        .offset:         24
        .size:           8
        .value_kind:     global_buffer
      - .actual_access:  read_only
        .address_space:  global
        .offset:         32
        .size:           8
        .value_kind:     global_buffer
      - .actual_access:  read_only
        .address_space:  global
        .offset:         40
        .size:           8
        .value_kind:     global_buffer
      - .actual_access:  write_only
        .address_space:  global
        .offset:         48
        .size:           8
        .value_kind:     global_buffer
      - .actual_access:  read_only
        .address_space:  global
        .offset:         56
        .size:           8
        .value_kind:     global_buffer
      - .offset:         64
        .size:           4
        .value_kind:     hidden_block_count_x
      - .offset:         68
        .size:           4
        .value_kind:     hidden_block_count_y
      - .offset:         72
        .size:           4
        .value_kind:     hidden_block_count_z
      - .offset:         76
        .size:           2
        .value_kind:     hidden_group_size_x
      - .offset:         78
        .size:           2
        .value_kind:     hidden_group_size_y
      - .offset:         80
        .size:           2
        .value_kind:     hidden_group_size_z
      - .offset:         82
        .size:           2
        .value_kind:     hidden_remainder_x
      - .offset:         84
        .size:           2
        .value_kind:     hidden_remainder_y
      - .offset:         86
        .size:           2
        .value_kind:     hidden_remainder_z
      - .offset:         104
        .size:           8
        .value_kind:     hidden_global_offset_x
      - .offset:         112
        .size:           8
        .value_kind:     hidden_global_offset_y
      - .offset:         120
        .size:           8
        .value_kind:     hidden_global_offset_z
      - .offset:         128
        .size:           2
        .value_kind:     hidden_grid_dims
    .group_segment_fixed_size: 0
    .kernarg_segment_align: 8
    .kernarg_segment_size: 320
    .language:       OpenCL C
    .language_version:
      - 2
      - 0
    .max_flat_workgroup_size: 64
    .name:           _ZN2at6native12_GLOBAL__N_135GammaBetaBackwardCUDAKernelTemplateIN3c104HalfEfLj64ELj1ELj32ELb1ELb1ELb1EEEvllPKT_S7_PKT0_SA_PS5_SB_
    .private_segment_fixed_size: 0
    .sgpr_count:     25
    .sgpr_spill_count: 0
    .symbol:         _ZN2at6native12_GLOBAL__N_135GammaBetaBackwardCUDAKernelTemplateIN3c104HalfEfLj64ELj1ELj32ELb1ELb1ELb1EEEvllPKT_S7_PKT0_SA_PS5_SB_.kd
    .uniform_work_group_size: 1
    .uses_dynamic_stack: false
    .vgpr_count:     96
    .vgpr_spill_count: 0
    .wavefront_size: 32
    .workgroup_processor_mode: 1
  - .args:
      - .offset:         0
        .size:           8
        .value_kind:     by_value
      - .offset:         8
        .size:           8
        .value_kind:     by_value
      - .actual_access:  read_only
        .address_space:  global
        .offset:         16
        .size:           8
        .value_kind:     global_buffer
      - .actual_access:  read_only
        .address_space:  global
        .offset:         24
        .size:           8
        .value_kind:     global_buffer
      - .actual_access:  read_only
        .address_space:  global
        .offset:         32
        .size:           8
        .value_kind:     global_buffer
      - .actual_access:  read_only
        .address_space:  global
        .offset:         40
        .size:           8
        .value_kind:     global_buffer
      - .actual_access:  write_only
        .address_space:  global
        .offset:         48
        .size:           8
        .value_kind:     global_buffer
      - .actual_access:  read_only
        .address_space:  global
        .offset:         56
        .size:           8
        .value_kind:     global_buffer
      - .offset:         64
        .size:           4
        .value_kind:     hidden_block_count_x
      - .offset:         68
        .size:           4
        .value_kind:     hidden_block_count_y
      - .offset:         72
        .size:           4
        .value_kind:     hidden_block_count_z
      - .offset:         76
        .size:           2
        .value_kind:     hidden_group_size_x
      - .offset:         78
        .size:           2
        .value_kind:     hidden_group_size_y
      - .offset:         80
        .size:           2
        .value_kind:     hidden_group_size_z
      - .offset:         82
        .size:           2
        .value_kind:     hidden_remainder_x
      - .offset:         84
        .size:           2
        .value_kind:     hidden_remainder_y
      - .offset:         86
        .size:           2
        .value_kind:     hidden_remainder_z
      - .offset:         104
        .size:           8
        .value_kind:     hidden_global_offset_x
      - .offset:         112
        .size:           8
        .value_kind:     hidden_global_offset_y
      - .offset:         120
        .size:           8
        .value_kind:     hidden_global_offset_z
      - .offset:         128
        .size:           2
        .value_kind:     hidden_grid_dims
    .group_segment_fixed_size: 0
    .kernarg_segment_align: 8
    .kernarg_segment_size: 320
    .language:       OpenCL C
    .language_version:
      - 2
      - 0
    .max_flat_workgroup_size: 64
    .name:           _ZN2at6native12_GLOBAL__N_135GammaBetaBackwardCUDAKernelTemplateIN3c104HalfEfLj64ELj1ELj32ELb1ELb0ELb1EEEvllPKT_S7_PKT0_SA_PS5_SB_
    .private_segment_fixed_size: 316
    .sgpr_count:     34
    .sgpr_spill_count: 0
    .symbol:         _ZN2at6native12_GLOBAL__N_135GammaBetaBackwardCUDAKernelTemplateIN3c104HalfEfLj64ELj1ELj32ELb1ELb0ELb1EEEvllPKT_S7_PKT0_SA_PS5_SB_.kd
    .uniform_work_group_size: 1
    .uses_dynamic_stack: false
    .vgpr_count:     256
    .vgpr_spill_count: 153
    .wavefront_size: 32
    .workgroup_processor_mode: 1
  - .args:
      - .offset:         0
        .size:           8
        .value_kind:     by_value
      - .offset:         8
        .size:           8
        .value_kind:     by_value
      - .actual_access:  read_only
        .address_space:  global
        .offset:         16
        .size:           8
        .value_kind:     global_buffer
      - .actual_access:  read_only
        .address_space:  global
        .offset:         24
        .size:           8
        .value_kind:     global_buffer
      - .actual_access:  read_only
        .address_space:  global
        .offset:         32
        .size:           8
        .value_kind:     global_buffer
      - .actual_access:  read_only
        .address_space:  global
        .offset:         40
        .size:           8
        .value_kind:     global_buffer
      - .actual_access:  write_only
        .address_space:  global
        .offset:         48
        .size:           8
        .value_kind:     global_buffer
      - .actual_access:  read_only
        .address_space:  global
        .offset:         56
        .size:           8
        .value_kind:     global_buffer
      - .offset:         64
        .size:           4
        .value_kind:     hidden_block_count_x
      - .offset:         68
        .size:           4
        .value_kind:     hidden_block_count_y
      - .offset:         72
        .size:           4
        .value_kind:     hidden_block_count_z
      - .offset:         76
        .size:           2
        .value_kind:     hidden_group_size_x
      - .offset:         78
        .size:           2
        .value_kind:     hidden_group_size_y
      - .offset:         80
        .size:           2
        .value_kind:     hidden_group_size_z
      - .offset:         82
        .size:           2
        .value_kind:     hidden_remainder_x
      - .offset:         84
        .size:           2
        .value_kind:     hidden_remainder_y
      - .offset:         86
        .size:           2
        .value_kind:     hidden_remainder_z
      - .offset:         104
        .size:           8
        .value_kind:     hidden_global_offset_x
      - .offset:         112
        .size:           8
        .value_kind:     hidden_global_offset_y
      - .offset:         120
        .size:           8
        .value_kind:     hidden_global_offset_z
      - .offset:         128
        .size:           2
        .value_kind:     hidden_grid_dims
    .group_segment_fixed_size: 0
    .kernarg_segment_align: 8
    .kernarg_segment_size: 320
    .language:       OpenCL C
    .language_version:
      - 2
      - 0
    .max_flat_workgroup_size: 64
    .name:           _ZN2at6native12_GLOBAL__N_135GammaBetaBackwardCUDAKernelTemplateIN3c104HalfEfLj64ELj1ELj8ELb1ELb1ELb1EEEvllPKT_S7_PKT0_SA_PS5_SB_
    .private_segment_fixed_size: 0
    .sgpr_count:     27
    .sgpr_spill_count: 0
    .symbol:         _ZN2at6native12_GLOBAL__N_135GammaBetaBackwardCUDAKernelTemplateIN3c104HalfEfLj64ELj1ELj8ELb1ELb1ELb1EEEvllPKT_S7_PKT0_SA_PS5_SB_.kd
    .uniform_work_group_size: 1
    .uses_dynamic_stack: false
    .vgpr_count:     40
    .vgpr_spill_count: 0
    .wavefront_size: 32
    .workgroup_processor_mode: 1
  - .args:
      - .offset:         0
        .size:           8
        .value_kind:     by_value
      - .offset:         8
        .size:           8
        .value_kind:     by_value
      - .actual_access:  read_only
        .address_space:  global
        .offset:         16
        .size:           8
        .value_kind:     global_buffer
      - .actual_access:  read_only
        .address_space:  global
        .offset:         24
        .size:           8
        .value_kind:     global_buffer
      - .actual_access:  read_only
        .address_space:  global
        .offset:         32
        .size:           8
        .value_kind:     global_buffer
      - .actual_access:  read_only
        .address_space:  global
        .offset:         40
        .size:           8
        .value_kind:     global_buffer
      - .actual_access:  write_only
        .address_space:  global
        .offset:         48
        .size:           8
        .value_kind:     global_buffer
      - .actual_access:  read_only
        .address_space:  global
        .offset:         56
        .size:           8
        .value_kind:     global_buffer
      - .offset:         64
        .size:           4
        .value_kind:     hidden_block_count_x
      - .offset:         68
        .size:           4
        .value_kind:     hidden_block_count_y
      - .offset:         72
        .size:           4
        .value_kind:     hidden_block_count_z
      - .offset:         76
        .size:           2
        .value_kind:     hidden_group_size_x
      - .offset:         78
        .size:           2
        .value_kind:     hidden_group_size_y
      - .offset:         80
        .size:           2
        .value_kind:     hidden_group_size_z
      - .offset:         82
        .size:           2
        .value_kind:     hidden_remainder_x
      - .offset:         84
        .size:           2
        .value_kind:     hidden_remainder_y
      - .offset:         86
        .size:           2
        .value_kind:     hidden_remainder_z
      - .offset:         104
        .size:           8
        .value_kind:     hidden_global_offset_x
      - .offset:         112
        .size:           8
        .value_kind:     hidden_global_offset_y
      - .offset:         120
        .size:           8
        .value_kind:     hidden_global_offset_z
      - .offset:         128
        .size:           2
        .value_kind:     hidden_grid_dims
    .group_segment_fixed_size: 0
    .kernarg_segment_align: 8
    .kernarg_segment_size: 320
    .language:       OpenCL C
    .language_version:
      - 2
      - 0
    .max_flat_workgroup_size: 64
    .name:           _ZN2at6native12_GLOBAL__N_135GammaBetaBackwardCUDAKernelTemplateIN3c104HalfEfLj64ELj1ELj8ELb1ELb0ELb1EEEvllPKT_S7_PKT0_SA_PS5_SB_
    .private_segment_fixed_size: 0
    .sgpr_count:     34
    .sgpr_spill_count: 0
    .symbol:         _ZN2at6native12_GLOBAL__N_135GammaBetaBackwardCUDAKernelTemplateIN3c104HalfEfLj64ELj1ELj8ELb1ELb0ELb1EEEvllPKT_S7_PKT0_SA_PS5_SB_.kd
    .uniform_work_group_size: 1
    .uses_dynamic_stack: false
    .vgpr_count:     93
    .vgpr_spill_count: 0
    .wavefront_size: 32
    .workgroup_processor_mode: 1
  - .args:
      - .offset:         0
        .size:           8
        .value_kind:     by_value
      - .offset:         8
        .size:           8
        .value_kind:     by_value
      - .actual_access:  read_only
        .address_space:  global
        .offset:         16
        .size:           8
        .value_kind:     global_buffer
      - .actual_access:  read_only
        .address_space:  global
        .offset:         24
        .size:           8
        .value_kind:     global_buffer
      - .actual_access:  read_only
        .address_space:  global
        .offset:         32
        .size:           8
        .value_kind:     global_buffer
      - .actual_access:  read_only
        .address_space:  global
        .offset:         40
        .size:           8
        .value_kind:     global_buffer
      - .actual_access:  write_only
        .address_space:  global
        .offset:         48
        .size:           8
        .value_kind:     global_buffer
      - .actual_access:  read_only
        .address_space:  global
        .offset:         56
        .size:           8
        .value_kind:     global_buffer
      - .offset:         64
        .size:           4
        .value_kind:     hidden_block_count_x
      - .offset:         68
        .size:           4
        .value_kind:     hidden_block_count_y
      - .offset:         72
        .size:           4
        .value_kind:     hidden_block_count_z
      - .offset:         76
        .size:           2
        .value_kind:     hidden_group_size_x
      - .offset:         78
        .size:           2
        .value_kind:     hidden_group_size_y
      - .offset:         80
        .size:           2
        .value_kind:     hidden_group_size_z
      - .offset:         82
        .size:           2
        .value_kind:     hidden_remainder_x
      - .offset:         84
        .size:           2
        .value_kind:     hidden_remainder_y
      - .offset:         86
        .size:           2
        .value_kind:     hidden_remainder_z
      - .offset:         104
        .size:           8
        .value_kind:     hidden_global_offset_x
      - .offset:         112
        .size:           8
        .value_kind:     hidden_global_offset_y
      - .offset:         120
        .size:           8
        .value_kind:     hidden_global_offset_z
      - .offset:         128
        .size:           2
        .value_kind:     hidden_grid_dims
      - .offset:         184
        .size:           4
        .value_kind:     hidden_dynamic_lds_size
    .group_segment_fixed_size: 0
    .kernarg_segment_align: 8
    .kernarg_segment_size: 320
    .language:       OpenCL C
    .language_version:
      - 2
      - 0
    .max_flat_workgroup_size: 512
    .name:           _ZN2at6native12_GLOBAL__N_135GammaBetaBackwardCUDAKernelTemplateIN3c104HalfEfLj64ELj8ELj64ELb0ELb1ELb1EEEvllPKT_S7_PKT0_SA_PS5_SB_
    .private_segment_fixed_size: 0
    .sgpr_count:     23
    .sgpr_spill_count: 0
    .symbol:         _ZN2at6native12_GLOBAL__N_135GammaBetaBackwardCUDAKernelTemplateIN3c104HalfEfLj64ELj8ELj64ELb0ELb1ELb1EEEvllPKT_S7_PKT0_SA_PS5_SB_.kd
    .uniform_work_group_size: 1
    .uses_dynamic_stack: false
    .vgpr_count:     40
    .vgpr_spill_count: 0
    .wavefront_size: 32
    .workgroup_processor_mode: 1
  - .args:
      - .offset:         0
        .size:           8
        .value_kind:     by_value
      - .offset:         8
        .size:           8
        .value_kind:     by_value
      - .actual_access:  read_only
        .address_space:  global
        .offset:         16
        .size:           8
        .value_kind:     global_buffer
      - .actual_access:  read_only
        .address_space:  global
        .offset:         24
        .size:           8
        .value_kind:     global_buffer
      - .actual_access:  read_only
        .address_space:  global
        .offset:         32
        .size:           8
        .value_kind:     global_buffer
      - .actual_access:  read_only
        .address_space:  global
        .offset:         40
        .size:           8
        .value_kind:     global_buffer
      - .actual_access:  write_only
        .address_space:  global
        .offset:         48
        .size:           8
        .value_kind:     global_buffer
      - .actual_access:  read_only
        .address_space:  global
        .offset:         56
        .size:           8
        .value_kind:     global_buffer
      - .offset:         64
        .size:           4
        .value_kind:     hidden_block_count_x
      - .offset:         68
        .size:           4
        .value_kind:     hidden_block_count_y
      - .offset:         72
        .size:           4
        .value_kind:     hidden_block_count_z
      - .offset:         76
        .size:           2
        .value_kind:     hidden_group_size_x
      - .offset:         78
        .size:           2
        .value_kind:     hidden_group_size_y
      - .offset:         80
        .size:           2
        .value_kind:     hidden_group_size_z
      - .offset:         82
        .size:           2
        .value_kind:     hidden_remainder_x
      - .offset:         84
        .size:           2
        .value_kind:     hidden_remainder_y
      - .offset:         86
        .size:           2
        .value_kind:     hidden_remainder_z
      - .offset:         104
        .size:           8
        .value_kind:     hidden_global_offset_x
      - .offset:         112
        .size:           8
        .value_kind:     hidden_global_offset_y
      - .offset:         120
        .size:           8
        .value_kind:     hidden_global_offset_z
      - .offset:         128
        .size:           2
        .value_kind:     hidden_grid_dims
      - .offset:         184
        .size:           4
        .value_kind:     hidden_dynamic_lds_size
    .group_segment_fixed_size: 0
    .kernarg_segment_align: 8
    .kernarg_segment_size: 320
    .language:       OpenCL C
    .language_version:
      - 2
      - 0
    .max_flat_workgroup_size: 512
    .name:           _ZN2at6native12_GLOBAL__N_135GammaBetaBackwardCUDAKernelTemplateIN3c104HalfEfLj64ELj8ELj64ELb0ELb0ELb1EEEvllPKT_S7_PKT0_SA_PS5_SB_
    .private_segment_fixed_size: 0
    .sgpr_count:     34
    .sgpr_spill_count: 0
    .symbol:         _ZN2at6native12_GLOBAL__N_135GammaBetaBackwardCUDAKernelTemplateIN3c104HalfEfLj64ELj8ELj64ELb0ELb0ELb1EEEvllPKT_S7_PKT0_SA_PS5_SB_.kd
    .uniform_work_group_size: 1
    .uses_dynamic_stack: false
    .vgpr_count:     92
    .vgpr_spill_count: 0
    .wavefront_size: 32
    .workgroup_processor_mode: 1
  - .args:
      - .offset:         0
        .size:           8
        .value_kind:     by_value
      - .offset:         8
        .size:           8
        .value_kind:     by_value
      - .actual_access:  read_only
        .address_space:  global
        .offset:         16
        .size:           8
        .value_kind:     global_buffer
      - .actual_access:  read_only
        .address_space:  global
        .offset:         24
        .size:           8
        .value_kind:     global_buffer
      - .actual_access:  read_only
        .address_space:  global
        .offset:         32
        .size:           8
        .value_kind:     global_buffer
      - .actual_access:  read_only
        .address_space:  global
        .offset:         40
        .size:           8
        .value_kind:     global_buffer
      - .actual_access:  write_only
        .address_space:  global
        .offset:         48
        .size:           8
        .value_kind:     global_buffer
      - .actual_access:  read_only
        .address_space:  global
        .offset:         56
        .size:           8
        .value_kind:     global_buffer
      - .offset:         64
        .size:           4
        .value_kind:     hidden_block_count_x
      - .offset:         68
        .size:           4
        .value_kind:     hidden_block_count_y
      - .offset:         72
        .size:           4
        .value_kind:     hidden_block_count_z
      - .offset:         76
        .size:           2
        .value_kind:     hidden_group_size_x
      - .offset:         78
        .size:           2
        .value_kind:     hidden_group_size_y
      - .offset:         80
        .size:           2
        .value_kind:     hidden_group_size_z
      - .offset:         82
        .size:           2
        .value_kind:     hidden_remainder_x
      - .offset:         84
        .size:           2
        .value_kind:     hidden_remainder_y
      - .offset:         86
        .size:           2
        .value_kind:     hidden_remainder_z
      - .offset:         104
        .size:           8
        .value_kind:     hidden_global_offset_x
      - .offset:         112
        .size:           8
        .value_kind:     hidden_global_offset_y
      - .offset:         120
        .size:           8
        .value_kind:     hidden_global_offset_z
      - .offset:         128
        .size:           2
        .value_kind:     hidden_grid_dims
      - .offset:         184
        .size:           4
        .value_kind:     hidden_dynamic_lds_size
    .group_segment_fixed_size: 0
    .kernarg_segment_align: 8
    .kernarg_segment_size: 320
    .language:       OpenCL C
    .language_version:
      - 2
      - 0
    .max_flat_workgroup_size: 1024
    .name:           _ZN2at6native12_GLOBAL__N_135GammaBetaBackwardCUDAKernelTemplateIN3c104HalfEfLj64ELj16ELj128ELb0ELb1ELb1EEEvllPKT_S7_PKT0_SA_PS5_SB_
    .private_segment_fixed_size: 0
    .sgpr_count:     23
    .sgpr_spill_count: 0
    .symbol:         _ZN2at6native12_GLOBAL__N_135GammaBetaBackwardCUDAKernelTemplateIN3c104HalfEfLj64ELj16ELj128ELb0ELb1ELb1EEEvllPKT_S7_PKT0_SA_PS5_SB_.kd
    .uniform_work_group_size: 1
    .uses_dynamic_stack: false
    .vgpr_count:     40
    .vgpr_spill_count: 0
    .wavefront_size: 32
    .workgroup_processor_mode: 1
  - .args:
      - .offset:         0
        .size:           8
        .value_kind:     by_value
      - .offset:         8
        .size:           8
        .value_kind:     by_value
      - .actual_access:  read_only
        .address_space:  global
        .offset:         16
        .size:           8
        .value_kind:     global_buffer
      - .actual_access:  read_only
        .address_space:  global
        .offset:         24
        .size:           8
        .value_kind:     global_buffer
      - .actual_access:  read_only
        .address_space:  global
        .offset:         32
        .size:           8
        .value_kind:     global_buffer
      - .actual_access:  read_only
        .address_space:  global
        .offset:         40
        .size:           8
        .value_kind:     global_buffer
      - .actual_access:  write_only
        .address_space:  global
        .offset:         48
        .size:           8
        .value_kind:     global_buffer
      - .actual_access:  read_only
        .address_space:  global
        .offset:         56
        .size:           8
        .value_kind:     global_buffer
      - .offset:         64
        .size:           4
        .value_kind:     hidden_block_count_x
      - .offset:         68
        .size:           4
        .value_kind:     hidden_block_count_y
      - .offset:         72
        .size:           4
        .value_kind:     hidden_block_count_z
      - .offset:         76
        .size:           2
        .value_kind:     hidden_group_size_x
      - .offset:         78
        .size:           2
        .value_kind:     hidden_group_size_y
      - .offset:         80
        .size:           2
        .value_kind:     hidden_group_size_z
      - .offset:         82
        .size:           2
        .value_kind:     hidden_remainder_x
      - .offset:         84
        .size:           2
        .value_kind:     hidden_remainder_y
      - .offset:         86
        .size:           2
        .value_kind:     hidden_remainder_z
      - .offset:         104
        .size:           8
        .value_kind:     hidden_global_offset_x
      - .offset:         112
        .size:           8
        .value_kind:     hidden_global_offset_y
      - .offset:         120
        .size:           8
        .value_kind:     hidden_global_offset_z
      - .offset:         128
        .size:           2
        .value_kind:     hidden_grid_dims
      - .offset:         184
        .size:           4
        .value_kind:     hidden_dynamic_lds_size
    .group_segment_fixed_size: 0
    .kernarg_segment_align: 8
    .kernarg_segment_size: 320
    .language:       OpenCL C
    .language_version:
      - 2
      - 0
    .max_flat_workgroup_size: 1024
    .name:           _ZN2at6native12_GLOBAL__N_135GammaBetaBackwardCUDAKernelTemplateIN3c104HalfEfLj64ELj16ELj128ELb0ELb0ELb1EEEvllPKT_S7_PKT0_SA_PS5_SB_
    .private_segment_fixed_size: 0
    .sgpr_count:     34
    .sgpr_spill_count: 0
    .symbol:         _ZN2at6native12_GLOBAL__N_135GammaBetaBackwardCUDAKernelTemplateIN3c104HalfEfLj64ELj16ELj128ELb0ELb0ELb1EEEvllPKT_S7_PKT0_SA_PS5_SB_.kd
    .uniform_work_group_size: 1
    .uses_dynamic_stack: false
    .vgpr_count:     92
    .vgpr_spill_count: 0
    .wavefront_size: 32
    .workgroup_processor_mode: 1
  - .args:
      - .offset:         0
        .size:           8
        .value_kind:     by_value
      - .offset:         8
        .size:           8
        .value_kind:     by_value
      - .actual_access:  read_only
        .address_space:  global
        .offset:         16
        .size:           8
        .value_kind:     global_buffer
      - .actual_access:  read_only
        .address_space:  global
        .offset:         24
        .size:           8
        .value_kind:     global_buffer
      - .actual_access:  read_only
        .address_space:  global
        .offset:         32
        .size:           8
        .value_kind:     global_buffer
      - .actual_access:  read_only
        .address_space:  global
        .offset:         40
        .size:           8
        .value_kind:     global_buffer
      - .actual_access:  write_only
        .address_space:  global
        .offset:         48
        .size:           8
        .value_kind:     global_buffer
      - .actual_access:  read_only
        .address_space:  global
        .offset:         56
        .size:           8
        .value_kind:     global_buffer
      - .offset:         64
        .size:           4
        .value_kind:     hidden_block_count_x
      - .offset:         68
        .size:           4
        .value_kind:     hidden_block_count_y
      - .offset:         72
        .size:           4
        .value_kind:     hidden_block_count_z
      - .offset:         76
        .size:           2
        .value_kind:     hidden_group_size_x
      - .offset:         78
        .size:           2
        .value_kind:     hidden_group_size_y
      - .offset:         80
        .size:           2
        .value_kind:     hidden_group_size_z
      - .offset:         82
        .size:           2
        .value_kind:     hidden_remainder_x
      - .offset:         84
        .size:           2
        .value_kind:     hidden_remainder_y
      - .offset:         86
        .size:           2
        .value_kind:     hidden_remainder_z
      - .offset:         104
        .size:           8
        .value_kind:     hidden_global_offset_x
      - .offset:         112
        .size:           8
        .value_kind:     hidden_global_offset_y
      - .offset:         120
        .size:           8
        .value_kind:     hidden_global_offset_z
      - .offset:         128
        .size:           2
        .value_kind:     hidden_grid_dims
      - .offset:         184
        .size:           4
        .value_kind:     hidden_dynamic_lds_size
    .group_segment_fixed_size: 0
    .kernarg_segment_align: 8
    .kernarg_segment_size: 320
    .language:       OpenCL C
    .language_version:
      - 2
      - 0
    .max_flat_workgroup_size: 1024
    .name:           _ZN2at6native12_GLOBAL__N_135GammaBetaBackwardCUDAKernelTemplateIN3c104HalfEfLj64ELj16ELj256ELb0ELb1ELb1EEEvllPKT_S7_PKT0_SA_PS5_SB_
    .private_segment_fixed_size: 0
    .sgpr_count:     23
    .sgpr_spill_count: 0
    .symbol:         _ZN2at6native12_GLOBAL__N_135GammaBetaBackwardCUDAKernelTemplateIN3c104HalfEfLj64ELj16ELj256ELb0ELb1ELb1EEEvllPKT_S7_PKT0_SA_PS5_SB_.kd
    .uniform_work_group_size: 1
    .uses_dynamic_stack: false
    .vgpr_count:     64
    .vgpr_spill_count: 0
    .wavefront_size: 32
    .workgroup_processor_mode: 1
  - .args:
      - .offset:         0
        .size:           8
        .value_kind:     by_value
      - .offset:         8
        .size:           8
        .value_kind:     by_value
      - .actual_access:  read_only
        .address_space:  global
        .offset:         16
        .size:           8
        .value_kind:     global_buffer
      - .actual_access:  read_only
        .address_space:  global
        .offset:         24
        .size:           8
        .value_kind:     global_buffer
      - .actual_access:  read_only
        .address_space:  global
        .offset:         32
        .size:           8
        .value_kind:     global_buffer
      - .actual_access:  read_only
        .address_space:  global
        .offset:         40
        .size:           8
        .value_kind:     global_buffer
      - .actual_access:  write_only
        .address_space:  global
        .offset:         48
        .size:           8
        .value_kind:     global_buffer
      - .actual_access:  read_only
        .address_space:  global
        .offset:         56
        .size:           8
        .value_kind:     global_buffer
      - .offset:         64
        .size:           4
        .value_kind:     hidden_block_count_x
      - .offset:         68
        .size:           4
        .value_kind:     hidden_block_count_y
      - .offset:         72
        .size:           4
        .value_kind:     hidden_block_count_z
      - .offset:         76
        .size:           2
        .value_kind:     hidden_group_size_x
      - .offset:         78
        .size:           2
        .value_kind:     hidden_group_size_y
      - .offset:         80
        .size:           2
        .value_kind:     hidden_group_size_z
      - .offset:         82
        .size:           2
        .value_kind:     hidden_remainder_x
      - .offset:         84
        .size:           2
        .value_kind:     hidden_remainder_y
      - .offset:         86
        .size:           2
        .value_kind:     hidden_remainder_z
      - .offset:         104
        .size:           8
        .value_kind:     hidden_global_offset_x
      - .offset:         112
        .size:           8
        .value_kind:     hidden_global_offset_y
      - .offset:         120
        .size:           8
        .value_kind:     hidden_global_offset_z
      - .offset:         128
        .size:           2
        .value_kind:     hidden_grid_dims
      - .offset:         184
        .size:           4
        .value_kind:     hidden_dynamic_lds_size
    .group_segment_fixed_size: 0
    .kernarg_segment_align: 8
    .kernarg_segment_size: 320
    .language:       OpenCL C
    .language_version:
      - 2
      - 0
    .max_flat_workgroup_size: 1024
    .name:           _ZN2at6native12_GLOBAL__N_135GammaBetaBackwardCUDAKernelTemplateIN3c104HalfEfLj64ELj16ELj256ELb0ELb0ELb1EEEvllPKT_S7_PKT0_SA_PS5_SB_
    .private_segment_fixed_size: 0
    .sgpr_count:     34
    .sgpr_spill_count: 0
    .symbol:         _ZN2at6native12_GLOBAL__N_135GammaBetaBackwardCUDAKernelTemplateIN3c104HalfEfLj64ELj16ELj256ELb0ELb0ELb1EEEvllPKT_S7_PKT0_SA_PS5_SB_.kd
    .uniform_work_group_size: 1
    .uses_dynamic_stack: false
    .vgpr_count:     172
    .vgpr_spill_count: 0
    .wavefront_size: 32
    .workgroup_processor_mode: 1
  - .args:
      - .offset:         0
        .size:           8
        .value_kind:     by_value
      - .offset:         8
        .size:           8
        .value_kind:     by_value
      - .actual_access:  read_only
        .address_space:  global
        .offset:         16
        .size:           8
        .value_kind:     global_buffer
      - .actual_access:  read_only
        .address_space:  global
        .offset:         24
        .size:           8
        .value_kind:     global_buffer
      - .actual_access:  read_only
        .address_space:  global
        .offset:         32
        .size:           8
        .value_kind:     global_buffer
      - .actual_access:  read_only
        .address_space:  global
        .offset:         40
        .size:           8
        .value_kind:     global_buffer
      - .actual_access:  write_only
        .address_space:  global
        .offset:         48
        .size:           8
        .value_kind:     global_buffer
      - .actual_access:  read_only
        .address_space:  global
        .offset:         56
        .size:           8
        .value_kind:     global_buffer
      - .offset:         64
        .size:           4
        .value_kind:     hidden_block_count_x
      - .offset:         68
        .size:           4
        .value_kind:     hidden_block_count_y
      - .offset:         72
        .size:           4
        .value_kind:     hidden_block_count_z
      - .offset:         76
        .size:           2
        .value_kind:     hidden_group_size_x
      - .offset:         78
        .size:           2
        .value_kind:     hidden_group_size_y
      - .offset:         80
        .size:           2
        .value_kind:     hidden_group_size_z
      - .offset:         82
        .size:           2
        .value_kind:     hidden_remainder_x
      - .offset:         84
        .size:           2
        .value_kind:     hidden_remainder_y
      - .offset:         86
        .size:           2
        .value_kind:     hidden_remainder_z
      - .offset:         104
        .size:           8
        .value_kind:     hidden_global_offset_x
      - .offset:         112
        .size:           8
        .value_kind:     hidden_global_offset_y
      - .offset:         120
        .size:           8
        .value_kind:     hidden_global_offset_z
      - .offset:         128
        .size:           2
        .value_kind:     hidden_grid_dims
    .group_segment_fixed_size: 0
    .kernarg_segment_align: 8
    .kernarg_segment_size: 320
    .language:       OpenCL C
    .language_version:
      - 2
      - 0
    .max_flat_workgroup_size: 32
    .name:           _ZN2at6native12_GLOBAL__N_135GammaBetaBackwardCUDAKernelTemplateIN3c104HalfEfLj32ELj1ELj32ELb1ELb1ELb1EEEvllPKT_S7_PKT0_SA_PS5_SB_
    .private_segment_fixed_size: 0
    .sgpr_count:     25
    .sgpr_spill_count: 0
    .symbol:         _ZN2at6native12_GLOBAL__N_135GammaBetaBackwardCUDAKernelTemplateIN3c104HalfEfLj32ELj1ELj32ELb1ELb1ELb1EEEvllPKT_S7_PKT0_SA_PS5_SB_.kd
    .uniform_work_group_size: 1
    .uses_dynamic_stack: false
    .vgpr_count:     96
    .vgpr_spill_count: 0
    .wavefront_size: 32
    .workgroup_processor_mode: 1
  - .args:
      - .offset:         0
        .size:           8
        .value_kind:     by_value
      - .offset:         8
        .size:           8
        .value_kind:     by_value
      - .actual_access:  read_only
        .address_space:  global
        .offset:         16
        .size:           8
        .value_kind:     global_buffer
      - .actual_access:  read_only
        .address_space:  global
        .offset:         24
        .size:           8
        .value_kind:     global_buffer
      - .actual_access:  read_only
        .address_space:  global
        .offset:         32
        .size:           8
        .value_kind:     global_buffer
      - .actual_access:  read_only
        .address_space:  global
        .offset:         40
        .size:           8
        .value_kind:     global_buffer
      - .actual_access:  write_only
        .address_space:  global
        .offset:         48
        .size:           8
        .value_kind:     global_buffer
      - .actual_access:  read_only
        .address_space:  global
        .offset:         56
        .size:           8
        .value_kind:     global_buffer
      - .offset:         64
        .size:           4
        .value_kind:     hidden_block_count_x
      - .offset:         68
        .size:           4
        .value_kind:     hidden_block_count_y
      - .offset:         72
        .size:           4
        .value_kind:     hidden_block_count_z
      - .offset:         76
        .size:           2
        .value_kind:     hidden_group_size_x
      - .offset:         78
        .size:           2
        .value_kind:     hidden_group_size_y
      - .offset:         80
        .size:           2
        .value_kind:     hidden_group_size_z
      - .offset:         82
        .size:           2
        .value_kind:     hidden_remainder_x
      - .offset:         84
        .size:           2
        .value_kind:     hidden_remainder_y
      - .offset:         86
        .size:           2
        .value_kind:     hidden_remainder_z
      - .offset:         104
        .size:           8
        .value_kind:     hidden_global_offset_x
      - .offset:         112
        .size:           8
        .value_kind:     hidden_global_offset_y
      - .offset:         120
        .size:           8
        .value_kind:     hidden_global_offset_z
      - .offset:         128
        .size:           2
        .value_kind:     hidden_grid_dims
    .group_segment_fixed_size: 0
    .kernarg_segment_align: 8
    .kernarg_segment_size: 320
    .language:       OpenCL C
    .language_version:
      - 2
      - 0
    .max_flat_workgroup_size: 32
    .name:           _ZN2at6native12_GLOBAL__N_135GammaBetaBackwardCUDAKernelTemplateIN3c104HalfEfLj32ELj1ELj32ELb1ELb0ELb1EEEvllPKT_S7_PKT0_SA_PS5_SB_
    .private_segment_fixed_size: 316
    .sgpr_count:     34
    .sgpr_spill_count: 0
    .symbol:         _ZN2at6native12_GLOBAL__N_135GammaBetaBackwardCUDAKernelTemplateIN3c104HalfEfLj32ELj1ELj32ELb1ELb0ELb1EEEvllPKT_S7_PKT0_SA_PS5_SB_.kd
    .uniform_work_group_size: 1
    .uses_dynamic_stack: false
    .vgpr_count:     256
    .vgpr_spill_count: 153
    .wavefront_size: 32
    .workgroup_processor_mode: 1
  - .args:
      - .offset:         0
        .size:           8
        .value_kind:     by_value
      - .offset:         8
        .size:           8
        .value_kind:     by_value
      - .actual_access:  read_only
        .address_space:  global
        .offset:         16
        .size:           8
        .value_kind:     global_buffer
      - .actual_access:  read_only
        .address_space:  global
        .offset:         24
        .size:           8
        .value_kind:     global_buffer
      - .actual_access:  read_only
        .address_space:  global
        .offset:         32
        .size:           8
        .value_kind:     global_buffer
      - .actual_access:  read_only
        .address_space:  global
        .offset:         40
        .size:           8
        .value_kind:     global_buffer
      - .actual_access:  write_only
        .address_space:  global
        .offset:         48
        .size:           8
        .value_kind:     global_buffer
      - .actual_access:  read_only
        .address_space:  global
        .offset:         56
        .size:           8
        .value_kind:     global_buffer
      - .offset:         64
        .size:           4
        .value_kind:     hidden_block_count_x
      - .offset:         68
        .size:           4
        .value_kind:     hidden_block_count_y
      - .offset:         72
        .size:           4
        .value_kind:     hidden_block_count_z
      - .offset:         76
        .size:           2
        .value_kind:     hidden_group_size_x
      - .offset:         78
        .size:           2
        .value_kind:     hidden_group_size_y
      - .offset:         80
        .size:           2
        .value_kind:     hidden_group_size_z
      - .offset:         82
        .size:           2
        .value_kind:     hidden_remainder_x
      - .offset:         84
        .size:           2
        .value_kind:     hidden_remainder_y
      - .offset:         86
        .size:           2
        .value_kind:     hidden_remainder_z
      - .offset:         104
        .size:           8
        .value_kind:     hidden_global_offset_x
      - .offset:         112
        .size:           8
        .value_kind:     hidden_global_offset_y
      - .offset:         120
        .size:           8
        .value_kind:     hidden_global_offset_z
      - .offset:         128
        .size:           2
        .value_kind:     hidden_grid_dims
    .group_segment_fixed_size: 0
    .kernarg_segment_align: 8
    .kernarg_segment_size: 320
    .language:       OpenCL C
    .language_version:
      - 2
      - 0
    .max_flat_workgroup_size: 32
    .name:           _ZN2at6native12_GLOBAL__N_135GammaBetaBackwardCUDAKernelTemplateIN3c104HalfEfLj32ELj1ELj8ELb1ELb1ELb1EEEvllPKT_S7_PKT0_SA_PS5_SB_
    .private_segment_fixed_size: 0
    .sgpr_count:     27
    .sgpr_spill_count: 0
    .symbol:         _ZN2at6native12_GLOBAL__N_135GammaBetaBackwardCUDAKernelTemplateIN3c104HalfEfLj32ELj1ELj8ELb1ELb1ELb1EEEvllPKT_S7_PKT0_SA_PS5_SB_.kd
    .uniform_work_group_size: 1
    .uses_dynamic_stack: false
    .vgpr_count:     40
    .vgpr_spill_count: 0
    .wavefront_size: 32
    .workgroup_processor_mode: 1
  - .args:
      - .offset:         0
        .size:           8
        .value_kind:     by_value
      - .offset:         8
        .size:           8
        .value_kind:     by_value
      - .actual_access:  read_only
        .address_space:  global
        .offset:         16
        .size:           8
        .value_kind:     global_buffer
      - .actual_access:  read_only
        .address_space:  global
        .offset:         24
        .size:           8
        .value_kind:     global_buffer
      - .actual_access:  read_only
        .address_space:  global
        .offset:         32
        .size:           8
        .value_kind:     global_buffer
      - .actual_access:  read_only
        .address_space:  global
        .offset:         40
        .size:           8
        .value_kind:     global_buffer
      - .actual_access:  write_only
        .address_space:  global
        .offset:         48
        .size:           8
        .value_kind:     global_buffer
      - .actual_access:  read_only
        .address_space:  global
        .offset:         56
        .size:           8
        .value_kind:     global_buffer
      - .offset:         64
        .size:           4
        .value_kind:     hidden_block_count_x
      - .offset:         68
        .size:           4
        .value_kind:     hidden_block_count_y
      - .offset:         72
        .size:           4
        .value_kind:     hidden_block_count_z
      - .offset:         76
        .size:           2
        .value_kind:     hidden_group_size_x
      - .offset:         78
        .size:           2
        .value_kind:     hidden_group_size_y
      - .offset:         80
        .size:           2
        .value_kind:     hidden_group_size_z
      - .offset:         82
        .size:           2
        .value_kind:     hidden_remainder_x
      - .offset:         84
        .size:           2
        .value_kind:     hidden_remainder_y
      - .offset:         86
        .size:           2
        .value_kind:     hidden_remainder_z
      - .offset:         104
        .size:           8
        .value_kind:     hidden_global_offset_x
      - .offset:         112
        .size:           8
        .value_kind:     hidden_global_offset_y
      - .offset:         120
        .size:           8
        .value_kind:     hidden_global_offset_z
      - .offset:         128
        .size:           2
        .value_kind:     hidden_grid_dims
    .group_segment_fixed_size: 0
    .kernarg_segment_align: 8
    .kernarg_segment_size: 320
    .language:       OpenCL C
    .language_version:
      - 2
      - 0
    .max_flat_workgroup_size: 32
    .name:           _ZN2at6native12_GLOBAL__N_135GammaBetaBackwardCUDAKernelTemplateIN3c104HalfEfLj32ELj1ELj8ELb1ELb0ELb1EEEvllPKT_S7_PKT0_SA_PS5_SB_
    .private_segment_fixed_size: 0
    .sgpr_count:     34
    .sgpr_spill_count: 0
    .symbol:         _ZN2at6native12_GLOBAL__N_135GammaBetaBackwardCUDAKernelTemplateIN3c104HalfEfLj32ELj1ELj8ELb1ELb0ELb1EEEvllPKT_S7_PKT0_SA_PS5_SB_.kd
    .uniform_work_group_size: 1
    .uses_dynamic_stack: false
    .vgpr_count:     93
    .vgpr_spill_count: 0
    .wavefront_size: 32
    .workgroup_processor_mode: 1
  - .args:
      - .offset:         0
        .size:           8
        .value_kind:     by_value
      - .offset:         8
        .size:           8
        .value_kind:     by_value
      - .actual_access:  read_only
        .address_space:  global
        .offset:         16
        .size:           8
        .value_kind:     global_buffer
      - .actual_access:  read_only
        .address_space:  global
        .offset:         24
        .size:           8
        .value_kind:     global_buffer
      - .actual_access:  read_only
        .address_space:  global
        .offset:         32
        .size:           8
        .value_kind:     global_buffer
      - .actual_access:  read_only
        .address_space:  global
        .offset:         40
        .size:           8
        .value_kind:     global_buffer
      - .actual_access:  write_only
        .address_space:  global
        .offset:         48
        .size:           8
        .value_kind:     global_buffer
      - .actual_access:  read_only
        .address_space:  global
        .offset:         56
        .size:           8
        .value_kind:     global_buffer
      - .offset:         64
        .size:           4
        .value_kind:     hidden_block_count_x
      - .offset:         68
        .size:           4
        .value_kind:     hidden_block_count_y
      - .offset:         72
        .size:           4
        .value_kind:     hidden_block_count_z
      - .offset:         76
        .size:           2
        .value_kind:     hidden_group_size_x
      - .offset:         78
        .size:           2
        .value_kind:     hidden_group_size_y
      - .offset:         80
        .size:           2
        .value_kind:     hidden_group_size_z
      - .offset:         82
        .size:           2
        .value_kind:     hidden_remainder_x
      - .offset:         84
        .size:           2
        .value_kind:     hidden_remainder_y
      - .offset:         86
        .size:           2
        .value_kind:     hidden_remainder_z
      - .offset:         104
        .size:           8
        .value_kind:     hidden_global_offset_x
      - .offset:         112
        .size:           8
        .value_kind:     hidden_global_offset_y
      - .offset:         120
        .size:           8
        .value_kind:     hidden_global_offset_z
      - .offset:         128
        .size:           2
        .value_kind:     hidden_grid_dims
      - .offset:         184
        .size:           4
        .value_kind:     hidden_dynamic_lds_size
    .group_segment_fixed_size: 0
    .kernarg_segment_align: 8
    .kernarg_segment_size: 320
    .language:       OpenCL C
    .language_version:
      - 2
      - 0
    .max_flat_workgroup_size: 256
    .name:           _ZN2at6native12_GLOBAL__N_135GammaBetaBackwardCUDAKernelTemplateIN3c104HalfEfLj32ELj8ELj64ELb0ELb1ELb1EEEvllPKT_S7_PKT0_SA_PS5_SB_
    .private_segment_fixed_size: 0
    .sgpr_count:     23
    .sgpr_spill_count: 0
    .symbol:         _ZN2at6native12_GLOBAL__N_135GammaBetaBackwardCUDAKernelTemplateIN3c104HalfEfLj32ELj8ELj64ELb0ELb1ELb1EEEvllPKT_S7_PKT0_SA_PS5_SB_.kd
    .uniform_work_group_size: 1
    .uses_dynamic_stack: false
    .vgpr_count:     40
    .vgpr_spill_count: 0
    .wavefront_size: 32
    .workgroup_processor_mode: 1
  - .args:
      - .offset:         0
        .size:           8
        .value_kind:     by_value
      - .offset:         8
        .size:           8
        .value_kind:     by_value
      - .actual_access:  read_only
        .address_space:  global
        .offset:         16
        .size:           8
        .value_kind:     global_buffer
      - .actual_access:  read_only
        .address_space:  global
        .offset:         24
        .size:           8
        .value_kind:     global_buffer
      - .actual_access:  read_only
        .address_space:  global
        .offset:         32
        .size:           8
        .value_kind:     global_buffer
      - .actual_access:  read_only
        .address_space:  global
        .offset:         40
        .size:           8
        .value_kind:     global_buffer
      - .actual_access:  write_only
        .address_space:  global
        .offset:         48
        .size:           8
        .value_kind:     global_buffer
      - .actual_access:  read_only
        .address_space:  global
        .offset:         56
        .size:           8
        .value_kind:     global_buffer
      - .offset:         64
        .size:           4
        .value_kind:     hidden_block_count_x
      - .offset:         68
        .size:           4
        .value_kind:     hidden_block_count_y
      - .offset:         72
        .size:           4
        .value_kind:     hidden_block_count_z
      - .offset:         76
        .size:           2
        .value_kind:     hidden_group_size_x
      - .offset:         78
        .size:           2
        .value_kind:     hidden_group_size_y
      - .offset:         80
        .size:           2
        .value_kind:     hidden_group_size_z
      - .offset:         82
        .size:           2
        .value_kind:     hidden_remainder_x
      - .offset:         84
        .size:           2
        .value_kind:     hidden_remainder_y
      - .offset:         86
        .size:           2
        .value_kind:     hidden_remainder_z
      - .offset:         104
        .size:           8
        .value_kind:     hidden_global_offset_x
      - .offset:         112
        .size:           8
        .value_kind:     hidden_global_offset_y
      - .offset:         120
        .size:           8
        .value_kind:     hidden_global_offset_z
      - .offset:         128
        .size:           2
        .value_kind:     hidden_grid_dims
      - .offset:         184
        .size:           4
        .value_kind:     hidden_dynamic_lds_size
    .group_segment_fixed_size: 0
    .kernarg_segment_align: 8
    .kernarg_segment_size: 320
    .language:       OpenCL C
    .language_version:
      - 2
      - 0
    .max_flat_workgroup_size: 256
    .name:           _ZN2at6native12_GLOBAL__N_135GammaBetaBackwardCUDAKernelTemplateIN3c104HalfEfLj32ELj8ELj64ELb0ELb0ELb1EEEvllPKT_S7_PKT0_SA_PS5_SB_
    .private_segment_fixed_size: 0
    .sgpr_count:     34
    .sgpr_spill_count: 0
    .symbol:         _ZN2at6native12_GLOBAL__N_135GammaBetaBackwardCUDAKernelTemplateIN3c104HalfEfLj32ELj8ELj64ELb0ELb0ELb1EEEvllPKT_S7_PKT0_SA_PS5_SB_.kd
    .uniform_work_group_size: 1
    .uses_dynamic_stack: false
    .vgpr_count:     92
    .vgpr_spill_count: 0
    .wavefront_size: 32
    .workgroup_processor_mode: 1
  - .args:
      - .offset:         0
        .size:           8
        .value_kind:     by_value
      - .offset:         8
        .size:           8
        .value_kind:     by_value
      - .actual_access:  read_only
        .address_space:  global
        .offset:         16
        .size:           8
        .value_kind:     global_buffer
      - .actual_access:  read_only
        .address_space:  global
        .offset:         24
        .size:           8
        .value_kind:     global_buffer
      - .actual_access:  read_only
        .address_space:  global
        .offset:         32
        .size:           8
        .value_kind:     global_buffer
      - .actual_access:  read_only
        .address_space:  global
        .offset:         40
        .size:           8
        .value_kind:     global_buffer
      - .actual_access:  write_only
        .address_space:  global
        .offset:         48
        .size:           8
        .value_kind:     global_buffer
      - .actual_access:  read_only
        .address_space:  global
        .offset:         56
        .size:           8
        .value_kind:     global_buffer
      - .offset:         64
        .size:           4
        .value_kind:     hidden_block_count_x
      - .offset:         68
        .size:           4
        .value_kind:     hidden_block_count_y
      - .offset:         72
        .size:           4
        .value_kind:     hidden_block_count_z
      - .offset:         76
        .size:           2
        .value_kind:     hidden_group_size_x
      - .offset:         78
        .size:           2
        .value_kind:     hidden_group_size_y
      - .offset:         80
        .size:           2
        .value_kind:     hidden_group_size_z
      - .offset:         82
        .size:           2
        .value_kind:     hidden_remainder_x
      - .offset:         84
        .size:           2
        .value_kind:     hidden_remainder_y
      - .offset:         86
        .size:           2
        .value_kind:     hidden_remainder_z
      - .offset:         104
        .size:           8
        .value_kind:     hidden_global_offset_x
      - .offset:         112
        .size:           8
        .value_kind:     hidden_global_offset_y
      - .offset:         120
        .size:           8
        .value_kind:     hidden_global_offset_z
      - .offset:         128
        .size:           2
        .value_kind:     hidden_grid_dims
      - .offset:         184
        .size:           4
        .value_kind:     hidden_dynamic_lds_size
    .group_segment_fixed_size: 0
    .kernarg_segment_align: 8
    .kernarg_segment_size: 320
    .language:       OpenCL C
    .language_version:
      - 2
      - 0
    .max_flat_workgroup_size: 512
    .name:           _ZN2at6native12_GLOBAL__N_135GammaBetaBackwardCUDAKernelTemplateIN3c104HalfEfLj32ELj16ELj128ELb0ELb1ELb1EEEvllPKT_S7_PKT0_SA_PS5_SB_
    .private_segment_fixed_size: 0
    .sgpr_count:     23
    .sgpr_spill_count: 0
    .symbol:         _ZN2at6native12_GLOBAL__N_135GammaBetaBackwardCUDAKernelTemplateIN3c104HalfEfLj32ELj16ELj128ELb0ELb1ELb1EEEvllPKT_S7_PKT0_SA_PS5_SB_.kd
    .uniform_work_group_size: 1
    .uses_dynamic_stack: false
    .vgpr_count:     40
    .vgpr_spill_count: 0
    .wavefront_size: 32
    .workgroup_processor_mode: 1
  - .args:
      - .offset:         0
        .size:           8
        .value_kind:     by_value
      - .offset:         8
        .size:           8
        .value_kind:     by_value
      - .actual_access:  read_only
        .address_space:  global
        .offset:         16
        .size:           8
        .value_kind:     global_buffer
      - .actual_access:  read_only
        .address_space:  global
        .offset:         24
        .size:           8
        .value_kind:     global_buffer
      - .actual_access:  read_only
        .address_space:  global
        .offset:         32
        .size:           8
        .value_kind:     global_buffer
      - .actual_access:  read_only
        .address_space:  global
        .offset:         40
        .size:           8
        .value_kind:     global_buffer
      - .actual_access:  write_only
        .address_space:  global
        .offset:         48
        .size:           8
        .value_kind:     global_buffer
      - .actual_access:  read_only
        .address_space:  global
        .offset:         56
        .size:           8
        .value_kind:     global_buffer
      - .offset:         64
        .size:           4
        .value_kind:     hidden_block_count_x
      - .offset:         68
        .size:           4
        .value_kind:     hidden_block_count_y
      - .offset:         72
        .size:           4
        .value_kind:     hidden_block_count_z
      - .offset:         76
        .size:           2
        .value_kind:     hidden_group_size_x
      - .offset:         78
        .size:           2
        .value_kind:     hidden_group_size_y
      - .offset:         80
        .size:           2
        .value_kind:     hidden_group_size_z
      - .offset:         82
        .size:           2
        .value_kind:     hidden_remainder_x
      - .offset:         84
        .size:           2
        .value_kind:     hidden_remainder_y
      - .offset:         86
        .size:           2
        .value_kind:     hidden_remainder_z
      - .offset:         104
        .size:           8
        .value_kind:     hidden_global_offset_x
      - .offset:         112
        .size:           8
        .value_kind:     hidden_global_offset_y
      - .offset:         120
        .size:           8
        .value_kind:     hidden_global_offset_z
      - .offset:         128
        .size:           2
        .value_kind:     hidden_grid_dims
      - .offset:         184
        .size:           4
        .value_kind:     hidden_dynamic_lds_size
    .group_segment_fixed_size: 0
    .kernarg_segment_align: 8
    .kernarg_segment_size: 320
    .language:       OpenCL C
    .language_version:
      - 2
      - 0
    .max_flat_workgroup_size: 512
    .name:           _ZN2at6native12_GLOBAL__N_135GammaBetaBackwardCUDAKernelTemplateIN3c104HalfEfLj32ELj16ELj128ELb0ELb0ELb1EEEvllPKT_S7_PKT0_SA_PS5_SB_
    .private_segment_fixed_size: 0
    .sgpr_count:     34
    .sgpr_spill_count: 0
    .symbol:         _ZN2at6native12_GLOBAL__N_135GammaBetaBackwardCUDAKernelTemplateIN3c104HalfEfLj32ELj16ELj128ELb0ELb0ELb1EEEvllPKT_S7_PKT0_SA_PS5_SB_.kd
    .uniform_work_group_size: 1
    .uses_dynamic_stack: false
    .vgpr_count:     92
    .vgpr_spill_count: 0
    .wavefront_size: 32
    .workgroup_processor_mode: 1
  - .args:
      - .offset:         0
        .size:           8
        .value_kind:     by_value
      - .offset:         8
        .size:           8
        .value_kind:     by_value
      - .actual_access:  read_only
        .address_space:  global
        .offset:         16
        .size:           8
        .value_kind:     global_buffer
      - .actual_access:  read_only
        .address_space:  global
        .offset:         24
        .size:           8
        .value_kind:     global_buffer
      - .actual_access:  read_only
        .address_space:  global
        .offset:         32
        .size:           8
        .value_kind:     global_buffer
      - .actual_access:  read_only
        .address_space:  global
        .offset:         40
        .size:           8
        .value_kind:     global_buffer
      - .actual_access:  write_only
        .address_space:  global
        .offset:         48
        .size:           8
        .value_kind:     global_buffer
      - .actual_access:  read_only
        .address_space:  global
        .offset:         56
        .size:           8
        .value_kind:     global_buffer
      - .offset:         64
        .size:           4
        .value_kind:     hidden_block_count_x
      - .offset:         68
        .size:           4
        .value_kind:     hidden_block_count_y
      - .offset:         72
        .size:           4
        .value_kind:     hidden_block_count_z
      - .offset:         76
        .size:           2
        .value_kind:     hidden_group_size_x
      - .offset:         78
        .size:           2
        .value_kind:     hidden_group_size_y
      - .offset:         80
        .size:           2
        .value_kind:     hidden_group_size_z
      - .offset:         82
        .size:           2
        .value_kind:     hidden_remainder_x
      - .offset:         84
        .size:           2
        .value_kind:     hidden_remainder_y
      - .offset:         86
        .size:           2
        .value_kind:     hidden_remainder_z
      - .offset:         104
        .size:           8
        .value_kind:     hidden_global_offset_x
      - .offset:         112
        .size:           8
        .value_kind:     hidden_global_offset_y
      - .offset:         120
        .size:           8
        .value_kind:     hidden_global_offset_z
      - .offset:         128
        .size:           2
        .value_kind:     hidden_grid_dims
      - .offset:         184
        .size:           4
        .value_kind:     hidden_dynamic_lds_size
    .group_segment_fixed_size: 0
    .kernarg_segment_align: 8
    .kernarg_segment_size: 320
    .language:       OpenCL C
    .language_version:
      - 2
      - 0
    .max_flat_workgroup_size: 1024
    .name:           _ZN2at6native12_GLOBAL__N_135GammaBetaBackwardCUDAKernelTemplateIN3c104HalfEfLj32ELj32ELj256ELb0ELb1ELb1EEEvllPKT_S7_PKT0_SA_PS5_SB_
    .private_segment_fixed_size: 0
    .sgpr_count:     23
    .sgpr_spill_count: 0
    .symbol:         _ZN2at6native12_GLOBAL__N_135GammaBetaBackwardCUDAKernelTemplateIN3c104HalfEfLj32ELj32ELj256ELb0ELb1ELb1EEEvllPKT_S7_PKT0_SA_PS5_SB_.kd
    .uniform_work_group_size: 1
    .uses_dynamic_stack: false
    .vgpr_count:     40
    .vgpr_spill_count: 0
    .wavefront_size: 32
    .workgroup_processor_mode: 1
  - .args:
      - .offset:         0
        .size:           8
        .value_kind:     by_value
      - .offset:         8
        .size:           8
        .value_kind:     by_value
      - .actual_access:  read_only
        .address_space:  global
        .offset:         16
        .size:           8
        .value_kind:     global_buffer
      - .actual_access:  read_only
        .address_space:  global
        .offset:         24
        .size:           8
        .value_kind:     global_buffer
      - .actual_access:  read_only
        .address_space:  global
        .offset:         32
        .size:           8
        .value_kind:     global_buffer
      - .actual_access:  read_only
        .address_space:  global
        .offset:         40
        .size:           8
        .value_kind:     global_buffer
      - .actual_access:  write_only
        .address_space:  global
        .offset:         48
        .size:           8
        .value_kind:     global_buffer
      - .actual_access:  read_only
        .address_space:  global
        .offset:         56
        .size:           8
        .value_kind:     global_buffer
      - .offset:         64
        .size:           4
        .value_kind:     hidden_block_count_x
      - .offset:         68
        .size:           4
        .value_kind:     hidden_block_count_y
      - .offset:         72
        .size:           4
        .value_kind:     hidden_block_count_z
      - .offset:         76
        .size:           2
        .value_kind:     hidden_group_size_x
      - .offset:         78
        .size:           2
        .value_kind:     hidden_group_size_y
      - .offset:         80
        .size:           2
        .value_kind:     hidden_group_size_z
      - .offset:         82
        .size:           2
        .value_kind:     hidden_remainder_x
      - .offset:         84
        .size:           2
        .value_kind:     hidden_remainder_y
      - .offset:         86
        .size:           2
        .value_kind:     hidden_remainder_z
      - .offset:         104
        .size:           8
        .value_kind:     hidden_global_offset_x
      - .offset:         112
        .size:           8
        .value_kind:     hidden_global_offset_y
      - .offset:         120
        .size:           8
        .value_kind:     hidden_global_offset_z
      - .offset:         128
        .size:           2
        .value_kind:     hidden_grid_dims
      - .offset:         184
        .size:           4
        .value_kind:     hidden_dynamic_lds_size
    .group_segment_fixed_size: 0
    .kernarg_segment_align: 8
    .kernarg_segment_size: 320
    .language:       OpenCL C
    .language_version:
      - 2
      - 0
    .max_flat_workgroup_size: 1024
    .name:           _ZN2at6native12_GLOBAL__N_135GammaBetaBackwardCUDAKernelTemplateIN3c104HalfEfLj32ELj32ELj256ELb0ELb0ELb1EEEvllPKT_S7_PKT0_SA_PS5_SB_
    .private_segment_fixed_size: 0
    .sgpr_count:     34
    .sgpr_spill_count: 0
    .symbol:         _ZN2at6native12_GLOBAL__N_135GammaBetaBackwardCUDAKernelTemplateIN3c104HalfEfLj32ELj32ELj256ELb0ELb0ELb1EEEvllPKT_S7_PKT0_SA_PS5_SB_.kd
    .uniform_work_group_size: 1
    .uses_dynamic_stack: false
    .vgpr_count:     92
    .vgpr_spill_count: 0
    .wavefront_size: 32
    .workgroup_processor_mode: 1
  - .args:
      - .actual_access:  read_only
        .address_space:  global
        .offset:         0
        .size:           8
        .value_kind:     global_buffer
      - .actual_access:  read_only
        .address_space:  global
        .offset:         8
        .size:           8
        .value_kind:     global_buffer
      - .offset:         16
        .size:           8
        .value_kind:     by_value
      - .offset:         24
        .size:           8
        .value_kind:     by_value
      - .actual_access:  read_only
        .address_space:  global
        .offset:         32
        .size:           8
        .value_kind:     global_buffer
      - .actual_access:  read_only
        .address_space:  global
        .offset:         40
        .size:           8
        .value_kind:     global_buffer
      - .address_space:  global
        .offset:         48
        .size:           8
        .value_kind:     global_buffer
      - .address_space:  global
        .offset:         56
        .size:           8
        .value_kind:     global_buffer
      - .offset:         64
        .size:           4
        .value_kind:     hidden_block_count_x
      - .offset:         68
        .size:           4
        .value_kind:     hidden_block_count_y
      - .offset:         72
        .size:           4
        .value_kind:     hidden_block_count_z
      - .offset:         76
        .size:           2
        .value_kind:     hidden_group_size_x
      - .offset:         78
        .size:           2
        .value_kind:     hidden_group_size_y
      - .offset:         80
        .size:           2
        .value_kind:     hidden_group_size_z
      - .offset:         82
        .size:           2
        .value_kind:     hidden_remainder_x
      - .offset:         84
        .size:           2
        .value_kind:     hidden_remainder_y
      - .offset:         86
        .size:           2
        .value_kind:     hidden_remainder_z
      - .offset:         104
        .size:           8
        .value_kind:     hidden_global_offset_x
      - .offset:         112
        .size:           8
        .value_kind:     hidden_global_offset_y
      - .offset:         120
        .size:           8
        .value_kind:     hidden_global_offset_z
      - .offset:         128
        .size:           2
        .value_kind:     hidden_grid_dims
      - .offset:         184
        .size:           4
        .value_kind:     hidden_dynamic_lds_size
    .group_segment_fixed_size: 0
    .kernarg_segment_align: 8
    .kernarg_segment_size: 320
    .language:       OpenCL C
    .language_version:
      - 2
      - 0
    .max_flat_workgroup_size: 1024
    .name:           _ZN2at6native12_GLOBAL__N_118cuComputeGradInputIN3c108BFloat16EfLb1EEEvPKT_S7_llPKT0_SA_S7_PS5_
    .private_segment_fixed_size: 0
    .sgpr_count:     41
    .sgpr_spill_count: 0
    .symbol:         _ZN2at6native12_GLOBAL__N_118cuComputeGradInputIN3c108BFloat16EfLb1EEEvPKT_S7_llPKT0_SA_S7_PS5_.kd
    .uniform_work_group_size: 1
    .uses_dynamic_stack: false
    .vgpr_count:     26
    .vgpr_spill_count: 0
    .wavefront_size: 32
    .workgroup_processor_mode: 1
  - .args:
      - .actual_access:  read_only
        .address_space:  global
        .offset:         0
        .size:           8
        .value_kind:     global_buffer
      - .actual_access:  read_only
        .address_space:  global
        .offset:         8
        .size:           8
        .value_kind:     global_buffer
      - .actual_access:  read_only
        .address_space:  global
        .offset:         16
        .size:           8
        .value_kind:     global_buffer
      - .actual_access:  read_only
        .address_space:  global
        .offset:         24
        .size:           8
        .value_kind:     global_buffer
      - .actual_access:  read_only
        .address_space:  global
        .offset:         32
        .size:           8
        .value_kind:     global_buffer
      - .address_space:  global
        .offset:         40
        .size:           8
        .value_kind:     global_buffer
      - .offset:         48
        .size:           4
        .value_kind:     by_value
      - .offset:         56
        .size:           4
        .value_kind:     hidden_block_count_x
      - .offset:         60
        .size:           4
        .value_kind:     hidden_block_count_y
      - .offset:         64
        .size:           4
        .value_kind:     hidden_block_count_z
      - .offset:         68
        .size:           2
        .value_kind:     hidden_group_size_x
      - .offset:         70
        .size:           2
        .value_kind:     hidden_group_size_y
      - .offset:         72
        .size:           2
        .value_kind:     hidden_group_size_z
      - .offset:         74
        .size:           2
        .value_kind:     hidden_remainder_x
      - .offset:         76
        .size:           2
        .value_kind:     hidden_remainder_y
      - .offset:         78
        .size:           2
        .value_kind:     hidden_remainder_z
      - .offset:         96
        .size:           8
        .value_kind:     hidden_global_offset_x
      - .offset:         104
        .size:           8
        .value_kind:     hidden_global_offset_y
      - .offset:         112
        .size:           8
        .value_kind:     hidden_global_offset_z
      - .offset:         120
        .size:           2
        .value_kind:     hidden_grid_dims
      - .offset:         176
        .size:           4
        .value_kind:     hidden_dynamic_lds_size
    .group_segment_fixed_size: 0
    .kernarg_segment_align: 8
    .kernarg_segment_size: 312
    .language:       OpenCL C
    .language_version:
      - 2
      - 0
    .max_flat_workgroup_size: 1024
    .name:           _ZN2at6native12_GLOBAL__N_128layer_norm_grad_input_kernelIN3c108BFloat16EfLb1EEEvPKT_S7_PKT0_SA_S7_PS5_i
    .private_segment_fixed_size: 0
    .sgpr_count:     24
    .sgpr_spill_count: 0
    .symbol:         _ZN2at6native12_GLOBAL__N_128layer_norm_grad_input_kernelIN3c108BFloat16EfLb1EEEvPKT_S7_PKT0_SA_S7_PS5_i.kd
    .uniform_work_group_size: 1
    .uses_dynamic_stack: false
    .vgpr_count:     20
    .vgpr_spill_count: 0
    .wavefront_size: 32
    .workgroup_processor_mode: 1
  - .args:
      - .offset:         0
        .size:           8
        .value_kind:     by_value
      - .offset:         8
        .size:           8
        .value_kind:     by_value
      - .address_space:  global
        .offset:         16
        .size:           8
        .value_kind:     global_buffer
      - .address_space:  global
        .offset:         24
        .size:           8
        .value_kind:     global_buffer
      - .address_space:  global
        .offset:         32
        .size:           8
        .value_kind:     global_buffer
      - .address_space:  global
        .offset:         40
        .size:           8
        .value_kind:     global_buffer
      - .address_space:  global
        .offset:         48
        .size:           8
        .value_kind:     global_buffer
      - .address_space:  global
        .offset:         56
        .size:           8
        .value_kind:     global_buffer
      - .offset:         64
        .size:           4
        .value_kind:     hidden_block_count_x
      - .offset:         68
        .size:           4
        .value_kind:     hidden_block_count_y
      - .offset:         72
        .size:           4
        .value_kind:     hidden_block_count_z
      - .offset:         76
        .size:           2
        .value_kind:     hidden_group_size_x
      - .offset:         78
        .size:           2
        .value_kind:     hidden_group_size_y
      - .offset:         80
        .size:           2
        .value_kind:     hidden_group_size_z
      - .offset:         82
        .size:           2
        .value_kind:     hidden_remainder_x
      - .offset:         84
        .size:           2
        .value_kind:     hidden_remainder_y
      - .offset:         86
        .size:           2
        .value_kind:     hidden_remainder_z
      - .offset:         104
        .size:           8
        .value_kind:     hidden_global_offset_x
      - .offset:         112
        .size:           8
        .value_kind:     hidden_global_offset_y
      - .offset:         120
        .size:           8
        .value_kind:     hidden_global_offset_z
      - .offset:         128
        .size:           2
        .value_kind:     hidden_grid_dims
    .group_segment_fixed_size: 0
    .kernarg_segment_align: 8
    .kernarg_segment_size: 320
    .language:       OpenCL C
    .language_version:
      - 2
      - 0
    .max_flat_workgroup_size: 1024
    .name:           _ZN2at6native12_GLOBAL__N_133GammaBetaBackwardSimpleCUDAKernelIN3c108BFloat16EfLb1EEEvllPKT_S7_PKT0_SA_PS5_SB_
    .private_segment_fixed_size: 0
    .sgpr_count:     16
    .sgpr_spill_count: 0
    .symbol:         _ZN2at6native12_GLOBAL__N_133GammaBetaBackwardSimpleCUDAKernelIN3c108BFloat16EfLb1EEEvllPKT_S7_PKT0_SA_PS5_SB_.kd
    .uniform_work_group_size: 1
    .uses_dynamic_stack: false
    .vgpr_count:     10
    .vgpr_spill_count: 0
    .wavefront_size: 32
    .workgroup_processor_mode: 1
  - .args:
      - .offset:         0
        .size:           8
        .value_kind:     by_value
      - .offset:         8
        .size:           8
        .value_kind:     by_value
      - .actual_access:  read_only
        .address_space:  global
        .offset:         16
        .size:           8
        .value_kind:     global_buffer
      - .actual_access:  read_only
        .address_space:  global
        .offset:         24
        .size:           8
        .value_kind:     global_buffer
      - .actual_access:  read_only
        .address_space:  global
        .offset:         32
        .size:           8
        .value_kind:     global_buffer
      - .actual_access:  read_only
        .address_space:  global
        .offset:         40
        .size:           8
        .value_kind:     global_buffer
      - .actual_access:  write_only
        .address_space:  global
        .offset:         48
        .size:           8
        .value_kind:     global_buffer
      - .actual_access:  read_only
        .address_space:  global
        .offset:         56
        .size:           8
        .value_kind:     global_buffer
      - .offset:         64
        .size:           4
        .value_kind:     hidden_block_count_x
      - .offset:         68
        .size:           4
        .value_kind:     hidden_block_count_y
      - .offset:         72
        .size:           4
        .value_kind:     hidden_block_count_z
      - .offset:         76
        .size:           2
        .value_kind:     hidden_group_size_x
      - .offset:         78
        .size:           2
        .value_kind:     hidden_group_size_y
      - .offset:         80
        .size:           2
        .value_kind:     hidden_group_size_z
      - .offset:         82
        .size:           2
        .value_kind:     hidden_remainder_x
      - .offset:         84
        .size:           2
        .value_kind:     hidden_remainder_y
      - .offset:         86
        .size:           2
        .value_kind:     hidden_remainder_z
      - .offset:         104
        .size:           8
        .value_kind:     hidden_global_offset_x
      - .offset:         112
        .size:           8
        .value_kind:     hidden_global_offset_y
      - .offset:         120
        .size:           8
        .value_kind:     hidden_global_offset_z
      - .offset:         128
        .size:           2
        .value_kind:     hidden_grid_dims
    .group_segment_fixed_size: 0
    .kernarg_segment_align: 8
    .kernarg_segment_size: 320
    .language:       OpenCL C
    .language_version:
      - 2
      - 0
    .max_flat_workgroup_size: 64
    .name:           _ZN2at6native12_GLOBAL__N_135GammaBetaBackwardCUDAKernelTemplateIN3c108BFloat16EfLj64ELj1ELj32ELb1ELb1ELb1EEEvllPKT_S7_PKT0_SA_PS5_SB_
    .private_segment_fixed_size: 0
    .sgpr_count:     25
    .sgpr_spill_count: 0
    .symbol:         _ZN2at6native12_GLOBAL__N_135GammaBetaBackwardCUDAKernelTemplateIN3c108BFloat16EfLj64ELj1ELj32ELb1ELb1ELb1EEEvllPKT_S7_PKT0_SA_PS5_SB_.kd
    .uniform_work_group_size: 1
    .uses_dynamic_stack: false
    .vgpr_count:     96
    .vgpr_spill_count: 0
    .wavefront_size: 32
    .workgroup_processor_mode: 1
  - .args:
      - .offset:         0
        .size:           8
        .value_kind:     by_value
      - .offset:         8
        .size:           8
        .value_kind:     by_value
      - .actual_access:  read_only
        .address_space:  global
        .offset:         16
        .size:           8
        .value_kind:     global_buffer
      - .actual_access:  read_only
        .address_space:  global
        .offset:         24
        .size:           8
        .value_kind:     global_buffer
      - .actual_access:  read_only
        .address_space:  global
        .offset:         32
        .size:           8
        .value_kind:     global_buffer
      - .actual_access:  read_only
        .address_space:  global
        .offset:         40
        .size:           8
        .value_kind:     global_buffer
      - .actual_access:  write_only
        .address_space:  global
        .offset:         48
        .size:           8
        .value_kind:     global_buffer
      - .actual_access:  read_only
        .address_space:  global
        .offset:         56
        .size:           8
        .value_kind:     global_buffer
      - .offset:         64
        .size:           4
        .value_kind:     hidden_block_count_x
      - .offset:         68
        .size:           4
        .value_kind:     hidden_block_count_y
      - .offset:         72
        .size:           4
        .value_kind:     hidden_block_count_z
      - .offset:         76
        .size:           2
        .value_kind:     hidden_group_size_x
      - .offset:         78
        .size:           2
        .value_kind:     hidden_group_size_y
      - .offset:         80
        .size:           2
        .value_kind:     hidden_group_size_z
      - .offset:         82
        .size:           2
        .value_kind:     hidden_remainder_x
      - .offset:         84
        .size:           2
        .value_kind:     hidden_remainder_y
      - .offset:         86
        .size:           2
        .value_kind:     hidden_remainder_z
      - .offset:         104
        .size:           8
        .value_kind:     hidden_global_offset_x
      - .offset:         112
        .size:           8
        .value_kind:     hidden_global_offset_y
      - .offset:         120
        .size:           8
        .value_kind:     hidden_global_offset_z
      - .offset:         128
        .size:           2
        .value_kind:     hidden_grid_dims
    .group_segment_fixed_size: 0
    .kernarg_segment_align: 8
    .kernarg_segment_size: 320
    .language:       OpenCL C
    .language_version:
      - 2
      - 0
    .max_flat_workgroup_size: 64
    .name:           _ZN2at6native12_GLOBAL__N_135GammaBetaBackwardCUDAKernelTemplateIN3c108BFloat16EfLj64ELj1ELj32ELb1ELb0ELb1EEEvllPKT_S7_PKT0_SA_PS5_SB_
    .private_segment_fixed_size: 316
    .sgpr_count:     34
    .sgpr_spill_count: 0
    .symbol:         _ZN2at6native12_GLOBAL__N_135GammaBetaBackwardCUDAKernelTemplateIN3c108BFloat16EfLj64ELj1ELj32ELb1ELb0ELb1EEEvllPKT_S7_PKT0_SA_PS5_SB_.kd
    .uniform_work_group_size: 1
    .uses_dynamic_stack: false
    .vgpr_count:     256
    .vgpr_spill_count: 153
    .wavefront_size: 32
    .workgroup_processor_mode: 1
  - .args:
      - .offset:         0
        .size:           8
        .value_kind:     by_value
      - .offset:         8
        .size:           8
        .value_kind:     by_value
      - .actual_access:  read_only
        .address_space:  global
        .offset:         16
        .size:           8
        .value_kind:     global_buffer
      - .actual_access:  read_only
        .address_space:  global
        .offset:         24
        .size:           8
        .value_kind:     global_buffer
      - .actual_access:  read_only
        .address_space:  global
        .offset:         32
        .size:           8
        .value_kind:     global_buffer
      - .actual_access:  read_only
        .address_space:  global
        .offset:         40
        .size:           8
        .value_kind:     global_buffer
      - .actual_access:  write_only
        .address_space:  global
        .offset:         48
        .size:           8
        .value_kind:     global_buffer
      - .actual_access:  read_only
        .address_space:  global
        .offset:         56
        .size:           8
        .value_kind:     global_buffer
      - .offset:         64
        .size:           4
        .value_kind:     hidden_block_count_x
      - .offset:         68
        .size:           4
        .value_kind:     hidden_block_count_y
      - .offset:         72
        .size:           4
        .value_kind:     hidden_block_count_z
      - .offset:         76
        .size:           2
        .value_kind:     hidden_group_size_x
      - .offset:         78
        .size:           2
        .value_kind:     hidden_group_size_y
      - .offset:         80
        .size:           2
        .value_kind:     hidden_group_size_z
      - .offset:         82
        .size:           2
        .value_kind:     hidden_remainder_x
      - .offset:         84
        .size:           2
        .value_kind:     hidden_remainder_y
      - .offset:         86
        .size:           2
        .value_kind:     hidden_remainder_z
      - .offset:         104
        .size:           8
        .value_kind:     hidden_global_offset_x
      - .offset:         112
        .size:           8
        .value_kind:     hidden_global_offset_y
      - .offset:         120
        .size:           8
        .value_kind:     hidden_global_offset_z
      - .offset:         128
        .size:           2
        .value_kind:     hidden_grid_dims
    .group_segment_fixed_size: 0
    .kernarg_segment_align: 8
    .kernarg_segment_size: 320
    .language:       OpenCL C
    .language_version:
      - 2
      - 0
    .max_flat_workgroup_size: 64
    .name:           _ZN2at6native12_GLOBAL__N_135GammaBetaBackwardCUDAKernelTemplateIN3c108BFloat16EfLj64ELj1ELj8ELb1ELb1ELb1EEEvllPKT_S7_PKT0_SA_PS5_SB_
    .private_segment_fixed_size: 0
    .sgpr_count:     27
    .sgpr_spill_count: 0
    .symbol:         _ZN2at6native12_GLOBAL__N_135GammaBetaBackwardCUDAKernelTemplateIN3c108BFloat16EfLj64ELj1ELj8ELb1ELb1ELb1EEEvllPKT_S7_PKT0_SA_PS5_SB_.kd
    .uniform_work_group_size: 1
    .uses_dynamic_stack: false
    .vgpr_count:     40
    .vgpr_spill_count: 0
    .wavefront_size: 32
    .workgroup_processor_mode: 1
  - .args:
      - .offset:         0
        .size:           8
        .value_kind:     by_value
      - .offset:         8
        .size:           8
        .value_kind:     by_value
      - .actual_access:  read_only
        .address_space:  global
        .offset:         16
        .size:           8
        .value_kind:     global_buffer
      - .actual_access:  read_only
        .address_space:  global
        .offset:         24
        .size:           8
        .value_kind:     global_buffer
      - .actual_access:  read_only
        .address_space:  global
        .offset:         32
        .size:           8
        .value_kind:     global_buffer
      - .actual_access:  read_only
        .address_space:  global
        .offset:         40
        .size:           8
        .value_kind:     global_buffer
      - .actual_access:  write_only
        .address_space:  global
        .offset:         48
        .size:           8
        .value_kind:     global_buffer
      - .actual_access:  read_only
        .address_space:  global
        .offset:         56
        .size:           8
        .value_kind:     global_buffer
      - .offset:         64
        .size:           4
        .value_kind:     hidden_block_count_x
      - .offset:         68
        .size:           4
        .value_kind:     hidden_block_count_y
      - .offset:         72
        .size:           4
        .value_kind:     hidden_block_count_z
      - .offset:         76
        .size:           2
        .value_kind:     hidden_group_size_x
      - .offset:         78
        .size:           2
        .value_kind:     hidden_group_size_y
      - .offset:         80
        .size:           2
        .value_kind:     hidden_group_size_z
      - .offset:         82
        .size:           2
        .value_kind:     hidden_remainder_x
      - .offset:         84
        .size:           2
        .value_kind:     hidden_remainder_y
      - .offset:         86
        .size:           2
        .value_kind:     hidden_remainder_z
      - .offset:         104
        .size:           8
        .value_kind:     hidden_global_offset_x
      - .offset:         112
        .size:           8
        .value_kind:     hidden_global_offset_y
      - .offset:         120
        .size:           8
        .value_kind:     hidden_global_offset_z
      - .offset:         128
        .size:           2
        .value_kind:     hidden_grid_dims
    .group_segment_fixed_size: 0
    .kernarg_segment_align: 8
    .kernarg_segment_size: 320
    .language:       OpenCL C
    .language_version:
      - 2
      - 0
    .max_flat_workgroup_size: 64
    .name:           _ZN2at6native12_GLOBAL__N_135GammaBetaBackwardCUDAKernelTemplateIN3c108BFloat16EfLj64ELj1ELj8ELb1ELb0ELb1EEEvllPKT_S7_PKT0_SA_PS5_SB_
    .private_segment_fixed_size: 0
    .sgpr_count:     34
    .sgpr_spill_count: 0
    .symbol:         _ZN2at6native12_GLOBAL__N_135GammaBetaBackwardCUDAKernelTemplateIN3c108BFloat16EfLj64ELj1ELj8ELb1ELb0ELb1EEEvllPKT_S7_PKT0_SA_PS5_SB_.kd
    .uniform_work_group_size: 1
    .uses_dynamic_stack: false
    .vgpr_count:     93
    .vgpr_spill_count: 0
    .wavefront_size: 32
    .workgroup_processor_mode: 1
  - .args:
      - .offset:         0
        .size:           8
        .value_kind:     by_value
      - .offset:         8
        .size:           8
        .value_kind:     by_value
      - .actual_access:  read_only
        .address_space:  global
        .offset:         16
        .size:           8
        .value_kind:     global_buffer
      - .actual_access:  read_only
        .address_space:  global
        .offset:         24
        .size:           8
        .value_kind:     global_buffer
      - .actual_access:  read_only
        .address_space:  global
        .offset:         32
        .size:           8
        .value_kind:     global_buffer
      - .actual_access:  read_only
        .address_space:  global
        .offset:         40
        .size:           8
        .value_kind:     global_buffer
      - .actual_access:  write_only
        .address_space:  global
        .offset:         48
        .size:           8
        .value_kind:     global_buffer
      - .actual_access:  read_only
        .address_space:  global
        .offset:         56
        .size:           8
        .value_kind:     global_buffer
      - .offset:         64
        .size:           4
        .value_kind:     hidden_block_count_x
      - .offset:         68
        .size:           4
        .value_kind:     hidden_block_count_y
      - .offset:         72
        .size:           4
        .value_kind:     hidden_block_count_z
      - .offset:         76
        .size:           2
        .value_kind:     hidden_group_size_x
      - .offset:         78
        .size:           2
        .value_kind:     hidden_group_size_y
      - .offset:         80
        .size:           2
        .value_kind:     hidden_group_size_z
      - .offset:         82
        .size:           2
        .value_kind:     hidden_remainder_x
      - .offset:         84
        .size:           2
        .value_kind:     hidden_remainder_y
      - .offset:         86
        .size:           2
        .value_kind:     hidden_remainder_z
      - .offset:         104
        .size:           8
        .value_kind:     hidden_global_offset_x
      - .offset:         112
        .size:           8
        .value_kind:     hidden_global_offset_y
      - .offset:         120
        .size:           8
        .value_kind:     hidden_global_offset_z
      - .offset:         128
        .size:           2
        .value_kind:     hidden_grid_dims
      - .offset:         184
        .size:           4
        .value_kind:     hidden_dynamic_lds_size
    .group_segment_fixed_size: 0
    .kernarg_segment_align: 8
    .kernarg_segment_size: 320
    .language:       OpenCL C
    .language_version:
      - 2
      - 0
    .max_flat_workgroup_size: 512
    .name:           _ZN2at6native12_GLOBAL__N_135GammaBetaBackwardCUDAKernelTemplateIN3c108BFloat16EfLj64ELj8ELj64ELb0ELb1ELb1EEEvllPKT_S7_PKT0_SA_PS5_SB_
    .private_segment_fixed_size: 0
    .sgpr_count:     23
    .sgpr_spill_count: 0
    .symbol:         _ZN2at6native12_GLOBAL__N_135GammaBetaBackwardCUDAKernelTemplateIN3c108BFloat16EfLj64ELj8ELj64ELb0ELb1ELb1EEEvllPKT_S7_PKT0_SA_PS5_SB_.kd
    .uniform_work_group_size: 1
    .uses_dynamic_stack: false
    .vgpr_count:     40
    .vgpr_spill_count: 0
    .wavefront_size: 32
    .workgroup_processor_mode: 1
  - .args:
      - .offset:         0
        .size:           8
        .value_kind:     by_value
      - .offset:         8
        .size:           8
        .value_kind:     by_value
      - .actual_access:  read_only
        .address_space:  global
        .offset:         16
        .size:           8
        .value_kind:     global_buffer
      - .actual_access:  read_only
        .address_space:  global
        .offset:         24
        .size:           8
        .value_kind:     global_buffer
      - .actual_access:  read_only
        .address_space:  global
        .offset:         32
        .size:           8
        .value_kind:     global_buffer
      - .actual_access:  read_only
        .address_space:  global
        .offset:         40
        .size:           8
        .value_kind:     global_buffer
      - .actual_access:  write_only
        .address_space:  global
        .offset:         48
        .size:           8
        .value_kind:     global_buffer
      - .actual_access:  read_only
        .address_space:  global
        .offset:         56
        .size:           8
        .value_kind:     global_buffer
      - .offset:         64
        .size:           4
        .value_kind:     hidden_block_count_x
      - .offset:         68
        .size:           4
        .value_kind:     hidden_block_count_y
      - .offset:         72
        .size:           4
        .value_kind:     hidden_block_count_z
      - .offset:         76
        .size:           2
        .value_kind:     hidden_group_size_x
      - .offset:         78
        .size:           2
        .value_kind:     hidden_group_size_y
      - .offset:         80
        .size:           2
        .value_kind:     hidden_group_size_z
      - .offset:         82
        .size:           2
        .value_kind:     hidden_remainder_x
      - .offset:         84
        .size:           2
        .value_kind:     hidden_remainder_y
      - .offset:         86
        .size:           2
        .value_kind:     hidden_remainder_z
      - .offset:         104
        .size:           8
        .value_kind:     hidden_global_offset_x
      - .offset:         112
        .size:           8
        .value_kind:     hidden_global_offset_y
      - .offset:         120
        .size:           8
        .value_kind:     hidden_global_offset_z
      - .offset:         128
        .size:           2
        .value_kind:     hidden_grid_dims
      - .offset:         184
        .size:           4
        .value_kind:     hidden_dynamic_lds_size
    .group_segment_fixed_size: 0
    .kernarg_segment_align: 8
    .kernarg_segment_size: 320
    .language:       OpenCL C
    .language_version:
      - 2
      - 0
    .max_flat_workgroup_size: 512
    .name:           _ZN2at6native12_GLOBAL__N_135GammaBetaBackwardCUDAKernelTemplateIN3c108BFloat16EfLj64ELj8ELj64ELb0ELb0ELb1EEEvllPKT_S7_PKT0_SA_PS5_SB_
    .private_segment_fixed_size: 0
    .sgpr_count:     34
    .sgpr_spill_count: 0
    .symbol:         _ZN2at6native12_GLOBAL__N_135GammaBetaBackwardCUDAKernelTemplateIN3c108BFloat16EfLj64ELj8ELj64ELb0ELb0ELb1EEEvllPKT_S7_PKT0_SA_PS5_SB_.kd
    .uniform_work_group_size: 1
    .uses_dynamic_stack: false
    .vgpr_count:     92
    .vgpr_spill_count: 0
    .wavefront_size: 32
    .workgroup_processor_mode: 1
  - .args:
      - .offset:         0
        .size:           8
        .value_kind:     by_value
      - .offset:         8
        .size:           8
        .value_kind:     by_value
      - .actual_access:  read_only
        .address_space:  global
        .offset:         16
        .size:           8
        .value_kind:     global_buffer
      - .actual_access:  read_only
        .address_space:  global
        .offset:         24
        .size:           8
        .value_kind:     global_buffer
      - .actual_access:  read_only
        .address_space:  global
        .offset:         32
        .size:           8
        .value_kind:     global_buffer
      - .actual_access:  read_only
        .address_space:  global
        .offset:         40
        .size:           8
        .value_kind:     global_buffer
      - .actual_access:  write_only
        .address_space:  global
        .offset:         48
        .size:           8
        .value_kind:     global_buffer
      - .actual_access:  read_only
        .address_space:  global
        .offset:         56
        .size:           8
        .value_kind:     global_buffer
      - .offset:         64
        .size:           4
        .value_kind:     hidden_block_count_x
      - .offset:         68
        .size:           4
        .value_kind:     hidden_block_count_y
      - .offset:         72
        .size:           4
        .value_kind:     hidden_block_count_z
      - .offset:         76
        .size:           2
        .value_kind:     hidden_group_size_x
      - .offset:         78
        .size:           2
        .value_kind:     hidden_group_size_y
      - .offset:         80
        .size:           2
        .value_kind:     hidden_group_size_z
      - .offset:         82
        .size:           2
        .value_kind:     hidden_remainder_x
      - .offset:         84
        .size:           2
        .value_kind:     hidden_remainder_y
      - .offset:         86
        .size:           2
        .value_kind:     hidden_remainder_z
      - .offset:         104
        .size:           8
        .value_kind:     hidden_global_offset_x
      - .offset:         112
        .size:           8
        .value_kind:     hidden_global_offset_y
      - .offset:         120
        .size:           8
        .value_kind:     hidden_global_offset_z
      - .offset:         128
        .size:           2
        .value_kind:     hidden_grid_dims
      - .offset:         184
        .size:           4
        .value_kind:     hidden_dynamic_lds_size
    .group_segment_fixed_size: 0
    .kernarg_segment_align: 8
    .kernarg_segment_size: 320
    .language:       OpenCL C
    .language_version:
      - 2
      - 0
    .max_flat_workgroup_size: 1024
    .name:           _ZN2at6native12_GLOBAL__N_135GammaBetaBackwardCUDAKernelTemplateIN3c108BFloat16EfLj64ELj16ELj128ELb0ELb1ELb1EEEvllPKT_S7_PKT0_SA_PS5_SB_
    .private_segment_fixed_size: 0
    .sgpr_count:     23
    .sgpr_spill_count: 0
    .symbol:         _ZN2at6native12_GLOBAL__N_135GammaBetaBackwardCUDAKernelTemplateIN3c108BFloat16EfLj64ELj16ELj128ELb0ELb1ELb1EEEvllPKT_S7_PKT0_SA_PS5_SB_.kd
    .uniform_work_group_size: 1
    .uses_dynamic_stack: false
    .vgpr_count:     40
    .vgpr_spill_count: 0
    .wavefront_size: 32
    .workgroup_processor_mode: 1
  - .args:
      - .offset:         0
        .size:           8
        .value_kind:     by_value
      - .offset:         8
        .size:           8
        .value_kind:     by_value
      - .actual_access:  read_only
        .address_space:  global
        .offset:         16
        .size:           8
        .value_kind:     global_buffer
      - .actual_access:  read_only
        .address_space:  global
        .offset:         24
        .size:           8
        .value_kind:     global_buffer
      - .actual_access:  read_only
        .address_space:  global
        .offset:         32
        .size:           8
        .value_kind:     global_buffer
      - .actual_access:  read_only
        .address_space:  global
        .offset:         40
        .size:           8
        .value_kind:     global_buffer
      - .actual_access:  write_only
        .address_space:  global
        .offset:         48
        .size:           8
        .value_kind:     global_buffer
      - .actual_access:  read_only
        .address_space:  global
        .offset:         56
        .size:           8
        .value_kind:     global_buffer
      - .offset:         64
        .size:           4
        .value_kind:     hidden_block_count_x
      - .offset:         68
        .size:           4
        .value_kind:     hidden_block_count_y
      - .offset:         72
        .size:           4
        .value_kind:     hidden_block_count_z
      - .offset:         76
        .size:           2
        .value_kind:     hidden_group_size_x
      - .offset:         78
        .size:           2
        .value_kind:     hidden_group_size_y
      - .offset:         80
        .size:           2
        .value_kind:     hidden_group_size_z
      - .offset:         82
        .size:           2
        .value_kind:     hidden_remainder_x
      - .offset:         84
        .size:           2
        .value_kind:     hidden_remainder_y
      - .offset:         86
        .size:           2
        .value_kind:     hidden_remainder_z
      - .offset:         104
        .size:           8
        .value_kind:     hidden_global_offset_x
      - .offset:         112
        .size:           8
        .value_kind:     hidden_global_offset_y
      - .offset:         120
        .size:           8
        .value_kind:     hidden_global_offset_z
      - .offset:         128
        .size:           2
        .value_kind:     hidden_grid_dims
      - .offset:         184
        .size:           4
        .value_kind:     hidden_dynamic_lds_size
    .group_segment_fixed_size: 0
    .kernarg_segment_align: 8
    .kernarg_segment_size: 320
    .language:       OpenCL C
    .language_version:
      - 2
      - 0
    .max_flat_workgroup_size: 1024
    .name:           _ZN2at6native12_GLOBAL__N_135GammaBetaBackwardCUDAKernelTemplateIN3c108BFloat16EfLj64ELj16ELj128ELb0ELb0ELb1EEEvllPKT_S7_PKT0_SA_PS5_SB_
    .private_segment_fixed_size: 0
    .sgpr_count:     34
    .sgpr_spill_count: 0
    .symbol:         _ZN2at6native12_GLOBAL__N_135GammaBetaBackwardCUDAKernelTemplateIN3c108BFloat16EfLj64ELj16ELj128ELb0ELb0ELb1EEEvllPKT_S7_PKT0_SA_PS5_SB_.kd
    .uniform_work_group_size: 1
    .uses_dynamic_stack: false
    .vgpr_count:     92
    .vgpr_spill_count: 0
    .wavefront_size: 32
    .workgroup_processor_mode: 1
  - .args:
      - .offset:         0
        .size:           8
        .value_kind:     by_value
      - .offset:         8
        .size:           8
        .value_kind:     by_value
      - .actual_access:  read_only
        .address_space:  global
        .offset:         16
        .size:           8
        .value_kind:     global_buffer
      - .actual_access:  read_only
        .address_space:  global
        .offset:         24
        .size:           8
        .value_kind:     global_buffer
      - .actual_access:  read_only
        .address_space:  global
        .offset:         32
        .size:           8
        .value_kind:     global_buffer
      - .actual_access:  read_only
        .address_space:  global
        .offset:         40
        .size:           8
        .value_kind:     global_buffer
      - .actual_access:  write_only
        .address_space:  global
        .offset:         48
        .size:           8
        .value_kind:     global_buffer
      - .actual_access:  read_only
        .address_space:  global
        .offset:         56
        .size:           8
        .value_kind:     global_buffer
      - .offset:         64
        .size:           4
        .value_kind:     hidden_block_count_x
      - .offset:         68
        .size:           4
        .value_kind:     hidden_block_count_y
      - .offset:         72
        .size:           4
        .value_kind:     hidden_block_count_z
      - .offset:         76
        .size:           2
        .value_kind:     hidden_group_size_x
      - .offset:         78
        .size:           2
        .value_kind:     hidden_group_size_y
      - .offset:         80
        .size:           2
        .value_kind:     hidden_group_size_z
      - .offset:         82
        .size:           2
        .value_kind:     hidden_remainder_x
      - .offset:         84
        .size:           2
        .value_kind:     hidden_remainder_y
      - .offset:         86
        .size:           2
        .value_kind:     hidden_remainder_z
      - .offset:         104
        .size:           8
        .value_kind:     hidden_global_offset_x
      - .offset:         112
        .size:           8
        .value_kind:     hidden_global_offset_y
      - .offset:         120
        .size:           8
        .value_kind:     hidden_global_offset_z
      - .offset:         128
        .size:           2
        .value_kind:     hidden_grid_dims
      - .offset:         184
        .size:           4
        .value_kind:     hidden_dynamic_lds_size
    .group_segment_fixed_size: 0
    .kernarg_segment_align: 8
    .kernarg_segment_size: 320
    .language:       OpenCL C
    .language_version:
      - 2
      - 0
    .max_flat_workgroup_size: 1024
    .name:           _ZN2at6native12_GLOBAL__N_135GammaBetaBackwardCUDAKernelTemplateIN3c108BFloat16EfLj64ELj16ELj256ELb0ELb1ELb1EEEvllPKT_S7_PKT0_SA_PS5_SB_
    .private_segment_fixed_size: 0
    .sgpr_count:     23
    .sgpr_spill_count: 0
    .symbol:         _ZN2at6native12_GLOBAL__N_135GammaBetaBackwardCUDAKernelTemplateIN3c108BFloat16EfLj64ELj16ELj256ELb0ELb1ELb1EEEvllPKT_S7_PKT0_SA_PS5_SB_.kd
    .uniform_work_group_size: 1
    .uses_dynamic_stack: false
    .vgpr_count:     64
    .vgpr_spill_count: 0
    .wavefront_size: 32
    .workgroup_processor_mode: 1
  - .args:
      - .offset:         0
        .size:           8
        .value_kind:     by_value
      - .offset:         8
        .size:           8
        .value_kind:     by_value
      - .actual_access:  read_only
        .address_space:  global
        .offset:         16
        .size:           8
        .value_kind:     global_buffer
      - .actual_access:  read_only
        .address_space:  global
        .offset:         24
        .size:           8
        .value_kind:     global_buffer
      - .actual_access:  read_only
        .address_space:  global
        .offset:         32
        .size:           8
        .value_kind:     global_buffer
      - .actual_access:  read_only
        .address_space:  global
        .offset:         40
        .size:           8
        .value_kind:     global_buffer
      - .actual_access:  write_only
        .address_space:  global
        .offset:         48
        .size:           8
        .value_kind:     global_buffer
      - .actual_access:  read_only
        .address_space:  global
        .offset:         56
        .size:           8
        .value_kind:     global_buffer
      - .offset:         64
        .size:           4
        .value_kind:     hidden_block_count_x
      - .offset:         68
        .size:           4
        .value_kind:     hidden_block_count_y
      - .offset:         72
        .size:           4
        .value_kind:     hidden_block_count_z
      - .offset:         76
        .size:           2
        .value_kind:     hidden_group_size_x
      - .offset:         78
        .size:           2
        .value_kind:     hidden_group_size_y
      - .offset:         80
        .size:           2
        .value_kind:     hidden_group_size_z
      - .offset:         82
        .size:           2
        .value_kind:     hidden_remainder_x
      - .offset:         84
        .size:           2
        .value_kind:     hidden_remainder_y
      - .offset:         86
        .size:           2
        .value_kind:     hidden_remainder_z
      - .offset:         104
        .size:           8
        .value_kind:     hidden_global_offset_x
      - .offset:         112
        .size:           8
        .value_kind:     hidden_global_offset_y
      - .offset:         120
        .size:           8
        .value_kind:     hidden_global_offset_z
      - .offset:         128
        .size:           2
        .value_kind:     hidden_grid_dims
      - .offset:         184
        .size:           4
        .value_kind:     hidden_dynamic_lds_size
    .group_segment_fixed_size: 0
    .kernarg_segment_align: 8
    .kernarg_segment_size: 320
    .language:       OpenCL C
    .language_version:
      - 2
      - 0
    .max_flat_workgroup_size: 1024
    .name:           _ZN2at6native12_GLOBAL__N_135GammaBetaBackwardCUDAKernelTemplateIN3c108BFloat16EfLj64ELj16ELj256ELb0ELb0ELb1EEEvllPKT_S7_PKT0_SA_PS5_SB_
    .private_segment_fixed_size: 0
    .sgpr_count:     34
    .sgpr_spill_count: 0
    .symbol:         _ZN2at6native12_GLOBAL__N_135GammaBetaBackwardCUDAKernelTemplateIN3c108BFloat16EfLj64ELj16ELj256ELb0ELb0ELb1EEEvllPKT_S7_PKT0_SA_PS5_SB_.kd
    .uniform_work_group_size: 1
    .uses_dynamic_stack: false
    .vgpr_count:     172
    .vgpr_spill_count: 0
    .wavefront_size: 32
    .workgroup_processor_mode: 1
  - .args:
      - .offset:         0
        .size:           8
        .value_kind:     by_value
      - .offset:         8
        .size:           8
        .value_kind:     by_value
      - .actual_access:  read_only
        .address_space:  global
        .offset:         16
        .size:           8
        .value_kind:     global_buffer
      - .actual_access:  read_only
        .address_space:  global
        .offset:         24
        .size:           8
        .value_kind:     global_buffer
      - .actual_access:  read_only
        .address_space:  global
        .offset:         32
        .size:           8
        .value_kind:     global_buffer
      - .actual_access:  read_only
        .address_space:  global
        .offset:         40
        .size:           8
        .value_kind:     global_buffer
      - .actual_access:  write_only
        .address_space:  global
        .offset:         48
        .size:           8
        .value_kind:     global_buffer
      - .actual_access:  read_only
        .address_space:  global
        .offset:         56
        .size:           8
        .value_kind:     global_buffer
      - .offset:         64
        .size:           4
        .value_kind:     hidden_block_count_x
      - .offset:         68
        .size:           4
        .value_kind:     hidden_block_count_y
      - .offset:         72
        .size:           4
        .value_kind:     hidden_block_count_z
      - .offset:         76
        .size:           2
        .value_kind:     hidden_group_size_x
      - .offset:         78
        .size:           2
        .value_kind:     hidden_group_size_y
      - .offset:         80
        .size:           2
        .value_kind:     hidden_group_size_z
      - .offset:         82
        .size:           2
        .value_kind:     hidden_remainder_x
      - .offset:         84
        .size:           2
        .value_kind:     hidden_remainder_y
      - .offset:         86
        .size:           2
        .value_kind:     hidden_remainder_z
      - .offset:         104
        .size:           8
        .value_kind:     hidden_global_offset_x
      - .offset:         112
        .size:           8
        .value_kind:     hidden_global_offset_y
      - .offset:         120
        .size:           8
        .value_kind:     hidden_global_offset_z
      - .offset:         128
        .size:           2
        .value_kind:     hidden_grid_dims
    .group_segment_fixed_size: 0
    .kernarg_segment_align: 8
    .kernarg_segment_size: 320
    .language:       OpenCL C
    .language_version:
      - 2
      - 0
    .max_flat_workgroup_size: 32
    .name:           _ZN2at6native12_GLOBAL__N_135GammaBetaBackwardCUDAKernelTemplateIN3c108BFloat16EfLj32ELj1ELj32ELb1ELb1ELb1EEEvllPKT_S7_PKT0_SA_PS5_SB_
    .private_segment_fixed_size: 0
    .sgpr_count:     25
    .sgpr_spill_count: 0
    .symbol:         _ZN2at6native12_GLOBAL__N_135GammaBetaBackwardCUDAKernelTemplateIN3c108BFloat16EfLj32ELj1ELj32ELb1ELb1ELb1EEEvllPKT_S7_PKT0_SA_PS5_SB_.kd
    .uniform_work_group_size: 1
    .uses_dynamic_stack: false
    .vgpr_count:     96
    .vgpr_spill_count: 0
    .wavefront_size: 32
    .workgroup_processor_mode: 1
  - .args:
      - .offset:         0
        .size:           8
        .value_kind:     by_value
      - .offset:         8
        .size:           8
        .value_kind:     by_value
      - .actual_access:  read_only
        .address_space:  global
        .offset:         16
        .size:           8
        .value_kind:     global_buffer
      - .actual_access:  read_only
        .address_space:  global
        .offset:         24
        .size:           8
        .value_kind:     global_buffer
      - .actual_access:  read_only
        .address_space:  global
        .offset:         32
        .size:           8
        .value_kind:     global_buffer
      - .actual_access:  read_only
        .address_space:  global
        .offset:         40
        .size:           8
        .value_kind:     global_buffer
      - .actual_access:  write_only
        .address_space:  global
        .offset:         48
        .size:           8
        .value_kind:     global_buffer
      - .actual_access:  read_only
        .address_space:  global
        .offset:         56
        .size:           8
        .value_kind:     global_buffer
      - .offset:         64
        .size:           4
        .value_kind:     hidden_block_count_x
      - .offset:         68
        .size:           4
        .value_kind:     hidden_block_count_y
      - .offset:         72
        .size:           4
        .value_kind:     hidden_block_count_z
      - .offset:         76
        .size:           2
        .value_kind:     hidden_group_size_x
      - .offset:         78
        .size:           2
        .value_kind:     hidden_group_size_y
      - .offset:         80
        .size:           2
        .value_kind:     hidden_group_size_z
      - .offset:         82
        .size:           2
        .value_kind:     hidden_remainder_x
      - .offset:         84
        .size:           2
        .value_kind:     hidden_remainder_y
      - .offset:         86
        .size:           2
        .value_kind:     hidden_remainder_z
      - .offset:         104
        .size:           8
        .value_kind:     hidden_global_offset_x
      - .offset:         112
        .size:           8
        .value_kind:     hidden_global_offset_y
      - .offset:         120
        .size:           8
        .value_kind:     hidden_global_offset_z
      - .offset:         128
        .size:           2
        .value_kind:     hidden_grid_dims
    .group_segment_fixed_size: 0
    .kernarg_segment_align: 8
    .kernarg_segment_size: 320
    .language:       OpenCL C
    .language_version:
      - 2
      - 0
    .max_flat_workgroup_size: 32
    .name:           _ZN2at6native12_GLOBAL__N_135GammaBetaBackwardCUDAKernelTemplateIN3c108BFloat16EfLj32ELj1ELj32ELb1ELb0ELb1EEEvllPKT_S7_PKT0_SA_PS5_SB_
    .private_segment_fixed_size: 316
    .sgpr_count:     34
    .sgpr_spill_count: 0
    .symbol:         _ZN2at6native12_GLOBAL__N_135GammaBetaBackwardCUDAKernelTemplateIN3c108BFloat16EfLj32ELj1ELj32ELb1ELb0ELb1EEEvllPKT_S7_PKT0_SA_PS5_SB_.kd
    .uniform_work_group_size: 1
    .uses_dynamic_stack: false
    .vgpr_count:     256
    .vgpr_spill_count: 153
    .wavefront_size: 32
    .workgroup_processor_mode: 1
  - .args:
      - .offset:         0
        .size:           8
        .value_kind:     by_value
      - .offset:         8
        .size:           8
        .value_kind:     by_value
      - .actual_access:  read_only
        .address_space:  global
        .offset:         16
        .size:           8
        .value_kind:     global_buffer
      - .actual_access:  read_only
        .address_space:  global
        .offset:         24
        .size:           8
        .value_kind:     global_buffer
      - .actual_access:  read_only
        .address_space:  global
        .offset:         32
        .size:           8
        .value_kind:     global_buffer
      - .actual_access:  read_only
        .address_space:  global
        .offset:         40
        .size:           8
        .value_kind:     global_buffer
      - .actual_access:  write_only
        .address_space:  global
        .offset:         48
        .size:           8
        .value_kind:     global_buffer
      - .actual_access:  read_only
        .address_space:  global
        .offset:         56
        .size:           8
        .value_kind:     global_buffer
      - .offset:         64
        .size:           4
        .value_kind:     hidden_block_count_x
      - .offset:         68
        .size:           4
        .value_kind:     hidden_block_count_y
      - .offset:         72
        .size:           4
        .value_kind:     hidden_block_count_z
      - .offset:         76
        .size:           2
        .value_kind:     hidden_group_size_x
      - .offset:         78
        .size:           2
        .value_kind:     hidden_group_size_y
      - .offset:         80
        .size:           2
        .value_kind:     hidden_group_size_z
      - .offset:         82
        .size:           2
        .value_kind:     hidden_remainder_x
      - .offset:         84
        .size:           2
        .value_kind:     hidden_remainder_y
      - .offset:         86
        .size:           2
        .value_kind:     hidden_remainder_z
      - .offset:         104
        .size:           8
        .value_kind:     hidden_global_offset_x
      - .offset:         112
        .size:           8
        .value_kind:     hidden_global_offset_y
      - .offset:         120
        .size:           8
        .value_kind:     hidden_global_offset_z
      - .offset:         128
        .size:           2
        .value_kind:     hidden_grid_dims
    .group_segment_fixed_size: 0
    .kernarg_segment_align: 8
    .kernarg_segment_size: 320
    .language:       OpenCL C
    .language_version:
      - 2
      - 0
    .max_flat_workgroup_size: 32
    .name:           _ZN2at6native12_GLOBAL__N_135GammaBetaBackwardCUDAKernelTemplateIN3c108BFloat16EfLj32ELj1ELj8ELb1ELb1ELb1EEEvllPKT_S7_PKT0_SA_PS5_SB_
    .private_segment_fixed_size: 0
    .sgpr_count:     27
    .sgpr_spill_count: 0
    .symbol:         _ZN2at6native12_GLOBAL__N_135GammaBetaBackwardCUDAKernelTemplateIN3c108BFloat16EfLj32ELj1ELj8ELb1ELb1ELb1EEEvllPKT_S7_PKT0_SA_PS5_SB_.kd
    .uniform_work_group_size: 1
    .uses_dynamic_stack: false
    .vgpr_count:     40
    .vgpr_spill_count: 0
    .wavefront_size: 32
    .workgroup_processor_mode: 1
  - .args:
      - .offset:         0
        .size:           8
        .value_kind:     by_value
      - .offset:         8
        .size:           8
        .value_kind:     by_value
      - .actual_access:  read_only
        .address_space:  global
        .offset:         16
        .size:           8
        .value_kind:     global_buffer
      - .actual_access:  read_only
        .address_space:  global
        .offset:         24
        .size:           8
        .value_kind:     global_buffer
      - .actual_access:  read_only
        .address_space:  global
        .offset:         32
        .size:           8
        .value_kind:     global_buffer
      - .actual_access:  read_only
        .address_space:  global
        .offset:         40
        .size:           8
        .value_kind:     global_buffer
      - .actual_access:  write_only
        .address_space:  global
        .offset:         48
        .size:           8
        .value_kind:     global_buffer
      - .actual_access:  read_only
        .address_space:  global
        .offset:         56
        .size:           8
        .value_kind:     global_buffer
      - .offset:         64
        .size:           4
        .value_kind:     hidden_block_count_x
      - .offset:         68
        .size:           4
        .value_kind:     hidden_block_count_y
      - .offset:         72
        .size:           4
        .value_kind:     hidden_block_count_z
      - .offset:         76
        .size:           2
        .value_kind:     hidden_group_size_x
      - .offset:         78
        .size:           2
        .value_kind:     hidden_group_size_y
      - .offset:         80
        .size:           2
        .value_kind:     hidden_group_size_z
      - .offset:         82
        .size:           2
        .value_kind:     hidden_remainder_x
      - .offset:         84
        .size:           2
        .value_kind:     hidden_remainder_y
      - .offset:         86
        .size:           2
        .value_kind:     hidden_remainder_z
      - .offset:         104
        .size:           8
        .value_kind:     hidden_global_offset_x
      - .offset:         112
        .size:           8
        .value_kind:     hidden_global_offset_y
      - .offset:         120
        .size:           8
        .value_kind:     hidden_global_offset_z
      - .offset:         128
        .size:           2
        .value_kind:     hidden_grid_dims
    .group_segment_fixed_size: 0
    .kernarg_segment_align: 8
    .kernarg_segment_size: 320
    .language:       OpenCL C
    .language_version:
      - 2
      - 0
    .max_flat_workgroup_size: 32
    .name:           _ZN2at6native12_GLOBAL__N_135GammaBetaBackwardCUDAKernelTemplateIN3c108BFloat16EfLj32ELj1ELj8ELb1ELb0ELb1EEEvllPKT_S7_PKT0_SA_PS5_SB_
    .private_segment_fixed_size: 0
    .sgpr_count:     34
    .sgpr_spill_count: 0
    .symbol:         _ZN2at6native12_GLOBAL__N_135GammaBetaBackwardCUDAKernelTemplateIN3c108BFloat16EfLj32ELj1ELj8ELb1ELb0ELb1EEEvllPKT_S7_PKT0_SA_PS5_SB_.kd
    .uniform_work_group_size: 1
    .uses_dynamic_stack: false
    .vgpr_count:     93
    .vgpr_spill_count: 0
    .wavefront_size: 32
    .workgroup_processor_mode: 1
  - .args:
      - .offset:         0
        .size:           8
        .value_kind:     by_value
      - .offset:         8
        .size:           8
        .value_kind:     by_value
      - .actual_access:  read_only
        .address_space:  global
        .offset:         16
        .size:           8
        .value_kind:     global_buffer
      - .actual_access:  read_only
        .address_space:  global
        .offset:         24
        .size:           8
        .value_kind:     global_buffer
      - .actual_access:  read_only
        .address_space:  global
        .offset:         32
        .size:           8
        .value_kind:     global_buffer
      - .actual_access:  read_only
        .address_space:  global
        .offset:         40
        .size:           8
        .value_kind:     global_buffer
      - .actual_access:  write_only
        .address_space:  global
        .offset:         48
        .size:           8
        .value_kind:     global_buffer
      - .actual_access:  read_only
        .address_space:  global
        .offset:         56
        .size:           8
        .value_kind:     global_buffer
      - .offset:         64
        .size:           4
        .value_kind:     hidden_block_count_x
      - .offset:         68
        .size:           4
        .value_kind:     hidden_block_count_y
      - .offset:         72
        .size:           4
        .value_kind:     hidden_block_count_z
      - .offset:         76
        .size:           2
        .value_kind:     hidden_group_size_x
      - .offset:         78
        .size:           2
        .value_kind:     hidden_group_size_y
      - .offset:         80
        .size:           2
        .value_kind:     hidden_group_size_z
      - .offset:         82
        .size:           2
        .value_kind:     hidden_remainder_x
      - .offset:         84
        .size:           2
        .value_kind:     hidden_remainder_y
      - .offset:         86
        .size:           2
        .value_kind:     hidden_remainder_z
      - .offset:         104
        .size:           8
        .value_kind:     hidden_global_offset_x
      - .offset:         112
        .size:           8
        .value_kind:     hidden_global_offset_y
      - .offset:         120
        .size:           8
        .value_kind:     hidden_global_offset_z
      - .offset:         128
        .size:           2
        .value_kind:     hidden_grid_dims
      - .offset:         184
        .size:           4
        .value_kind:     hidden_dynamic_lds_size
    .group_segment_fixed_size: 0
    .kernarg_segment_align: 8
    .kernarg_segment_size: 320
    .language:       OpenCL C
    .language_version:
      - 2
      - 0
    .max_flat_workgroup_size: 256
    .name:           _ZN2at6native12_GLOBAL__N_135GammaBetaBackwardCUDAKernelTemplateIN3c108BFloat16EfLj32ELj8ELj64ELb0ELb1ELb1EEEvllPKT_S7_PKT0_SA_PS5_SB_
    .private_segment_fixed_size: 0
    .sgpr_count:     23
    .sgpr_spill_count: 0
    .symbol:         _ZN2at6native12_GLOBAL__N_135GammaBetaBackwardCUDAKernelTemplateIN3c108BFloat16EfLj32ELj8ELj64ELb0ELb1ELb1EEEvllPKT_S7_PKT0_SA_PS5_SB_.kd
    .uniform_work_group_size: 1
    .uses_dynamic_stack: false
    .vgpr_count:     40
    .vgpr_spill_count: 0
    .wavefront_size: 32
    .workgroup_processor_mode: 1
  - .args:
      - .offset:         0
        .size:           8
        .value_kind:     by_value
      - .offset:         8
        .size:           8
        .value_kind:     by_value
      - .actual_access:  read_only
        .address_space:  global
        .offset:         16
        .size:           8
        .value_kind:     global_buffer
      - .actual_access:  read_only
        .address_space:  global
        .offset:         24
        .size:           8
        .value_kind:     global_buffer
      - .actual_access:  read_only
        .address_space:  global
        .offset:         32
        .size:           8
        .value_kind:     global_buffer
      - .actual_access:  read_only
        .address_space:  global
        .offset:         40
        .size:           8
        .value_kind:     global_buffer
      - .actual_access:  write_only
        .address_space:  global
        .offset:         48
        .size:           8
        .value_kind:     global_buffer
      - .actual_access:  read_only
        .address_space:  global
        .offset:         56
        .size:           8
        .value_kind:     global_buffer
      - .offset:         64
        .size:           4
        .value_kind:     hidden_block_count_x
      - .offset:         68
        .size:           4
        .value_kind:     hidden_block_count_y
      - .offset:         72
        .size:           4
        .value_kind:     hidden_block_count_z
      - .offset:         76
        .size:           2
        .value_kind:     hidden_group_size_x
      - .offset:         78
        .size:           2
        .value_kind:     hidden_group_size_y
      - .offset:         80
        .size:           2
        .value_kind:     hidden_group_size_z
      - .offset:         82
        .size:           2
        .value_kind:     hidden_remainder_x
      - .offset:         84
        .size:           2
        .value_kind:     hidden_remainder_y
      - .offset:         86
        .size:           2
        .value_kind:     hidden_remainder_z
      - .offset:         104
        .size:           8
        .value_kind:     hidden_global_offset_x
      - .offset:         112
        .size:           8
        .value_kind:     hidden_global_offset_y
      - .offset:         120
        .size:           8
        .value_kind:     hidden_global_offset_z
      - .offset:         128
        .size:           2
        .value_kind:     hidden_grid_dims
      - .offset:         184
        .size:           4
        .value_kind:     hidden_dynamic_lds_size
    .group_segment_fixed_size: 0
    .kernarg_segment_align: 8
    .kernarg_segment_size: 320
    .language:       OpenCL C
    .language_version:
      - 2
      - 0
    .max_flat_workgroup_size: 256
    .name:           _ZN2at6native12_GLOBAL__N_135GammaBetaBackwardCUDAKernelTemplateIN3c108BFloat16EfLj32ELj8ELj64ELb0ELb0ELb1EEEvllPKT_S7_PKT0_SA_PS5_SB_
    .private_segment_fixed_size: 0
    .sgpr_count:     34
    .sgpr_spill_count: 0
    .symbol:         _ZN2at6native12_GLOBAL__N_135GammaBetaBackwardCUDAKernelTemplateIN3c108BFloat16EfLj32ELj8ELj64ELb0ELb0ELb1EEEvllPKT_S7_PKT0_SA_PS5_SB_.kd
    .uniform_work_group_size: 1
    .uses_dynamic_stack: false
    .vgpr_count:     92
    .vgpr_spill_count: 0
    .wavefront_size: 32
    .workgroup_processor_mode: 1
  - .args:
      - .offset:         0
        .size:           8
        .value_kind:     by_value
      - .offset:         8
        .size:           8
        .value_kind:     by_value
      - .actual_access:  read_only
        .address_space:  global
        .offset:         16
        .size:           8
        .value_kind:     global_buffer
      - .actual_access:  read_only
        .address_space:  global
        .offset:         24
        .size:           8
        .value_kind:     global_buffer
      - .actual_access:  read_only
        .address_space:  global
        .offset:         32
        .size:           8
        .value_kind:     global_buffer
      - .actual_access:  read_only
        .address_space:  global
        .offset:         40
        .size:           8
        .value_kind:     global_buffer
      - .actual_access:  write_only
        .address_space:  global
        .offset:         48
        .size:           8
        .value_kind:     global_buffer
      - .actual_access:  read_only
        .address_space:  global
        .offset:         56
        .size:           8
        .value_kind:     global_buffer
      - .offset:         64
        .size:           4
        .value_kind:     hidden_block_count_x
      - .offset:         68
        .size:           4
        .value_kind:     hidden_block_count_y
      - .offset:         72
        .size:           4
        .value_kind:     hidden_block_count_z
      - .offset:         76
        .size:           2
        .value_kind:     hidden_group_size_x
      - .offset:         78
        .size:           2
        .value_kind:     hidden_group_size_y
      - .offset:         80
        .size:           2
        .value_kind:     hidden_group_size_z
      - .offset:         82
        .size:           2
        .value_kind:     hidden_remainder_x
      - .offset:         84
        .size:           2
        .value_kind:     hidden_remainder_y
      - .offset:         86
        .size:           2
        .value_kind:     hidden_remainder_z
      - .offset:         104
        .size:           8
        .value_kind:     hidden_global_offset_x
      - .offset:         112
        .size:           8
        .value_kind:     hidden_global_offset_y
      - .offset:         120
        .size:           8
        .value_kind:     hidden_global_offset_z
      - .offset:         128
        .size:           2
        .value_kind:     hidden_grid_dims
      - .offset:         184
        .size:           4
        .value_kind:     hidden_dynamic_lds_size
    .group_segment_fixed_size: 0
    .kernarg_segment_align: 8
    .kernarg_segment_size: 320
    .language:       OpenCL C
    .language_version:
      - 2
      - 0
    .max_flat_workgroup_size: 512
    .name:           _ZN2at6native12_GLOBAL__N_135GammaBetaBackwardCUDAKernelTemplateIN3c108BFloat16EfLj32ELj16ELj128ELb0ELb1ELb1EEEvllPKT_S7_PKT0_SA_PS5_SB_
    .private_segment_fixed_size: 0
    .sgpr_count:     23
    .sgpr_spill_count: 0
    .symbol:         _ZN2at6native12_GLOBAL__N_135GammaBetaBackwardCUDAKernelTemplateIN3c108BFloat16EfLj32ELj16ELj128ELb0ELb1ELb1EEEvllPKT_S7_PKT0_SA_PS5_SB_.kd
    .uniform_work_group_size: 1
    .uses_dynamic_stack: false
    .vgpr_count:     40
    .vgpr_spill_count: 0
    .wavefront_size: 32
    .workgroup_processor_mode: 1
  - .args:
      - .offset:         0
        .size:           8
        .value_kind:     by_value
      - .offset:         8
        .size:           8
        .value_kind:     by_value
      - .actual_access:  read_only
        .address_space:  global
        .offset:         16
        .size:           8
        .value_kind:     global_buffer
      - .actual_access:  read_only
        .address_space:  global
        .offset:         24
        .size:           8
        .value_kind:     global_buffer
      - .actual_access:  read_only
        .address_space:  global
        .offset:         32
        .size:           8
        .value_kind:     global_buffer
      - .actual_access:  read_only
        .address_space:  global
        .offset:         40
        .size:           8
        .value_kind:     global_buffer
      - .actual_access:  write_only
        .address_space:  global
        .offset:         48
        .size:           8
        .value_kind:     global_buffer
      - .actual_access:  read_only
        .address_space:  global
        .offset:         56
        .size:           8
        .value_kind:     global_buffer
      - .offset:         64
        .size:           4
        .value_kind:     hidden_block_count_x
      - .offset:         68
        .size:           4
        .value_kind:     hidden_block_count_y
      - .offset:         72
        .size:           4
        .value_kind:     hidden_block_count_z
      - .offset:         76
        .size:           2
        .value_kind:     hidden_group_size_x
      - .offset:         78
        .size:           2
        .value_kind:     hidden_group_size_y
      - .offset:         80
        .size:           2
        .value_kind:     hidden_group_size_z
      - .offset:         82
        .size:           2
        .value_kind:     hidden_remainder_x
      - .offset:         84
        .size:           2
        .value_kind:     hidden_remainder_y
      - .offset:         86
        .size:           2
        .value_kind:     hidden_remainder_z
      - .offset:         104
        .size:           8
        .value_kind:     hidden_global_offset_x
      - .offset:         112
        .size:           8
        .value_kind:     hidden_global_offset_y
      - .offset:         120
        .size:           8
        .value_kind:     hidden_global_offset_z
      - .offset:         128
        .size:           2
        .value_kind:     hidden_grid_dims
      - .offset:         184
        .size:           4
        .value_kind:     hidden_dynamic_lds_size
    .group_segment_fixed_size: 0
    .kernarg_segment_align: 8
    .kernarg_segment_size: 320
    .language:       OpenCL C
    .language_version:
      - 2
      - 0
    .max_flat_workgroup_size: 512
    .name:           _ZN2at6native12_GLOBAL__N_135GammaBetaBackwardCUDAKernelTemplateIN3c108BFloat16EfLj32ELj16ELj128ELb0ELb0ELb1EEEvllPKT_S7_PKT0_SA_PS5_SB_
    .private_segment_fixed_size: 0
    .sgpr_count:     34
    .sgpr_spill_count: 0
    .symbol:         _ZN2at6native12_GLOBAL__N_135GammaBetaBackwardCUDAKernelTemplateIN3c108BFloat16EfLj32ELj16ELj128ELb0ELb0ELb1EEEvllPKT_S7_PKT0_SA_PS5_SB_.kd
    .uniform_work_group_size: 1
    .uses_dynamic_stack: false
    .vgpr_count:     92
    .vgpr_spill_count: 0
    .wavefront_size: 32
    .workgroup_processor_mode: 1
  - .args:
      - .offset:         0
        .size:           8
        .value_kind:     by_value
      - .offset:         8
        .size:           8
        .value_kind:     by_value
      - .actual_access:  read_only
        .address_space:  global
        .offset:         16
        .size:           8
        .value_kind:     global_buffer
      - .actual_access:  read_only
        .address_space:  global
        .offset:         24
        .size:           8
        .value_kind:     global_buffer
      - .actual_access:  read_only
        .address_space:  global
        .offset:         32
        .size:           8
        .value_kind:     global_buffer
      - .actual_access:  read_only
        .address_space:  global
        .offset:         40
        .size:           8
        .value_kind:     global_buffer
      - .actual_access:  write_only
        .address_space:  global
        .offset:         48
        .size:           8
        .value_kind:     global_buffer
      - .actual_access:  read_only
        .address_space:  global
        .offset:         56
        .size:           8
        .value_kind:     global_buffer
      - .offset:         64
        .size:           4
        .value_kind:     hidden_block_count_x
      - .offset:         68
        .size:           4
        .value_kind:     hidden_block_count_y
      - .offset:         72
        .size:           4
        .value_kind:     hidden_block_count_z
      - .offset:         76
        .size:           2
        .value_kind:     hidden_group_size_x
      - .offset:         78
        .size:           2
        .value_kind:     hidden_group_size_y
      - .offset:         80
        .size:           2
        .value_kind:     hidden_group_size_z
      - .offset:         82
        .size:           2
        .value_kind:     hidden_remainder_x
      - .offset:         84
        .size:           2
        .value_kind:     hidden_remainder_y
      - .offset:         86
        .size:           2
        .value_kind:     hidden_remainder_z
      - .offset:         104
        .size:           8
        .value_kind:     hidden_global_offset_x
      - .offset:         112
        .size:           8
        .value_kind:     hidden_global_offset_y
      - .offset:         120
        .size:           8
        .value_kind:     hidden_global_offset_z
      - .offset:         128
        .size:           2
        .value_kind:     hidden_grid_dims
      - .offset:         184
        .size:           4
        .value_kind:     hidden_dynamic_lds_size
    .group_segment_fixed_size: 0
    .kernarg_segment_align: 8
    .kernarg_segment_size: 320
    .language:       OpenCL C
    .language_version:
      - 2
      - 0
    .max_flat_workgroup_size: 1024
    .name:           _ZN2at6native12_GLOBAL__N_135GammaBetaBackwardCUDAKernelTemplateIN3c108BFloat16EfLj32ELj32ELj256ELb0ELb1ELb1EEEvllPKT_S7_PKT0_SA_PS5_SB_
    .private_segment_fixed_size: 0
    .sgpr_count:     23
    .sgpr_spill_count: 0
    .symbol:         _ZN2at6native12_GLOBAL__N_135GammaBetaBackwardCUDAKernelTemplateIN3c108BFloat16EfLj32ELj32ELj256ELb0ELb1ELb1EEEvllPKT_S7_PKT0_SA_PS5_SB_.kd
    .uniform_work_group_size: 1
    .uses_dynamic_stack: false
    .vgpr_count:     40
    .vgpr_spill_count: 0
    .wavefront_size: 32
    .workgroup_processor_mode: 1
  - .args:
      - .offset:         0
        .size:           8
        .value_kind:     by_value
      - .offset:         8
        .size:           8
        .value_kind:     by_value
      - .actual_access:  read_only
        .address_space:  global
        .offset:         16
        .size:           8
        .value_kind:     global_buffer
      - .actual_access:  read_only
        .address_space:  global
        .offset:         24
        .size:           8
        .value_kind:     global_buffer
      - .actual_access:  read_only
        .address_space:  global
        .offset:         32
        .size:           8
        .value_kind:     global_buffer
      - .actual_access:  read_only
        .address_space:  global
        .offset:         40
        .size:           8
        .value_kind:     global_buffer
      - .actual_access:  write_only
        .address_space:  global
        .offset:         48
        .size:           8
        .value_kind:     global_buffer
      - .actual_access:  read_only
        .address_space:  global
        .offset:         56
        .size:           8
        .value_kind:     global_buffer
      - .offset:         64
        .size:           4
        .value_kind:     hidden_block_count_x
      - .offset:         68
        .size:           4
        .value_kind:     hidden_block_count_y
      - .offset:         72
        .size:           4
        .value_kind:     hidden_block_count_z
      - .offset:         76
        .size:           2
        .value_kind:     hidden_group_size_x
      - .offset:         78
        .size:           2
        .value_kind:     hidden_group_size_y
      - .offset:         80
        .size:           2
        .value_kind:     hidden_group_size_z
      - .offset:         82
        .size:           2
        .value_kind:     hidden_remainder_x
      - .offset:         84
        .size:           2
        .value_kind:     hidden_remainder_y
      - .offset:         86
        .size:           2
        .value_kind:     hidden_remainder_z
      - .offset:         104
        .size:           8
        .value_kind:     hidden_global_offset_x
      - .offset:         112
        .size:           8
        .value_kind:     hidden_global_offset_y
      - .offset:         120
        .size:           8
        .value_kind:     hidden_global_offset_z
      - .offset:         128
        .size:           2
        .value_kind:     hidden_grid_dims
      - .offset:         184
        .size:           4
        .value_kind:     hidden_dynamic_lds_size
    .group_segment_fixed_size: 0
    .kernarg_segment_align: 8
    .kernarg_segment_size: 320
    .language:       OpenCL C
    .language_version:
      - 2
      - 0
    .max_flat_workgroup_size: 1024
    .name:           _ZN2at6native12_GLOBAL__N_135GammaBetaBackwardCUDAKernelTemplateIN3c108BFloat16EfLj32ELj32ELj256ELb0ELb0ELb1EEEvllPKT_S7_PKT0_SA_PS5_SB_
    .private_segment_fixed_size: 0
    .sgpr_count:     34
    .sgpr_spill_count: 0
    .symbol:         _ZN2at6native12_GLOBAL__N_135GammaBetaBackwardCUDAKernelTemplateIN3c108BFloat16EfLj32ELj32ELj256ELb0ELb0ELb1EEEvllPKT_S7_PKT0_SA_PS5_SB_.kd
    .uniform_work_group_size: 1
    .uses_dynamic_stack: false
    .vgpr_count:     92
    .vgpr_spill_count: 0
    .wavefront_size: 32
    .workgroup_processor_mode: 1
amdhsa.target:   amdgcn-amd-amdhsa--gfx1201
amdhsa.version:
  - 1
  - 2
...

	.end_amdgpu_metadata
